;; amdgpu-corpus repo=ROCm/rocSPARSE kind=compiled arch=gfx906 opt=O3
	.amdgcn_target "amdgcn-amd-amdhsa--gfx906"
	.amdhsa_code_object_version 6
	.section	.text._ZN9rocsparseL42gtsv_transpose_and_pad_array_shared_kernelILj256ELj2EfEEviiiPKT1_PS1_S1_,"axG",@progbits,_ZN9rocsparseL42gtsv_transpose_and_pad_array_shared_kernelILj256ELj2EfEEviiiPKT1_PS1_S1_,comdat
	.globl	_ZN9rocsparseL42gtsv_transpose_and_pad_array_shared_kernelILj256ELj2EfEEviiiPKT1_PS1_S1_ ; -- Begin function _ZN9rocsparseL42gtsv_transpose_and_pad_array_shared_kernelILj256ELj2EfEEviiiPKT1_PS1_S1_
	.p2align	8
	.type	_ZN9rocsparseL42gtsv_transpose_and_pad_array_shared_kernelILj256ELj2EfEEviiiPKT1_PS1_S1_,@function
_ZN9rocsparseL42gtsv_transpose_and_pad_array_shared_kernelILj256ELj2EfEEviiiPKT1_PS1_S1_: ; @_ZN9rocsparseL42gtsv_transpose_and_pad_array_shared_kernelILj256ELj2EfEEviiiPKT1_PS1_S1_
; %bb.0:
	s_load_dwordx4 s[0:3], s[4:5], 0x0
	s_waitcnt lgkmcnt(0)
	s_load_dword s3, s[4:5], 0x20
	v_lshl_or_b32 v2, s6, 8, v0
	v_cmp_gt_i32_e32 vcc, s0, v2
	s_waitcnt lgkmcnt(0)
	v_mov_b32_e32 v1, s3
	s_and_saveexec_b64 s[8:9], vcc
	s_cbranch_execz .LBB0_2
; %bb.1:
	s_load_dwordx2 s[10:11], s[4:5], 0x10
	s_mul_i32 s0, s2, s7
	v_add_u32_e32 v1, s0, v2
	v_ashrrev_i32_e32 v2, 31, v1
	v_lshlrev_b64 v[1:2], 2, v[1:2]
	s_waitcnt lgkmcnt(0)
	v_mov_b32_e32 v3, s11
	v_add_co_u32_e32 v1, vcc, s10, v1
	v_addc_co_u32_e32 v2, vcc, v3, v2, vcc
	global_load_dword v1, v[1:2], off
.LBB0_2:
	s_or_b64 exec, exec, s[8:9]
	v_lshrrev_b32_e32 v2, 7, v0
	v_and_b32_e32 v3, 0x7f, v0
	v_lshlrev_b32_e32 v0, 2, v0
	s_waitcnt vmcnt(0)
	ds_write_b32 v0, v1
	s_lshr_b32 s0, s1, 1
	v_lshl_or_b32 v0, s6, 7, v3
	v_mad_u64_u32 v[0:1], s[2:3], s0, v2, v[0:1]
	s_waitcnt lgkmcnt(0)
	s_barrier
	v_cmp_gt_i32_e32 vcc, s1, v0
	s_and_saveexec_b64 s[2:3], vcc
	s_cbranch_execz .LBB0_4
; %bb.3:
	s_load_dwordx2 s[2:3], s[4:5], 0x18
	v_lshlrev_b32_e32 v1, 2, v2
	s_mul_i32 s0, s1, s7
	v_lshl_or_b32 v1, v3, 3, v1
	v_add_u32_e32 v0, s0, v0
	ds_read_b32 v2, v1
	v_ashrrev_i32_e32 v1, 31, v0
	v_lshlrev_b64 v[0:1], 2, v[0:1]
	s_waitcnt lgkmcnt(0)
	v_mov_b32_e32 v3, s3
	v_add_co_u32_e32 v0, vcc, s2, v0
	v_addc_co_u32_e32 v1, vcc, v3, v1, vcc
	global_store_dword v[0:1], v2, off
.LBB0_4:
	s_endpgm
	.section	.rodata,"a",@progbits
	.p2align	6, 0x0
	.amdhsa_kernel _ZN9rocsparseL42gtsv_transpose_and_pad_array_shared_kernelILj256ELj2EfEEviiiPKT1_PS1_S1_
		.amdhsa_group_segment_fixed_size 1024
		.amdhsa_private_segment_fixed_size 0
		.amdhsa_kernarg_size 36
		.amdhsa_user_sgpr_count 6
		.amdhsa_user_sgpr_private_segment_buffer 1
		.amdhsa_user_sgpr_dispatch_ptr 0
		.amdhsa_user_sgpr_queue_ptr 0
		.amdhsa_user_sgpr_kernarg_segment_ptr 1
		.amdhsa_user_sgpr_dispatch_id 0
		.amdhsa_user_sgpr_flat_scratch_init 0
		.amdhsa_user_sgpr_private_segment_size 0
		.amdhsa_uses_dynamic_stack 0
		.amdhsa_system_sgpr_private_segment_wavefront_offset 0
		.amdhsa_system_sgpr_workgroup_id_x 1
		.amdhsa_system_sgpr_workgroup_id_y 1
		.amdhsa_system_sgpr_workgroup_id_z 0
		.amdhsa_system_sgpr_workgroup_info 0
		.amdhsa_system_vgpr_workitem_id 0
		.amdhsa_next_free_vgpr 4
		.amdhsa_next_free_sgpr 12
		.amdhsa_reserve_vcc 1
		.amdhsa_reserve_flat_scratch 0
		.amdhsa_float_round_mode_32 0
		.amdhsa_float_round_mode_16_64 0
		.amdhsa_float_denorm_mode_32 3
		.amdhsa_float_denorm_mode_16_64 3
		.amdhsa_dx10_clamp 1
		.amdhsa_ieee_mode 1
		.amdhsa_fp16_overflow 0
		.amdhsa_exception_fp_ieee_invalid_op 0
		.amdhsa_exception_fp_denorm_src 0
		.amdhsa_exception_fp_ieee_div_zero 0
		.amdhsa_exception_fp_ieee_overflow 0
		.amdhsa_exception_fp_ieee_underflow 0
		.amdhsa_exception_fp_ieee_inexact 0
		.amdhsa_exception_int_div_zero 0
	.end_amdhsa_kernel
	.section	.text._ZN9rocsparseL42gtsv_transpose_and_pad_array_shared_kernelILj256ELj2EfEEviiiPKT1_PS1_S1_,"axG",@progbits,_ZN9rocsparseL42gtsv_transpose_and_pad_array_shared_kernelILj256ELj2EfEEviiiPKT1_PS1_S1_,comdat
.Lfunc_end0:
	.size	_ZN9rocsparseL42gtsv_transpose_and_pad_array_shared_kernelILj256ELj2EfEEviiiPKT1_PS1_S1_, .Lfunc_end0-_ZN9rocsparseL42gtsv_transpose_and_pad_array_shared_kernelILj256ELj2EfEEviiiPKT1_PS1_S1_
                                        ; -- End function
	.set _ZN9rocsparseL42gtsv_transpose_and_pad_array_shared_kernelILj256ELj2EfEEviiiPKT1_PS1_S1_.num_vgpr, 4
	.set _ZN9rocsparseL42gtsv_transpose_and_pad_array_shared_kernelILj256ELj2EfEEviiiPKT1_PS1_S1_.num_agpr, 0
	.set _ZN9rocsparseL42gtsv_transpose_and_pad_array_shared_kernelILj256ELj2EfEEviiiPKT1_PS1_S1_.numbered_sgpr, 12
	.set _ZN9rocsparseL42gtsv_transpose_and_pad_array_shared_kernelILj256ELj2EfEEviiiPKT1_PS1_S1_.num_named_barrier, 0
	.set _ZN9rocsparseL42gtsv_transpose_and_pad_array_shared_kernelILj256ELj2EfEEviiiPKT1_PS1_S1_.private_seg_size, 0
	.set _ZN9rocsparseL42gtsv_transpose_and_pad_array_shared_kernelILj256ELj2EfEEviiiPKT1_PS1_S1_.uses_vcc, 1
	.set _ZN9rocsparseL42gtsv_transpose_and_pad_array_shared_kernelILj256ELj2EfEEviiiPKT1_PS1_S1_.uses_flat_scratch, 0
	.set _ZN9rocsparseL42gtsv_transpose_and_pad_array_shared_kernelILj256ELj2EfEEviiiPKT1_PS1_S1_.has_dyn_sized_stack, 0
	.set _ZN9rocsparseL42gtsv_transpose_and_pad_array_shared_kernelILj256ELj2EfEEviiiPKT1_PS1_S1_.has_recursion, 0
	.set _ZN9rocsparseL42gtsv_transpose_and_pad_array_shared_kernelILj256ELj2EfEEviiiPKT1_PS1_S1_.has_indirect_call, 0
	.section	.AMDGPU.csdata,"",@progbits
; Kernel info:
; codeLenInByte = 248
; TotalNumSgprs: 16
; NumVgprs: 4
; ScratchSize: 0
; MemoryBound: 0
; FloatMode: 240
; IeeeMode: 1
; LDSByteSize: 1024 bytes/workgroup (compile time only)
; SGPRBlocks: 1
; VGPRBlocks: 0
; NumSGPRsForWavesPerEU: 16
; NumVGPRsForWavesPerEU: 4
; Occupancy: 10
; WaveLimiterHint : 0
; COMPUTE_PGM_RSRC2:SCRATCH_EN: 0
; COMPUTE_PGM_RSRC2:USER_SGPR: 6
; COMPUTE_PGM_RSRC2:TRAP_HANDLER: 0
; COMPUTE_PGM_RSRC2:TGID_X_EN: 1
; COMPUTE_PGM_RSRC2:TGID_Y_EN: 1
; COMPUTE_PGM_RSRC2:TGID_Z_EN: 0
; COMPUTE_PGM_RSRC2:TIDIG_COMP_CNT: 0
	.section	.text._ZN9rocsparseL18gtsv_LBM_wv_kernelILj256ELj2EfEEviiiPKT1_S3_S3_PS1_S4_S4_Pi,"axG",@progbits,_ZN9rocsparseL18gtsv_LBM_wv_kernelILj256ELj2EfEEviiiPKT1_S3_S3_PS1_S4_S4_Pi,comdat
	.globl	_ZN9rocsparseL18gtsv_LBM_wv_kernelILj256ELj2EfEEviiiPKT1_S3_S3_PS1_S4_S4_Pi ; -- Begin function _ZN9rocsparseL18gtsv_LBM_wv_kernelILj256ELj2EfEEviiiPKT1_S3_S3_PS1_S4_S4_Pi
	.p2align	8
	.type	_ZN9rocsparseL18gtsv_LBM_wv_kernelILj256ELj2EfEEviiiPKT1_S3_S3_PS1_S4_S4_Pi,@function
_ZN9rocsparseL18gtsv_LBM_wv_kernelILj256ELj2EfEEviiiPKT1_S3_S3_PS1_S4_S4_Pi: ; @_ZN9rocsparseL18gtsv_LBM_wv_kernelILj256ELj2EfEEviiiPKT1_S3_S3_PS1_S4_S4_Pi
; %bb.0:
	s_load_dword s25, s[4:5], 0x0
	v_lshl_or_b32 v0, s6, 8, v0
	s_waitcnt lgkmcnt(0)
	s_lshr_b32 s24, s25, 1
	v_cmp_gt_i32_e32 vcc, s24, v0
	s_and_saveexec_b64 s[0:1], vcc
	s_cbranch_execz .LBB1_26
; %bb.1:
	s_load_dwordx2 s[16:17], s[4:5], 0x10
	s_load_dwordx8 s[8:15], s[4:5], 0x20
	v_ashrrev_i32_e32 v1, 31, v0
	v_lshlrev_b64 v[6:7], 2, v[0:1]
	s_load_dwordx2 s[6:7], s[4:5], 0x40
	s_waitcnt lgkmcnt(0)
	v_mov_b32_e32 v2, s17
	v_add_co_u32_e32 v1, vcc, s16, v6
	v_addc_co_u32_e32 v2, vcc, v2, v7, vcc
	global_load_dword v5, v[1:2], off
	v_add_u32_e32 v1, s24, v0
	v_mov_b32_e32 v2, 0
	v_lshlrev_b64 v[8:9], 2, v[1:2]
	v_mov_b32_e32 v4, s9
	v_add_co_u32_e32 v3, vcc, s8, v8
	v_addc_co_u32_e32 v4, vcc, v4, v9, vcc
	global_load_dword v10, v[3:4], off
	v_mov_b32_e32 v4, s11
	v_add_co_u32_e32 v3, vcc, s10, v6
	v_addc_co_u32_e32 v4, vcc, v4, v7, vcc
	v_mov_b32_e32 v11, s13
	v_add_co_u32_e32 v8, vcc, s12, v8
	s_cmp_lt_i32 s25, 1
	v_addc_co_u32_e32 v9, vcc, v11, v9, vcc
	s_waitcnt vmcnt(1)
	global_store_dword v[3:4], v5, off
	s_waitcnt vmcnt(1)
	global_store_dword v[8:9], v10, off
	v_mov_b32_e32 v5, v2
	s_cbranch_scc1 .LBB1_19
; %bb.2:
	s_load_dwordx2 s[4:5], s[4:5], 0x18
	s_mov_b32 s20, 0x372fe950
	s_and_b32 s26, s25, 0x7ffffffe
	s_mov_b64 s[18:19], 0
	s_mov_b32 s21, 0x3fe3c6ef
	s_waitcnt lgkmcnt(0)
	v_mov_b32_e32 v2, s5
	v_add_co_u32_e32 v5, vcc, s4, v6
	v_addc_co_u32_e32 v6, vcc, v2, v7, vcc
	global_load_dword v14, v[5:6], off
	v_mov_b32_e32 v5, 0
	v_mov_b32_e32 v2, s9
	;; [unrolled: 1-line block ×4, first 2 shown]
	s_branch .LBB1_5
.LBB1_3:                                ;   in Loop: Header=BB1_5 Depth=1
	s_or_b64 exec, exec, s[22:23]
	v_fma_f32 v6, -v7, v9, v16
	v_mov_b32_e32 v10, s24
.LBB1_4:                                ;   in Loop: Header=BB1_5 Depth=1
	s_or_b64 exec, exec, s[2:3]
	v_add_u32_e32 v5, v10, v5
	v_cmp_le_i32_e32 vcc, s25, v5
	s_or_b64 s[18:19], vcc, s[18:19]
	v_mov_b32_e32 v14, v6
	s_andn2_b64 exec, exec, s[18:19]
	s_cbranch_execz .LBB1_18
.LBB1_5:                                ; =>This Inner Loop Header: Depth=1
	v_add_u32_e32 v6, v5, v0
	v_ashrrev_i32_e32 v7, 31, v6
	v_lshlrev_b64 v[7:8], 2, v[6:7]
	v_cmp_gt_u32_e64 s[0:1], s24, v5
	v_add_co_u32_e32 v9, vcc, s8, v7
	v_addc_co_u32_e32 v10, vcc, v2, v8, vcc
	global_load_dword v17, v[9:10], off
	v_mov_b32_e32 v15, 0
	s_and_saveexec_b64 s[2:3], s[0:1]
	s_cbranch_execz .LBB1_7
; %bb.6:                                ;   in Loop: Header=BB1_5 Depth=1
	v_add_u32_e32 v9, v1, v5
	v_ashrrev_i32_e32 v10, 31, v9
	v_lshlrev_b64 v[9:10], 2, v[9:10]
	v_mov_b32_e32 v6, s17
	v_add_co_u32_e32 v9, vcc, s16, v9
	v_addc_co_u32_e32 v10, vcc, v6, v10, vcc
	global_load_dword v15, v[9:10], off
.LBB1_7:                                ;   in Loop: Header=BB1_5 Depth=1
	s_or_b64 exec, exec, s[2:3]
	v_mov_b32_e32 v18, 0
	v_mov_b32_e32 v16, 0
	s_and_saveexec_b64 s[2:3], s[0:1]
	s_cbranch_execz .LBB1_9
; %bb.8:                                ;   in Loop: Header=BB1_5 Depth=1
	v_add_u32_e32 v9, v1, v5
	v_ashrrev_i32_e32 v10, 31, v9
	v_lshlrev_b64 v[9:10], 2, v[9:10]
	v_mov_b32_e32 v6, s5
	v_add_co_u32_e32 v9, vcc, s4, v9
	v_addc_co_u32_e32 v10, vcc, v6, v10, vcc
	global_load_dword v16, v[9:10], off
.LBB1_9:                                ;   in Loop: Header=BB1_5 Depth=1
	s_or_b64 exec, exec, s[2:3]
	s_and_saveexec_b64 s[2:3], s[0:1]
	s_cbranch_execz .LBB1_11
; %bb.10:                               ;   in Loop: Header=BB1_5 Depth=1
	v_add_u32_e32 v9, v1, v5
	v_ashrrev_i32_e32 v10, 31, v9
	v_lshlrev_b64 v[9:10], 2, v[9:10]
	v_mov_b32_e32 v6, s9
	v_add_co_u32_e32 v9, vcc, s8, v9
	v_addc_co_u32_e32 v10, vcc, v6, v10, vcc
	global_load_dword v18, v[9:10], off
.LBB1_11:                               ;   in Loop: Header=BB1_5 Depth=1
	s_or_b64 exec, exec, s[2:3]
	s_waitcnt vmcnt(0)
	v_cmp_gt_f32_e32 vcc, 0, v15
	v_cndmask_b32_e64 v6, v15, -v15, vcc
	v_cvt_f64_f32_e32 v[9:10], v6
	v_cmp_ne_u32_e64 s[2:3], s24, v5
	v_cmp_ngt_f64_e32 vcc, 0, v[9:10]
	v_cndmask_b32_e32 v10, 0, v10, vcc
	v_cndmask_b32_e32 v9, 0, v9, vcc
	v_cmp_gt_f32_e32 vcc, 0, v16
	v_cndmask_b32_e64 v6, v16, -v16, vcc
	v_cvt_f64_f32_e32 v[19:20], v6
	v_cmp_gt_f64_e32 vcc, v[9:10], v[19:20]
	v_cndmask_b32_e32 v10, v20, v10, vcc
	v_cndmask_b32_e32 v9, v19, v9, vcc
	v_cmp_gt_f32_e32 vcc, 0, v17
	v_cndmask_b32_e64 v6, v17, -v17, vcc
	v_cvt_f64_f32_e32 v[19:20], v6
	v_cmp_gt_f64_e32 vcc, v[9:10], v[19:20]
	;; [unrolled: 6-line block ×3, first 2 shown]
	v_cndmask_b32_e32 v10, v20, v10, vcc
	v_cndmask_b32_e32 v9, v19, v9, vcc
	v_cmp_gt_f32_e32 vcc, 0, v14
	v_cndmask_b32_e64 v6, v14, -v14, vcc
	v_cvt_f64_f32_e32 v[19:20], v6
	v_mul_f64 v[10:11], v[9:10], v[19:20]
	v_mul_f32_e32 v9, v17, v15
	v_cmp_gt_f32_e32 vcc, 0, v9
	v_cndmask_b32_e64 v6, v9, -v9, vcc
	v_cvt_f64_f32_e32 v[19:20], v6
	v_mul_f64 v[19:20], v[19:20], s[20:21]
	v_cmp_nge_f64_e32 vcc, v[10:11], v[19:20]
	s_and_b64 s[2:3], s[2:3], vcc
	s_and_saveexec_b64 s[22:23], s[2:3]
	s_xor_b64 s[22:23], exec, s[22:23]
	s_cbranch_execz .LBB1_15
; %bb.12:                               ;   in Loop: Header=BB1_5 Depth=1
	v_fma_f32 v11, v14, v16, -v9
	v_div_scale_f32 v10, s[2:3], v11, v11, 1.0
	v_div_scale_f32 v19, vcc, 1.0, v11, 1.0
	v_mov_b32_e32 v20, s13
	v_add_co_u32_e64 v23, s[2:3], s12, v7
	v_addc_co_u32_e64 v24, s[2:3], v20, v8, s[2:3]
	v_mov_b32_e32 v21, s15
	v_ashrrev_i32_e32 v6, 31, v5
	v_mov_b32_e32 v22, s7
	v_add_u32_e32 v9, v1, v5
	v_lshlrev_b64 v[27:28], 2, v[5:6]
	v_mul_f32_e64 v29, v18, -v17
	v_mov_b32_e32 v30, s11
	v_rcp_f32_e32 v25, v10
	v_fma_f32 v20, -v10, v25, 1.0
	v_fmac_f32_e32 v25, v20, v25
	v_mul_f32_e32 v20, v19, v25
	v_fma_f32 v26, -v10, v20, v19
	v_fmac_f32_e32 v20, v26, v25
	v_fma_f32 v10, -v10, v20, v19
	v_div_fmas_f32 v19, v10, v25, v20
	v_add_co_u32_e32 v20, vcc, s14, v7
	v_addc_co_u32_e32 v21, vcc, v21, v8, vcc
	v_add_co_u32_e32 v25, vcc, s6, v7
	v_addc_co_u32_e32 v26, vcc, v22, v8, vcc
	v_ashrrev_i32_e32 v10, 31, v9
	v_lshlrev_b64 v[6:7], 2, v[9:10]
	v_add_co_u32_e32 v27, vcc, v3, v27
	v_addc_co_u32_e32 v28, vcc, v4, v28, vcc
	v_div_fixup_f32 v19, v19, v11, 1.0
	v_mul_f32_e32 v8, v19, v29
	global_store_dword v[20:21], v8, off
	v_add_co_u32_e32 v8, vcc, s10, v6
	v_addc_co_u32_e32 v9, vcc, v30, v7, vcc
	v_mov_b32_e32 v11, s13
	v_add_co_u32_e32 v10, vcc, s12, v6
	global_load_dword v20, v[8:9], off
	v_addc_co_u32_e32 v11, vcc, v11, v7, vcc
	global_load_dword v21, v[10:11], off
	global_load_dword v22, v[27:28], off
	s_waitcnt vmcnt(2)
	v_mul_f32_e32 v29, v17, v20
	s_waitcnt vmcnt(1)
	v_mul_f32_e32 v30, v17, v21
	global_load_dword v17, v[23:24], off
	s_waitcnt vmcnt(1)
	v_fma_f32 v29, v16, v22, -v29
	v_mul_f32_e32 v29, v19, v29
	s_waitcnt vmcnt(0)
	v_fma_f32 v16, v16, v17, -v30
	v_mul_f32_e32 v16, v19, v16
	global_store_dword v[27:28], v29, off
	global_store_dword v[23:24], v16, off
	;; [unrolled: 1-line block ×3, first 2 shown]
	s_and_saveexec_b64 s[2:3], s[0:1]
	s_cbranch_execz .LBB1_14
; %bb.13:                               ;   in Loop: Header=BB1_5 Depth=1
	v_mul_f32_e32 v16, v15, v22
	v_fma_f32 v16, v14, v20, -v16
	v_mul_f32_e32 v16, v19, v16
	global_store_dword v[8:9], v16, off
	v_mul_f32_e32 v8, v15, v17
	v_fma_f32 v8, v14, v21, -v8
	v_mul_f32_e32 v8, v19, v8
	global_store_dword v[10:11], v8, off
	v_mul_f32_e32 v8, v14, v18
	v_mul_f32_e32 v10, v19, v8
	v_mov_b32_e32 v9, s15
	v_add_co_u32_e32 v8, vcc, s14, v6
	v_addc_co_u32_e32 v9, vcc, v9, v7, vcc
	global_store_dword v[8:9], v10, off
	v_mov_b32_e32 v8, s7
	v_add_co_u32_e32 v6, vcc, s6, v6
	v_addc_co_u32_e32 v7, vcc, v8, v7, vcc
	global_store_dword v[6:7], v12, off
.LBB1_14:                               ;   in Loop: Header=BB1_5 Depth=1
	s_or_b64 exec, exec, s[2:3]
                                        ; implicit-def: $vgpr9
                                        ; implicit-def: $vgpr16
                                        ; implicit-def: $vgpr14
                                        ; implicit-def: $vgpr17
                                        ; implicit-def: $vgpr7_vgpr8
                                        ; implicit-def: $vgpr15
.LBB1_15:                               ;   in Loop: Header=BB1_5 Depth=1
	s_or_saveexec_b64 s[2:3], s[22:23]
	v_mov_b32_e32 v6, 0
	v_mov_b32_e32 v10, s26
	s_xor_b64 exec, exec, s[2:3]
	s_cbranch_execz .LBB1_4
; %bb.16:                               ;   in Loop: Header=BB1_5 Depth=1
	v_ashrrev_i32_e32 v6, 31, v5
	v_lshlrev_b64 v[10:11], 2, v[5:6]
	v_mov_b32_e32 v6, s13
	v_add_co_u32_e32 v18, vcc, s12, v7
	v_addc_co_u32_e32 v19, vcc, v6, v8, vcc
	v_add_co_u32_e32 v10, vcc, v3, v10
	global_load_dword v24, v[18:19], off
	v_addc_co_u32_e32 v11, vcc, v4, v11, vcc
	global_load_dword v6, v[10:11], off
	v_div_scale_f32 v20, s[22:23], v14, v14, 1.0
	v_div_scale_f32 v21, vcc, 1.0, v14, 1.0
	v_rcp_f32_e32 v22, v20
	v_fma_f32 v23, -v20, v22, 1.0
	v_fmac_f32_e32 v22, v23, v22
	v_mul_f32_e32 v23, v21, v22
	v_fma_f32 v25, -v20, v23, v21
	v_fmac_f32_e32 v23, v25, v22
	v_fma_f32 v20, -v20, v23, v21
	v_div_fmas_f32 v25, v20, v22, v23
	v_mov_b32_e32 v21, s15
	v_add_co_u32_e32 v20, vcc, s14, v7
	v_addc_co_u32_e32 v21, vcc, v21, v8, vcc
	v_mov_b32_e32 v23, s7
	v_add_co_u32_e32 v22, vcc, s6, v7
	v_addc_co_u32_e32 v23, vcc, v23, v8, vcc
	v_div_fixup_f32 v7, v25, v14, 1.0
	v_mul_f32_e32 v8, v7, v17
	global_store_dword v[20:21], v8, off
	s_waitcnt vmcnt(2)
	v_mul_f32_e32 v8, v7, v24
	global_store_dword v[18:19], v8, off
	s_waitcnt vmcnt(2)
	v_mul_f32_e32 v8, v7, v6
	global_store_dword v[10:11], v8, off
	global_store_dword v[22:23], v13, off
	s_and_saveexec_b64 s[22:23], s[0:1]
	s_cbranch_execz .LBB1_3
; %bb.17:                               ;   in Loop: Header=BB1_5 Depth=1
	v_add_u32_e32 v10, v1, v5
	v_ashrrev_i32_e32 v11, 31, v10
	v_lshlrev_b64 v[10:11], 2, v[10:11]
	v_mov_b32_e32 v8, s11
	v_add_co_u32_e32 v10, vcc, s10, v10
	v_addc_co_u32_e32 v11, vcc, v8, v11, vcc
	global_load_dword v8, v[10:11], off
	v_mul_f32_e32 v14, v15, v7
	s_waitcnt vmcnt(0)
	v_fma_f32 v6, -v14, v6, v8
	global_store_dword v[10:11], v6, off
	s_branch .LBB1_3
.LBB1_18:
	s_or_b64 exec, exec, s[18:19]
.LBB1_19:
	v_subrev_u32_e32 v2, s24, v5
	v_add_u32_e32 v5, v2, v0
	v_ashrrev_i32_e32 v6, 31, v5
	v_lshlrev_b64 v[5:6], 2, v[5:6]
	v_mov_b32_e32 v7, s7
	v_add_co_u32_e32 v5, vcc, s6, v5
	v_addc_co_u32_e32 v6, vcc, v7, v6, vcc
	s_waitcnt vmcnt(0)
	buffer_wbinvl1_vol
	global_load_dword v5, v[5:6], off
	s_waitcnt vmcnt(0)
	v_mul_lo_u32 v5, v5, s24
	v_sub_u32_e32 v5, v2, v5
	v_cmp_lt_i32_e32 vcc, -1, v5
	s_and_b64 exec, exec, vcc
	s_cbranch_execz .LBB1_26
; %bb.20:
	v_subrev_u32_e32 v2, s24, v0
	s_and_b32 s4, s25, -2
	s_mov_b64 s[0:1], 0
	v_mov_b32_e32 v9, s7
	v_mov_b32_e32 v10, s15
	s_branch .LBB1_22
.LBB1_21:                               ;   in Loop: Header=BB1_22 Depth=1
	s_or_b64 exec, exec, s[2:3]
	v_sub_u32_e32 v5, v5, v6
	v_cmp_gt_i32_e32 vcc, 0, v5
	s_or_b64 s[0:1], vcc, s[0:1]
	s_andn2_b64 exec, exec, s[0:1]
	s_cbranch_execz .LBB1_26
.LBB1_22:                               ; =>This Inner Loop Header: Depth=1
	v_add_u32_e32 v6, v5, v0
	v_ashrrev_i32_e32 v7, 31, v6
	v_lshlrev_b64 v[7:8], 2, v[6:7]
	s_waitcnt vmcnt(0)
	v_add_co_u32_e32 v11, vcc, s6, v7
	v_addc_co_u32_e32 v12, vcc, v9, v8, vcc
	global_load_dword v6, v[11:12], off
	v_add_co_u32_e32 v11, vcc, s14, v7
	v_addc_co_u32_e32 v12, vcc, v10, v8, vcc
	global_load_dword v11, v[11:12], off
	s_waitcnt vmcnt(1)
	v_cmp_ne_u32_e32 vcc, 1, v6
	s_and_saveexec_b64 s[2:3], vcc
	s_xor_b64 s[2:3], exec, s[2:3]
	s_cbranch_execz .LBB1_24
; %bb.23:                               ;   in Loop: Header=BB1_22 Depth=1
	v_add_u32_e32 v12, v2, v5
	v_ashrrev_i32_e32 v13, 31, v12
	v_lshlrev_b64 v[12:13], 2, v[12:13]
	v_add_u32_e32 v16, v1, v5
	v_ashrrev_i32_e32 v17, 31, v16
	v_add_co_u32_e32 v14, vcc, s14, v12
	v_lshlrev_b64 v[16:17], 2, v[16:17]
	v_addc_co_u32_e32 v15, vcc, v10, v13, vcc
	v_mov_b32_e32 v6, s11
	v_add_co_u32_e32 v18, vcc, s10, v16
	v_addc_co_u32_e32 v19, vcc, v6, v17, vcc
	v_ashrrev_i32_e32 v6, 31, v5
	v_lshlrev_b64 v[20:21], 2, v[5:6]
	v_mov_b32_e32 v6, s11
	v_add_co_u32_e32 v20, vcc, v3, v20
	v_addc_co_u32_e32 v21, vcc, v4, v21, vcc
	v_add_co_u32_e32 v22, vcc, s10, v12
	v_addc_co_u32_e32 v23, vcc, v6, v13, vcc
	v_mov_b32_e32 v6, s13
	v_add_co_u32_e32 v16, vcc, s12, v16
	v_addc_co_u32_e32 v17, vcc, v6, v17, vcc
	v_mov_b32_e32 v26, s13
	v_add_co_u32_e32 v6, vcc, s12, v7
	global_load_dword v24, v[18:19], off
	global_load_dword v25, v[20:21], off
	v_addc_co_u32_e32 v7, vcc, v26, v8, vcc
	v_mov_b32_e32 v8, s13
	v_add_co_u32_e32 v12, vcc, s12, v12
	v_addc_co_u32_e32 v13, vcc, v8, v13, vcc
	global_load_dword v8, v[16:17], off
	global_load_dword v26, v[6:7], off
	;; [unrolled: 1-line block ×3, first 2 shown]
	s_waitcnt vmcnt(3)
	v_fma_f32 v14, -v11, v24, v25
	s_waitcnt vmcnt(1)
	v_fma_f32 v8, -v11, v8, v26
	global_store_dword v[20:21], v14, off
	global_store_dword v[6:7], v8, off
	global_load_dword v6, v[18:19], off
	s_nop 0
	global_load_dword v7, v[22:23], off
	global_load_dword v8, v[16:17], off
	;; [unrolled: 1-line block ×3, first 2 shown]
	s_waitcnt vmcnt(2)
	v_fma_f32 v6, -v27, v6, v7
	s_waitcnt vmcnt(0)
	v_fma_f32 v7, -v27, v8, v11
	global_store_dword v[22:23], v6, off
	global_store_dword v[12:13], v7, off
                                        ; implicit-def: $vgpr11
                                        ; implicit-def: $vgpr7_vgpr8
.LBB1_24:                               ;   in Loop: Header=BB1_22 Depth=1
	s_or_saveexec_b64 s[2:3], s[2:3]
	v_mov_b32_e32 v6, s4
	s_xor_b64 exec, exec, s[2:3]
	s_cbranch_execz .LBB1_21
; %bb.25:                               ;   in Loop: Header=BB1_22 Depth=1
	v_add_u32_e32 v12, v1, v5
	v_ashrrev_i32_e32 v13, 31, v12
	v_lshlrev_b64 v[12:13], 2, v[12:13]
	v_mov_b32_e32 v6, s11
	v_add_co_u32_e32 v14, vcc, s10, v12
	v_addc_co_u32_e32 v15, vcc, v6, v13, vcc
	v_ashrrev_i32_e32 v6, 31, v5
	v_lshlrev_b64 v[16:17], 2, v[5:6]
	v_mov_b32_e32 v6, s13
	v_add_co_u32_e32 v16, vcc, v3, v16
	v_addc_co_u32_e32 v17, vcc, v4, v17, vcc
	v_add_co_u32_e32 v12, vcc, s12, v12
	v_addc_co_u32_e32 v13, vcc, v6, v13, vcc
	global_load_dword v18, v[14:15], off
	global_load_dword v19, v[16:17], off
	v_mov_b32_e32 v14, s13
	v_add_co_u32_e32 v6, vcc, s12, v7
	v_addc_co_u32_e32 v7, vcc, v14, v8, vcc
	global_load_dword v8, v[12:13], off
	global_load_dword v14, v[6:7], off
	s_waitcnt vmcnt(2)
	v_fma_f32 v12, -v11, v18, v19
	s_waitcnt vmcnt(0)
	v_fma_f32 v8, -v11, v8, v14
	global_store_dword v[16:17], v12, off
	global_store_dword v[6:7], v8, off
	v_mov_b32_e32 v6, s24
	s_branch .LBB1_21
.LBB1_26:
	s_endpgm
	.section	.rodata,"a",@progbits
	.p2align	6, 0x0
	.amdhsa_kernel _ZN9rocsparseL18gtsv_LBM_wv_kernelILj256ELj2EfEEviiiPKT1_S3_S3_PS1_S4_S4_Pi
		.amdhsa_group_segment_fixed_size 0
		.amdhsa_private_segment_fixed_size 0
		.amdhsa_kernarg_size 72
		.amdhsa_user_sgpr_count 6
		.amdhsa_user_sgpr_private_segment_buffer 1
		.amdhsa_user_sgpr_dispatch_ptr 0
		.amdhsa_user_sgpr_queue_ptr 0
		.amdhsa_user_sgpr_kernarg_segment_ptr 1
		.amdhsa_user_sgpr_dispatch_id 0
		.amdhsa_user_sgpr_flat_scratch_init 0
		.amdhsa_user_sgpr_private_segment_size 0
		.amdhsa_uses_dynamic_stack 0
		.amdhsa_system_sgpr_private_segment_wavefront_offset 0
		.amdhsa_system_sgpr_workgroup_id_x 1
		.amdhsa_system_sgpr_workgroup_id_y 0
		.amdhsa_system_sgpr_workgroup_id_z 0
		.amdhsa_system_sgpr_workgroup_info 0
		.amdhsa_system_vgpr_workitem_id 0
		.amdhsa_next_free_vgpr 31
		.amdhsa_next_free_sgpr 27
		.amdhsa_reserve_vcc 1
		.amdhsa_reserve_flat_scratch 0
		.amdhsa_float_round_mode_32 0
		.amdhsa_float_round_mode_16_64 0
		.amdhsa_float_denorm_mode_32 3
		.amdhsa_float_denorm_mode_16_64 3
		.amdhsa_dx10_clamp 1
		.amdhsa_ieee_mode 1
		.amdhsa_fp16_overflow 0
		.amdhsa_exception_fp_ieee_invalid_op 0
		.amdhsa_exception_fp_denorm_src 0
		.amdhsa_exception_fp_ieee_div_zero 0
		.amdhsa_exception_fp_ieee_overflow 0
		.amdhsa_exception_fp_ieee_underflow 0
		.amdhsa_exception_fp_ieee_inexact 0
		.amdhsa_exception_int_div_zero 0
	.end_amdhsa_kernel
	.section	.text._ZN9rocsparseL18gtsv_LBM_wv_kernelILj256ELj2EfEEviiiPKT1_S3_S3_PS1_S4_S4_Pi,"axG",@progbits,_ZN9rocsparseL18gtsv_LBM_wv_kernelILj256ELj2EfEEviiiPKT1_S3_S3_PS1_S4_S4_Pi,comdat
.Lfunc_end1:
	.size	_ZN9rocsparseL18gtsv_LBM_wv_kernelILj256ELj2EfEEviiiPKT1_S3_S3_PS1_S4_S4_Pi, .Lfunc_end1-_ZN9rocsparseL18gtsv_LBM_wv_kernelILj256ELj2EfEEviiiPKT1_S3_S3_PS1_S4_S4_Pi
                                        ; -- End function
	.set _ZN9rocsparseL18gtsv_LBM_wv_kernelILj256ELj2EfEEviiiPKT1_S3_S3_PS1_S4_S4_Pi.num_vgpr, 31
	.set _ZN9rocsparseL18gtsv_LBM_wv_kernelILj256ELj2EfEEviiiPKT1_S3_S3_PS1_S4_S4_Pi.num_agpr, 0
	.set _ZN9rocsparseL18gtsv_LBM_wv_kernelILj256ELj2EfEEviiiPKT1_S3_S3_PS1_S4_S4_Pi.numbered_sgpr, 27
	.set _ZN9rocsparseL18gtsv_LBM_wv_kernelILj256ELj2EfEEviiiPKT1_S3_S3_PS1_S4_S4_Pi.num_named_barrier, 0
	.set _ZN9rocsparseL18gtsv_LBM_wv_kernelILj256ELj2EfEEviiiPKT1_S3_S3_PS1_S4_S4_Pi.private_seg_size, 0
	.set _ZN9rocsparseL18gtsv_LBM_wv_kernelILj256ELj2EfEEviiiPKT1_S3_S3_PS1_S4_S4_Pi.uses_vcc, 1
	.set _ZN9rocsparseL18gtsv_LBM_wv_kernelILj256ELj2EfEEviiiPKT1_S3_S3_PS1_S4_S4_Pi.uses_flat_scratch, 0
	.set _ZN9rocsparseL18gtsv_LBM_wv_kernelILj256ELj2EfEEviiiPKT1_S3_S3_PS1_S4_S4_Pi.has_dyn_sized_stack, 0
	.set _ZN9rocsparseL18gtsv_LBM_wv_kernelILj256ELj2EfEEviiiPKT1_S3_S3_PS1_S4_S4_Pi.has_recursion, 0
	.set _ZN9rocsparseL18gtsv_LBM_wv_kernelILj256ELj2EfEEviiiPKT1_S3_S3_PS1_S4_S4_Pi.has_indirect_call, 0
	.section	.AMDGPU.csdata,"",@progbits
; Kernel info:
; codeLenInByte = 2064
; TotalNumSgprs: 31
; NumVgprs: 31
; ScratchSize: 0
; MemoryBound: 0
; FloatMode: 240
; IeeeMode: 1
; LDSByteSize: 0 bytes/workgroup (compile time only)
; SGPRBlocks: 3
; VGPRBlocks: 7
; NumSGPRsForWavesPerEU: 31
; NumVGPRsForWavesPerEU: 31
; Occupancy: 8
; WaveLimiterHint : 0
; COMPUTE_PGM_RSRC2:SCRATCH_EN: 0
; COMPUTE_PGM_RSRC2:USER_SGPR: 6
; COMPUTE_PGM_RSRC2:TRAP_HANDLER: 0
; COMPUTE_PGM_RSRC2:TGID_X_EN: 1
; COMPUTE_PGM_RSRC2:TGID_Y_EN: 0
; COMPUTE_PGM_RSRC2:TGID_Z_EN: 0
; COMPUTE_PGM_RSRC2:TIDIG_COMP_CNT: 0
	.section	.text._ZN9rocsparseL19gtsv_LBM_rhs_kernelILj256ELj2ELj8EfEEviiiPKT2_S3_S3_PS1_S3_PKi,"axG",@progbits,_ZN9rocsparseL19gtsv_LBM_rhs_kernelILj256ELj2ELj8EfEEviiiPKT2_S3_S3_PS1_S3_PKi,comdat
	.globl	_ZN9rocsparseL19gtsv_LBM_rhs_kernelILj256ELj2ELj8EfEEviiiPKT2_S3_S3_PS1_S3_PKi ; -- Begin function _ZN9rocsparseL19gtsv_LBM_rhs_kernelILj256ELj2ELj8EfEEviiiPKT2_S3_S3_PS1_S3_PKi
	.p2align	8
	.type	_ZN9rocsparseL19gtsv_LBM_rhs_kernelILj256ELj2ELj8EfEEviiiPKT2_S3_S3_PS1_S3_PKi,@function
_ZN9rocsparseL19gtsv_LBM_rhs_kernelILj256ELj2ELj8EfEEviiiPKT2_S3_S3_PS1_S3_PKi: ; @_ZN9rocsparseL19gtsv_LBM_rhs_kernelILj256ELj2ELj8EfEEviiiPKT2_S3_S3_PS1_S3_PKi
; %bb.0:
	s_load_dword s21, s[4:5], 0x0
	v_lshl_or_b32 v0, s6, 8, v0
	s_waitcnt lgkmcnt(0)
	s_lshr_b32 s20, s21, 1
	v_cmp_gt_i32_e32 vcc, s20, v0
	s_and_saveexec_b64 s[0:1], vcc
	s_cbranch_execz .LBB2_23
; %bb.1:
	s_load_dwordx4 s[8:11], s[4:5], 0x28
	s_load_dwordx2 s[16:17], s[4:5], 0x38
	s_cmp_lt_i32 s21, 1
	v_add_u32_e32 v19, s20, v0
	s_mul_i32 s22, s7, s21
	s_cbranch_scc1 .LBB2_15
; %bb.2:
	s_load_dwordx4 s[12:15], s[4:5], 0x10
	s_load_dwordx2 s[6:7], s[4:5], 0x20
	v_ashrrev_i32_e32 v1, 31, v0
	v_lshlrev_b64 v[1:2], 2, v[0:1]
	s_lshl_b32 s23, s22, 3
	s_waitcnt lgkmcnt(0)
	v_mov_b32_e32 v3, s15
	v_add_co_u32_e32 v1, vcc, s14, v1
	v_addc_co_u32_e32 v2, vcc, v3, v2, vcc
	global_load_dword v24, v[1:2], off
	s_add_i32 s24, s23, s21
	s_add_i32 s25, s24, s21
	;; [unrolled: 1-line block ×7, first 2 shown]
	s_and_b32 s31, s21, 0x7ffffffe
	v_mov_b32_e32 v2, 0
	s_mov_b64 s[4:5], 0
	v_mov_b32_e32 v21, s7
	v_mov_b32_e32 v20, 0
	s_branch .LBB2_5
.LBB2_3:                                ;   in Loop: Header=BB2_5 Depth=1
	s_or_b64 exec, exec, s[18:19]
	v_fma_f32 v1, -v24, v26, v23
	v_mov_b32_e32 v25, s20
.LBB2_4:                                ;   in Loop: Header=BB2_5 Depth=1
	s_or_b64 exec, exec, s[2:3]
	v_add_u32_e32 v20, v25, v20
	v_cmp_le_i32_e32 vcc, s21, v20
	s_or_b64 s[4:5], vcc, s[4:5]
	v_mov_b32_e32 v24, v1
	s_andn2_b64 exec, exec, s[4:5]
	s_cbranch_execz .LBB2_14
.LBB2_5:                                ; =>This Inner Loop Header: Depth=1
	v_add_u32_e32 v17, v20, v0
	v_ashrrev_i32_e32 v18, 31, v17
	v_lshlrev_b64 v[3:4], 2, v[17:18]
	v_cmp_gt_u32_e64 s[0:1], s20, v20
	v_add_co_u32_e32 v5, vcc, s6, v3
	v_addc_co_u32_e32 v6, vcc, v21, v4, vcc
	global_load_dword v25, v[5:6], off
	v_mov_b32_e32 v22, 0
	s_and_saveexec_b64 s[2:3], s[0:1]
	s_cbranch_execz .LBB2_7
; %bb.6:                                ;   in Loop: Header=BB2_5 Depth=1
	v_add_u32_e32 v5, v19, v20
	v_ashrrev_i32_e32 v6, 31, v5
	v_lshlrev_b64 v[5:6], 2, v[5:6]
	v_mov_b32_e32 v1, s13
	v_add_co_u32_e32 v5, vcc, s12, v5
	v_addc_co_u32_e32 v6, vcc, v1, v6, vcc
	global_load_dword v22, v[5:6], off
.LBB2_7:                                ;   in Loop: Header=BB2_5 Depth=1
	s_or_b64 exec, exec, s[2:3]
	v_mov_b32_e32 v23, 0
	s_and_saveexec_b64 s[2:3], s[0:1]
	s_cbranch_execz .LBB2_9
; %bb.8:                                ;   in Loop: Header=BB2_5 Depth=1
	v_add_u32_e32 v5, v19, v20
	v_ashrrev_i32_e32 v6, 31, v5
	v_lshlrev_b64 v[5:6], 2, v[5:6]
	v_mov_b32_e32 v1, s15
	v_add_co_u32_e32 v5, vcc, s14, v5
	v_addc_co_u32_e32 v6, vcc, v1, v6, vcc
	global_load_dword v23, v[5:6], off
.LBB2_9:                                ;   in Loop: Header=BB2_5 Depth=1
	s_or_b64 exec, exec, s[2:3]
	v_mov_b32_e32 v1, s17
	v_add_co_u32_e32 v3, vcc, s16, v3
	v_addc_co_u32_e32 v4, vcc, v1, v4, vcc
	v_add_u32_e32 v1, s23, v17
	global_load_dword v26, v[3:4], off
	v_lshlrev_b64 v[3:4], 2, v[1:2]
	v_add_u32_e32 v1, s24, v17
	s_waitcnt vmcnt(2)
	v_mov_b32_e32 v27, s9
	v_add_co_u32_e32 v3, vcc, s8, v3
	v_lshlrev_b64 v[5:6], 2, v[1:2]
	v_addc_co_u32_e32 v4, vcc, v27, v4, vcc
	v_add_u32_e32 v1, s25, v17
	v_add_co_u32_e32 v5, vcc, s8, v5
	v_lshlrev_b64 v[7:8], 2, v[1:2]
	v_addc_co_u32_e32 v6, vcc, v27, v6, vcc
	v_add_u32_e32 v1, s26, v17
	;; [unrolled: 4-line block ×6, first 2 shown]
	v_add_co_u32_e32 v15, vcc, s8, v15
	v_lshlrev_b64 v[17:18], 2, v[1:2]
	v_addc_co_u32_e32 v16, vcc, v27, v16, vcc
	v_add_co_u32_e32 v17, vcc, s8, v17
	v_addc_co_u32_e32 v18, vcc, v27, v18, vcc
	global_load_dword v34, v[3:4], off
	global_load_dword v33, v[5:6], off
	global_load_dword v32, v[7:8], off
	global_load_dword v31, v[9:10], off
	global_load_dword v30, v[11:12], off
	global_load_dword v29, v[13:14], off
	global_load_dword v28, v[15:16], off
	global_load_dword v27, v[17:18], off
	v_cmp_ne_u32_e64 s[2:3], s20, v20
	s_waitcnt vmcnt(8)
	v_cmp_ne_u32_e32 vcc, 1, v26
	s_and_b64 s[2:3], s[2:3], vcc
	v_mul_f32_e32 v26, v25, v22
	s_and_saveexec_b64 s[18:19], s[2:3]
	s_xor_b64 s[18:19], exec, s[18:19]
	s_cbranch_execz .LBB2_11
; %bb.10:                               ;   in Loop: Header=BB2_5 Depth=1
	v_add_u32_e32 v49, v19, v20
	v_add_u32_e32 v1, s23, v49
	v_lshlrev_b64 v[35:36], 2, v[1:2]
	v_add_u32_e32 v1, s24, v49
	v_mov_b32_e32 v51, s9
	v_add_co_u32_e32 v35, vcc, s8, v35
	v_lshlrev_b64 v[37:38], 2, v[1:2]
	v_addc_co_u32_e32 v36, vcc, v51, v36, vcc
	v_add_u32_e32 v1, s25, v49
	v_add_co_u32_e32 v37, vcc, s8, v37
	v_lshlrev_b64 v[39:40], 2, v[1:2]
	v_addc_co_u32_e32 v38, vcc, v51, v38, vcc
	v_add_u32_e32 v1, s26, v49
	v_add_co_u32_e32 v39, vcc, s8, v39
	v_lshlrev_b64 v[41:42], 2, v[1:2]
	v_addc_co_u32_e32 v40, vcc, v51, v40, vcc
	v_add_u32_e32 v1, s27, v49
	v_fma_f32 v26, v24, v23, -v26
	v_add_co_u32_e32 v41, vcc, s8, v41
	v_lshlrev_b64 v[43:44], 2, v[1:2]
	v_div_scale_f32 v52, s[2:3], v26, v26, 1.0
	v_addc_co_u32_e32 v42, vcc, v51, v42, vcc
	v_add_u32_e32 v1, s28, v49
	v_add_co_u32_e32 v43, vcc, s8, v43
	v_lshlrev_b64 v[45:46], 2, v[1:2]
	v_addc_co_u32_e32 v44, vcc, v51, v44, vcc
	v_add_co_u32_e32 v45, vcc, s8, v45
	v_addc_co_u32_e32 v46, vcc, v51, v46, vcc
	v_div_scale_f32 v56, vcc, 1.0, v26, 1.0
	v_add_u32_e32 v1, s29, v49
	global_load_dword v53, v[35:36], off
	global_load_dword v54, v[37:38], off
	;; [unrolled: 1-line block ×6, first 2 shown]
	v_lshlrev_b64 v[47:48], 2, v[1:2]
	v_add_u32_e32 v1, s30, v49
	v_lshlrev_b64 v[49:50], 2, v[1:2]
	v_rcp_f32_e32 v1, v52
	v_add_co_u32_e64 v47, s[2:3], s8, v47
	v_addc_co_u32_e64 v48, s[2:3], v51, v48, s[2:3]
	v_add_co_u32_e64 v49, s[2:3], s8, v49
	v_addc_co_u32_e64 v50, s[2:3], v51, v50, s[2:3]
	v_fma_f32 v51, -v52, v1, 1.0
	v_fmac_f32_e32 v1, v51, v1
	v_mul_f32_e32 v51, v56, v1
	v_fma_f32 v60, -v52, v51, v56
	v_fmac_f32_e32 v51, v60, v1
	global_load_dword v60, v[47:48], off
	v_fma_f32 v52, -v52, v51, v56
	global_load_dword v56, v[49:50], off
	v_div_fmas_f32 v1, v52, v1, v51
	v_div_fixup_f32 v1, v1, v26, 1.0
	s_waitcnt vmcnt(15)
	v_mul_f32_e32 v26, v1, v34
	s_waitcnt vmcnt(14)
	v_mul_f32_e32 v33, v1, v33
	;; [unrolled: 2-line block ×5, first 2 shown]
	v_mul_f32_e32 v51, v25, v34
	s_waitcnt vmcnt(6)
	v_mul_f32_e32 v52, v1, v54
	v_fma_f32 v51, v23, v26, -v51
	v_mul_f32_e32 v53, v25, v52
	s_waitcnt vmcnt(5)
	v_mul_f32_e32 v54, v1, v55
	global_store_dword v[3:4], v51, off
	v_fma_f32 v3, v23, v33, -v53
	v_mul_f32_e32 v4, v25, v54
	s_waitcnt vmcnt(5)
	v_mul_f32_e32 v51, v1, v57
	global_store_dword v[5:6], v3, off
	v_fma_f32 v3, v23, v32, -v4
	v_mul_f32_e32 v4, v25, v51
	global_store_dword v[7:8], v3, off
	v_fma_f32 v3, v23, v31, -v4
	s_waitcnt vmcnt(6)
	v_mul_f32_e32 v4, v1, v58
	global_store_dword v[9:10], v3, off
	v_mul_f32_e32 v3, v1, v30
	v_mul_f32_e32 v5, v25, v4
	v_fma_f32 v5, v23, v3, -v5
	s_waitcnt vmcnt(6)
	v_mul_f32_e32 v6, v1, v59
	global_store_dword v[11:12], v5, off
	v_mul_f32_e32 v5, v1, v29
	v_mul_f32_e32 v7, v25, v6
	;; [unrolled: 6-line block ×3, first 2 shown]
	v_fma_f32 v9, v23, v7, -v9
	global_store_dword v[15:16], v9, off
	v_mul_f32_e32 v9, v1, v27
	s_waitcnt vmcnt(7)
	v_mul_f32_e32 v1, v1, v56
	v_mul_f32_e32 v10, v25, v1
	v_fma_f32 v10, v23, v9, -v10
	global_store_dword v[17:18], v10, off
	v_mul_f32_e32 v10, v22, v26
	v_fma_f32 v10, v24, v34, -v10
	global_store_dword v[35:36], v10, off
	;; [unrolled: 3-line block ×3, first 2 shown]
	v_mul_f32_e32 v10, v22, v32
	v_mul_f32_e32 v3, v22, v3
	v_fma_f32 v10, v24, v54, -v10
	v_fma_f32 v3, v24, v4, -v3
	global_store_dword v[39:40], v10, off
	v_mul_f32_e32 v10, v22, v31
	global_store_dword v[43:44], v3, off
	v_mul_f32_e32 v3, v22, v5
	v_fma_f32 v10, v24, v51, -v10
	v_fma_f32 v3, v24, v6, -v3
	global_store_dword v[41:42], v10, off
	global_store_dword v[45:46], v3, off
	v_mul_f32_e32 v3, v22, v7
	v_fma_f32 v3, v24, v8, -v3
	global_store_dword v[47:48], v3, off
	v_mul_f32_e32 v3, v22, v9
	v_fma_f32 v1, v24, v1, -v3
	global_store_dword v[49:50], v1, off
                                        ; implicit-def: $vgpr24
                                        ; implicit-def: $vgpr22
                                        ; implicit-def: $vgpr23
                                        ; implicit-def: $vgpr26
                                        ; implicit-def: $vgpr3_vgpr4
                                        ; implicit-def: $vgpr34
                                        ; implicit-def: $vgpr5_vgpr6
                                        ; implicit-def: $vgpr33
                                        ; implicit-def: $vgpr7_vgpr8
                                        ; implicit-def: $vgpr32
                                        ; implicit-def: $vgpr9_vgpr10
                                        ; implicit-def: $vgpr31
                                        ; implicit-def: $vgpr11_vgpr12
                                        ; implicit-def: $vgpr30
                                        ; implicit-def: $vgpr13_vgpr14
                                        ; implicit-def: $vgpr29
                                        ; implicit-def: $vgpr15_vgpr16
                                        ; implicit-def: $vgpr28
                                        ; implicit-def: $vgpr17_vgpr18
                                        ; implicit-def: $vgpr27
.LBB2_11:                               ;   in Loop: Header=BB2_5 Depth=1
	s_or_saveexec_b64 s[2:3], s[18:19]
	v_mov_b32_e32 v1, 0
	v_mov_b32_e32 v25, s31
	s_xor_b64 exec, exec, s[2:3]
	s_cbranch_execz .LBB2_4
; %bb.12:                               ;   in Loop: Header=BB2_5 Depth=1
	v_div_scale_f32 v1, s[18:19], v24, v24, 1.0
	v_div_scale_f32 v25, vcc, 1.0, v24, 1.0
	v_rcp_f32_e32 v35, v1
	v_fma_f32 v36, -v1, v35, 1.0
	v_fmac_f32_e32 v35, v36, v35
	v_mul_f32_e32 v36, v25, v35
	v_fma_f32 v37, -v1, v36, v25
	v_fmac_f32_e32 v36, v37, v35
	v_fma_f32 v1, -v1, v36, v25
	v_div_fmas_f32 v1, v1, v35, v36
	v_div_fixup_f32 v24, v1, v24, 1.0
	s_waitcnt vmcnt(7)
	v_mul_f32_e32 v34, v24, v34
	s_waitcnt vmcnt(6)
	v_mul_f32_e32 v33, v24, v33
	;; [unrolled: 2-line block ×8, first 2 shown]
	global_store_dword v[3:4], v34, off
	global_store_dword v[5:6], v33, off
	;; [unrolled: 1-line block ×8, first 2 shown]
	s_and_saveexec_b64 s[18:19], s[0:1]
	s_cbranch_execz .LBB2_3
; %bb.13:                               ;   in Loop: Header=BB2_5 Depth=1
	v_add_u32_e32 v11, v19, v20
	v_add_u32_e32 v1, s23, v11
	v_lshlrev_b64 v[3:4], 2, v[1:2]
	v_mov_b32_e32 v12, s9
	v_add_co_u32_e32 v3, vcc, s8, v3
	v_addc_co_u32_e32 v4, vcc, v12, v4, vcc
	global_load_dword v9, v[3:4], off
	v_add_u32_e32 v1, s24, v11
	v_lshlrev_b64 v[5:6], 2, v[1:2]
	v_add_u32_e32 v1, s25, v11
	v_lshlrev_b64 v[7:8], 2, v[1:2]
	v_add_co_u32_e32 v5, vcc, s8, v5
	v_addc_co_u32_e32 v6, vcc, v12, v6, vcc
	global_load_dword v13, v[5:6], off
	v_add_co_u32_e32 v7, vcc, s8, v7
	v_addc_co_u32_e32 v8, vcc, v12, v8, vcc
	s_waitcnt vmcnt(1)
	v_fma_f32 v1, -v22, v34, v9
	global_store_dword v[3:4], v1, off
	global_load_dword v14, v[7:8], off
	v_add_u32_e32 v1, s26, v11
	v_lshlrev_b64 v[3:4], 2, v[1:2]
	v_add_u32_e32 v1, s27, v11
	v_lshlrev_b64 v[9:10], 2, v[1:2]
	v_add_co_u32_e32 v3, vcc, s8, v3
	s_waitcnt vmcnt(2)
	v_fma_f32 v1, -v22, v33, v13
	v_addc_co_u32_e32 v4, vcc, v12, v4, vcc
	global_store_dword v[5:6], v1, off
	v_add_co_u32_e32 v9, vcc, s8, v9
	global_load_dword v13, v[3:4], off
	v_addc_co_u32_e32 v10, vcc, v12, v10, vcc
	s_waitcnt vmcnt(2)
	v_fma_f32 v1, -v22, v32, v14
	global_store_dword v[7:8], v1, off
	global_load_dword v7, v[9:10], off
	v_add_u32_e32 v1, s28, v11
	v_lshlrev_b64 v[5:6], 2, v[1:2]
	v_add_co_u32_e32 v5, vcc, s8, v5
	v_addc_co_u32_e32 v6, vcc, v12, v6, vcc
	s_waitcnt vmcnt(2)
	v_fma_f32 v1, -v22, v31, v13
	global_store_dword v[3:4], v1, off
	s_waitcnt vmcnt(1)
	v_fma_f32 v1, -v22, v30, v7
	global_store_dword v[9:10], v1, off
	global_load_dword v7, v[5:6], off
	v_add_u32_e32 v1, s29, v11
	v_lshlrev_b64 v[3:4], 2, v[1:2]
	v_add_co_u32_e32 v3, vcc, s8, v3
	v_addc_co_u32_e32 v4, vcc, v12, v4, vcc
	s_waitcnt vmcnt(0)
	v_fma_f32 v1, -v22, v29, v7
	global_store_dword v[5:6], v1, off
	global_load_dword v7, v[3:4], off
	v_add_u32_e32 v1, s30, v11
	v_lshlrev_b64 v[5:6], 2, v[1:2]
	s_waitcnt vmcnt(0)
	v_fma_f32 v1, -v22, v28, v7
	global_store_dword v[3:4], v1, off
	v_add_co_u32_e32 v3, vcc, s8, v5
	v_addc_co_u32_e32 v4, vcc, v12, v6, vcc
	global_load_dword v1, v[3:4], off
	s_waitcnt vmcnt(0)
	v_fma_f32 v1, -v22, v25, v1
	global_store_dword v[3:4], v1, off
	s_branch .LBB2_3
.LBB2_14:
	s_or_b64 exec, exec, s[4:5]
	s_branch .LBB2_16
.LBB2_15:
	v_mov_b32_e32 v20, 0
.LBB2_16:
	v_subrev_u32_e32 v3, s20, v20
	v_add_u32_e32 v1, v3, v0
	v_ashrrev_i32_e32 v2, 31, v1
	v_lshlrev_b64 v[1:2], 2, v[1:2]
	s_waitcnt lgkmcnt(0)
	v_mov_b32_e32 v4, s17
	v_add_co_u32_e32 v1, vcc, s16, v1
	v_addc_co_u32_e32 v2, vcc, v4, v2, vcc
	s_waitcnt vmcnt(0)
	buffer_wbinvl1_vol
	global_load_dword v1, v[1:2], off
	s_waitcnt vmcnt(0)
	v_mul_lo_u32 v1, v1, s20
	v_sub_u32_e32 v5, v3, v1
	v_cmp_lt_i32_e32 vcc, -1, v5
	s_and_b64 exec, exec, vcc
	s_cbranch_execz .LBB2_23
; %bb.17:
	s_lshl_b32 s4, s22, 3
	s_add_i32 s5, s4, s21
	s_add_i32 s6, s5, s21
	s_add_i32 s7, s6, s21
	s_add_i32 s12, s7, s21
	s_add_i32 s13, s12, s21
	s_add_i32 s14, s13, s21
	s_add_i32 s15, s14, s21
	s_and_b32 s18, s21, -2
	s_mov_b64 s[0:1], 0
	v_mov_b32_e32 v6, s17
	v_mov_b32_e32 v7, s11
	;; [unrolled: 1-line block ×3, first 2 shown]
	s_branch .LBB2_19
.LBB2_18:                               ;   in Loop: Header=BB2_19 Depth=1
	s_or_b64 exec, exec, s[2:3]
	v_sub_u32_e32 v5, v5, v1
	v_cmp_gt_i32_e32 vcc, 0, v5
	s_or_b64 s[0:1], vcc, s[0:1]
	s_andn2_b64 exec, exec, s[0:1]
	s_cbranch_execz .LBB2_23
.LBB2_19:                               ; =>This Inner Loop Header: Depth=1
	v_add_u32_e32 v3, v5, v0
	s_waitcnt vmcnt(0)
	v_ashrrev_i32_e32 v4, 31, v3
	v_lshlrev_b64 v[8:9], 2, v[3:4]
	v_add_co_u32_e32 v10, vcc, s16, v8
	v_addc_co_u32_e32 v11, vcc, v6, v9, vcc
	v_add_co_u32_e32 v8, vcc, s10, v8
	global_load_dword v1, v[10:11], off
	v_addc_co_u32_e32 v9, vcc, v7, v9, vcc
	global_load_dword v4, v[8:9], off
	s_waitcnt vmcnt(1)
	v_cmp_ne_u32_e32 vcc, 1, v1
	s_and_saveexec_b64 s[2:3], vcc
	s_xor_b64 s[2:3], exec, s[2:3]
	s_cbranch_execz .LBB2_21
; %bb.20:                               ;   in Loop: Header=BB2_19 Depth=1
	v_add_u32_e32 v18, v19, v5
	v_add_u32_e32 v1, s4, v18
	v_lshlrev_b64 v[8:9], 2, v[1:2]
	v_mov_b32_e32 v1, s9
	v_add_co_u32_e32 v8, vcc, s8, v8
	v_addc_co_u32_e32 v9, vcc, v1, v9, vcc
	v_add_u32_e32 v1, s5, v18
	global_load_dword v28, v[8:9], off
	v_lshlrev_b64 v[8:9], 2, v[1:2]
	v_add_u32_e32 v1, s6, v18
	v_lshlrev_b64 v[10:11], 2, v[1:2]
	v_add_u32_e32 v1, s7, v18
	;; [unrolled: 2-line block ×7, first 2 shown]
	v_lshlrev_b64 v[24:25], 2, v[1:2]
	v_mov_b32_e32 v1, s9
	v_add_co_u32_e32 v24, vcc, s8, v24
	v_addc_co_u32_e32 v25, vcc, v1, v25, vcc
	global_load_dword v18, v[24:25], off
	v_add_co_u32_e32 v8, vcc, s8, v8
	v_addc_co_u32_e32 v9, vcc, v1, v9, vcc
	v_mov_b32_e32 v26, s9
	v_add_co_u32_e32 v10, vcc, s8, v10
	v_addc_co_u32_e32 v11, vcc, v26, v11, vcc
	v_mov_b32_e32 v27, s9
	;; [unrolled: 3-line block ×5, first 2 shown]
	v_add_co_u32_e32 v20, vcc, s8, v20
	v_addc_co_u32_e32 v21, vcc, v31, v21, vcc
	v_add_u32_e32 v1, s5, v3
	v_mov_b32_e32 v32, s9
	v_add_co_u32_e32 v22, vcc, s8, v22
	v_lshlrev_b64 v[26:27], 2, v[1:2]
	v_addc_co_u32_e32 v23, vcc, v32, v23, vcc
	v_mov_b32_e32 v33, s9
	global_load_dword v29, v[8:9], off
	global_load_dword v30, v[10:11], off
	;; [unrolled: 1-line block ×7, first 2 shown]
	v_add_co_u32_e32 v8, vcc, s8, v26
	v_addc_co_u32_e32 v9, vcc, v33, v27, vcc
	v_mov_b32_e32 v13, s9
	s_waitcnt vmcnt(7)
	v_fma_f32 v1, -v4, v28, v18
	global_store_dword v[24:25], v1, off
	global_load_dword v12, v[8:9], off
	v_add_u32_e32 v1, s6, v3
	v_lshlrev_b64 v[10:11], 2, v[1:2]
	v_add_co_u32_e32 v10, vcc, s8, v10
	v_addc_co_u32_e32 v11, vcc, v13, v11, vcc
	s_waitcnt vmcnt(0)
	v_fma_f32 v1, -v4, v29, v12
	global_store_dword v[8:9], v1, off
	global_load_dword v12, v[10:11], off
	v_add_u32_e32 v1, s7, v3
	v_lshlrev_b64 v[8:9], 2, v[1:2]
	v_add_co_u32_e32 v8, vcc, s8, v8
	v_addc_co_u32_e32 v9, vcc, v13, v9, vcc
	;; [unrolled: 8-line block ×6, first 2 shown]
	s_waitcnt vmcnt(0)
	v_fma_f32 v1, -v4, v35, v12
	global_store_dword v[10:11], v1, off
	global_load_dword v3, v[8:9], off
	v_subrev_u32_e32 v1, s20, v5
	v_add_u32_e32 v10, v1, v0
	v_ashrrev_i32_e32 v11, 31, v10
	v_lshlrev_b64 v[11:12], 2, v[10:11]
	v_add_u32_e32 v1, s4, v10
	v_add_co_u32_e32 v11, vcc, s10, v11
	v_addc_co_u32_e32 v12, vcc, v7, v12, vcc
	global_load_dword v14, v[11:12], off
	v_lshlrev_b64 v[11:12], 2, v[1:2]
	v_add_co_u32_e32 v11, vcc, s8, v11
	v_addc_co_u32_e32 v12, vcc, v13, v12, vcc
	s_waitcnt vmcnt(1)
	v_fma_f32 v1, -v4, v36, v3
	global_store_dword v[8:9], v1, off
	global_load_dword v8, v[11:12], off
	v_add_u32_e32 v1, s5, v10
	v_lshlrev_b64 v[3:4], 2, v[1:2]
	v_mov_b32_e32 v9, s9
	v_add_co_u32_e32 v3, vcc, s8, v3
	v_addc_co_u32_e32 v4, vcc, v9, v4, vcc
	s_waitcnt vmcnt(0)
	v_fma_f32 v1, -v14, v28, v8
	global_store_dword v[11:12], v1, off
	global_load_dword v11, v[3:4], off
	v_add_u32_e32 v1, s6, v10
	v_lshlrev_b64 v[8:9], 2, v[1:2]
	v_mov_b32_e32 v12, s9
	v_add_co_u32_e32 v8, vcc, s8, v8
	v_addc_co_u32_e32 v9, vcc, v12, v9, vcc
	s_waitcnt vmcnt(0)
	v_fma_f32 v1, -v14, v29, v11
	global_store_dword v[3:4], v1, off
	global_load_dword v11, v[8:9], off
	v_add_u32_e32 v1, s7, v10
	v_lshlrev_b64 v[3:4], 2, v[1:2]
	v_add_co_u32_e32 v3, vcc, s8, v3
	v_addc_co_u32_e32 v4, vcc, v12, v4, vcc
	s_waitcnt vmcnt(0)
	v_fma_f32 v1, -v14, v30, v11
	global_store_dword v[8:9], v1, off
	global_load_dword v11, v[3:4], off
	v_add_u32_e32 v1, s12, v10
	v_lshlrev_b64 v[8:9], 2, v[1:2]
	;; [unrolled: 8-line block ×5, first 2 shown]
	v_add_co_u32_e32 v3, vcc, s8, v3
	v_addc_co_u32_e32 v4, vcc, v12, v4, vcc
	s_waitcnt vmcnt(0)
	v_fma_f32 v1, -v14, v35, v11
	global_store_dword v[8:9], v1, off
	global_load_dword v1, v[3:4], off
	s_waitcnt vmcnt(0)
	v_fma_f32 v1, -v14, v36, v1
	global_store_dword v[3:4], v1, off
                                        ; implicit-def: $vgpr3
                                        ; implicit-def: $vgpr4
.LBB2_21:                               ;   in Loop: Header=BB2_19 Depth=1
	s_or_saveexec_b64 s[2:3], s[2:3]
	v_mov_b32_e32 v1, s18
	s_xor_b64 exec, exec, s[2:3]
	s_cbranch_execz .LBB2_18
; %bb.22:                               ;   in Loop: Header=BB2_19 Depth=1
	v_add_u32_e32 v14, v19, v5
	v_add_u32_e32 v1, s4, v14
	v_lshlrev_b64 v[8:9], 2, v[1:2]
	v_mov_b32_e32 v1, s9
	v_add_co_u32_e32 v8, vcc, s8, v8
	v_addc_co_u32_e32 v9, vcc, v1, v9, vcc
	v_add_u32_e32 v1, s4, v3
	v_lshlrev_b64 v[10:11], 2, v[1:2]
	v_mov_b32_e32 v1, s9
	v_add_co_u32_e32 v10, vcc, s8, v10
	v_addc_co_u32_e32 v11, vcc, v1, v11, vcc
	global_load_dword v15, v[8:9], off
	global_load_dword v16, v[10:11], off
	v_add_u32_e32 v1, s5, v14
	v_lshlrev_b64 v[8:9], 2, v[1:2]
	v_add_u32_e32 v1, s5, v3
	v_mov_b32_e32 v17, s9
	v_lshlrev_b64 v[12:13], 2, v[1:2]
	v_add_co_u32_e32 v8, vcc, s8, v8
	v_addc_co_u32_e32 v9, vcc, v17, v9, vcc
	v_mov_b32_e32 v18, s9
	v_add_co_u32_e32 v12, vcc, s8, v12
	v_addc_co_u32_e32 v13, vcc, v18, v13, vcc
	s_waitcnt vmcnt(0)
	v_fma_f32 v1, -v4, v15, v16
	global_store_dword v[10:11], v1, off
	global_load_dword v15, v[8:9], off
	global_load_dword v16, v[12:13], off
	v_add_u32_e32 v1, s6, v14
	v_lshlrev_b64 v[8:9], 2, v[1:2]
	v_add_u32_e32 v1, s6, v3
	v_lshlrev_b64 v[10:11], 2, v[1:2]
	v_add_co_u32_e32 v8, vcc, s8, v8
	v_addc_co_u32_e32 v9, vcc, v17, v9, vcc
	v_add_co_u32_e32 v10, vcc, s8, v10
	v_addc_co_u32_e32 v11, vcc, v18, v11, vcc
	s_waitcnt vmcnt(0)
	v_fma_f32 v1, -v4, v15, v16
	global_store_dword v[12:13], v1, off
	global_load_dword v15, v[8:9], off
	global_load_dword v16, v[10:11], off
	v_add_u32_e32 v1, s7, v14
	v_lshlrev_b64 v[8:9], 2, v[1:2]
	v_add_u32_e32 v1, s7, v3
	v_lshlrev_b64 v[12:13], 2, v[1:2]
	v_add_co_u32_e32 v8, vcc, s8, v8
	v_addc_co_u32_e32 v9, vcc, v17, v9, vcc
	;; [unrolled: 13-line block ×6, first 2 shown]
	v_add_co_u32_e32 v12, vcc, s8, v12
	v_addc_co_u32_e32 v13, vcc, v18, v13, vcc
	s_waitcnt vmcnt(0)
	v_fma_f32 v1, -v4, v15, v16
	global_store_dword v[10:11], v1, off
	global_load_dword v1, v[8:9], off
	s_nop 0
	global_load_dword v3, v[12:13], off
	s_waitcnt vmcnt(0)
	v_fma_f32 v1, -v4, v1, v3
	global_store_dword v[12:13], v1, off
	v_mov_b32_e32 v1, s20
	s_branch .LBB2_18
.LBB2_23:
	s_endpgm
	.section	.rodata,"a",@progbits
	.p2align	6, 0x0
	.amdhsa_kernel _ZN9rocsparseL19gtsv_LBM_rhs_kernelILj256ELj2ELj8EfEEviiiPKT2_S3_S3_PS1_S3_PKi
		.amdhsa_group_segment_fixed_size 0
		.amdhsa_private_segment_fixed_size 0
		.amdhsa_kernarg_size 64
		.amdhsa_user_sgpr_count 6
		.amdhsa_user_sgpr_private_segment_buffer 1
		.amdhsa_user_sgpr_dispatch_ptr 0
		.amdhsa_user_sgpr_queue_ptr 0
		.amdhsa_user_sgpr_kernarg_segment_ptr 1
		.amdhsa_user_sgpr_dispatch_id 0
		.amdhsa_user_sgpr_flat_scratch_init 0
		.amdhsa_user_sgpr_private_segment_size 0
		.amdhsa_uses_dynamic_stack 0
		.amdhsa_system_sgpr_private_segment_wavefront_offset 0
		.amdhsa_system_sgpr_workgroup_id_x 1
		.amdhsa_system_sgpr_workgroup_id_y 1
		.amdhsa_system_sgpr_workgroup_id_z 0
		.amdhsa_system_sgpr_workgroup_info 0
		.amdhsa_system_vgpr_workitem_id 0
		.amdhsa_next_free_vgpr 61
		.amdhsa_next_free_sgpr 32
		.amdhsa_reserve_vcc 1
		.amdhsa_reserve_flat_scratch 0
		.amdhsa_float_round_mode_32 0
		.amdhsa_float_round_mode_16_64 0
		.amdhsa_float_denorm_mode_32 3
		.amdhsa_float_denorm_mode_16_64 3
		.amdhsa_dx10_clamp 1
		.amdhsa_ieee_mode 1
		.amdhsa_fp16_overflow 0
		.amdhsa_exception_fp_ieee_invalid_op 0
		.amdhsa_exception_fp_denorm_src 0
		.amdhsa_exception_fp_ieee_div_zero 0
		.amdhsa_exception_fp_ieee_overflow 0
		.amdhsa_exception_fp_ieee_underflow 0
		.amdhsa_exception_fp_ieee_inexact 0
		.amdhsa_exception_int_div_zero 0
	.end_amdhsa_kernel
	.section	.text._ZN9rocsparseL19gtsv_LBM_rhs_kernelILj256ELj2ELj8EfEEviiiPKT2_S3_S3_PS1_S3_PKi,"axG",@progbits,_ZN9rocsparseL19gtsv_LBM_rhs_kernelILj256ELj2ELj8EfEEviiiPKT2_S3_S3_PS1_S3_PKi,comdat
.Lfunc_end2:
	.size	_ZN9rocsparseL19gtsv_LBM_rhs_kernelILj256ELj2ELj8EfEEviiiPKT2_S3_S3_PS1_S3_PKi, .Lfunc_end2-_ZN9rocsparseL19gtsv_LBM_rhs_kernelILj256ELj2ELj8EfEEviiiPKT2_S3_S3_PS1_S3_PKi
                                        ; -- End function
	.set _ZN9rocsparseL19gtsv_LBM_rhs_kernelILj256ELj2ELj8EfEEviiiPKT2_S3_S3_PS1_S3_PKi.num_vgpr, 61
	.set _ZN9rocsparseL19gtsv_LBM_rhs_kernelILj256ELj2ELj8EfEEviiiPKT2_S3_S3_PS1_S3_PKi.num_agpr, 0
	.set _ZN9rocsparseL19gtsv_LBM_rhs_kernelILj256ELj2ELj8EfEEviiiPKT2_S3_S3_PS1_S3_PKi.numbered_sgpr, 32
	.set _ZN9rocsparseL19gtsv_LBM_rhs_kernelILj256ELj2ELj8EfEEviiiPKT2_S3_S3_PS1_S3_PKi.num_named_barrier, 0
	.set _ZN9rocsparseL19gtsv_LBM_rhs_kernelILj256ELj2ELj8EfEEviiiPKT2_S3_S3_PS1_S3_PKi.private_seg_size, 0
	.set _ZN9rocsparseL19gtsv_LBM_rhs_kernelILj256ELj2ELj8EfEEviiiPKT2_S3_S3_PS1_S3_PKi.uses_vcc, 1
	.set _ZN9rocsparseL19gtsv_LBM_rhs_kernelILj256ELj2ELj8EfEEviiiPKT2_S3_S3_PS1_S3_PKi.uses_flat_scratch, 0
	.set _ZN9rocsparseL19gtsv_LBM_rhs_kernelILj256ELj2ELj8EfEEviiiPKT2_S3_S3_PS1_S3_PKi.has_dyn_sized_stack, 0
	.set _ZN9rocsparseL19gtsv_LBM_rhs_kernelILj256ELj2ELj8EfEEviiiPKT2_S3_S3_PS1_S3_PKi.has_recursion, 0
	.set _ZN9rocsparseL19gtsv_LBM_rhs_kernelILj256ELj2ELj8EfEEviiiPKT2_S3_S3_PS1_S3_PKi.has_indirect_call, 0
	.section	.AMDGPU.csdata,"",@progbits
; Kernel info:
; codeLenInByte = 4028
; TotalNumSgprs: 36
; NumVgprs: 61
; ScratchSize: 0
; MemoryBound: 0
; FloatMode: 240
; IeeeMode: 1
; LDSByteSize: 0 bytes/workgroup (compile time only)
; SGPRBlocks: 4
; VGPRBlocks: 15
; NumSGPRsForWavesPerEU: 36
; NumVGPRsForWavesPerEU: 61
; Occupancy: 4
; WaveLimiterHint : 0
; COMPUTE_PGM_RSRC2:SCRATCH_EN: 0
; COMPUTE_PGM_RSRC2:USER_SGPR: 6
; COMPUTE_PGM_RSRC2:TRAP_HANDLER: 0
; COMPUTE_PGM_RSRC2:TGID_X_EN: 1
; COMPUTE_PGM_RSRC2:TGID_Y_EN: 1
; COMPUTE_PGM_RSRC2:TGID_Z_EN: 0
; COMPUTE_PGM_RSRC2:TIDIG_COMP_CNT: 0
	.section	.text._ZN9rocsparseL19gtsv_LBM_rhs_kernelILj256ELj2ELj4EfEEviiiPKT2_S3_S3_PS1_S3_PKi,"axG",@progbits,_ZN9rocsparseL19gtsv_LBM_rhs_kernelILj256ELj2ELj4EfEEviiiPKT2_S3_S3_PS1_S3_PKi,comdat
	.globl	_ZN9rocsparseL19gtsv_LBM_rhs_kernelILj256ELj2ELj4EfEEviiiPKT2_S3_S3_PS1_S3_PKi ; -- Begin function _ZN9rocsparseL19gtsv_LBM_rhs_kernelILj256ELj2ELj4EfEEviiiPKT2_S3_S3_PS1_S3_PKi
	.p2align	8
	.type	_ZN9rocsparseL19gtsv_LBM_rhs_kernelILj256ELj2ELj4EfEEviiiPKT2_S3_S3_PS1_S3_PKi,@function
_ZN9rocsparseL19gtsv_LBM_rhs_kernelILj256ELj2ELj4EfEEviiiPKT2_S3_S3_PS1_S3_PKi: ; @_ZN9rocsparseL19gtsv_LBM_rhs_kernelILj256ELj2ELj4EfEEviiiPKT2_S3_S3_PS1_S3_PKi
; %bb.0:
	s_load_dword s21, s[4:5], 0x0
	v_lshl_or_b32 v0, s6, 8, v0
	s_waitcnt lgkmcnt(0)
	s_lshr_b32 s20, s21, 1
	v_cmp_gt_i32_e32 vcc, s20, v0
	s_and_saveexec_b64 s[0:1], vcc
	s_cbranch_execz .LBB3_23
; %bb.1:
	s_load_dwordx4 s[8:11], s[4:5], 0x28
	s_load_dwordx2 s[16:17], s[4:5], 0x38
	s_cmp_lt_i32 s21, 1
	v_add_u32_e32 v11, s20, v0
	s_mul_i32 s22, s7, s21
	s_cbranch_scc1 .LBB3_15
; %bb.2:
	s_load_dwordx4 s[12:15], s[4:5], 0x10
	s_load_dwordx2 s[6:7], s[4:5], 0x20
	v_ashrrev_i32_e32 v1, 31, v0
	v_lshlrev_b64 v[1:2], 2, v[0:1]
	s_lshl_b32 s23, s22, 2
	s_waitcnt lgkmcnt(0)
	v_mov_b32_e32 v3, s15
	v_add_co_u32_e32 v1, vcc, s14, v1
	v_addc_co_u32_e32 v2, vcc, v3, v2, vcc
	global_load_dword v16, v[1:2], off
	s_add_i32 s24, s23, s21
	s_add_i32 s25, s24, s21
	;; [unrolled: 1-line block ×3, first 2 shown]
	s_and_b32 s27, s21, 0x7ffffffe
	v_mov_b32_e32 v2, 0
	s_mov_b64 s[4:5], 0
	v_mov_b32_e32 v13, s7
	v_mov_b32_e32 v12, 0
	s_branch .LBB3_5
.LBB3_3:                                ;   in Loop: Header=BB3_5 Depth=1
	s_or_b64 exec, exec, s[18:19]
	v_fma_f32 v1, -v16, v18, v14
	v_mov_b32_e32 v17, s20
.LBB3_4:                                ;   in Loop: Header=BB3_5 Depth=1
	s_or_b64 exec, exec, s[2:3]
	v_add_u32_e32 v12, v17, v12
	v_cmp_le_i32_e32 vcc, s21, v12
	s_or_b64 s[4:5], vcc, s[4:5]
	v_mov_b32_e32 v16, v1
	s_andn2_b64 exec, exec, s[4:5]
	s_cbranch_execz .LBB3_14
.LBB3_5:                                ; =>This Inner Loop Header: Depth=1
	v_add_u32_e32 v3, v12, v0
	v_ashrrev_i32_e32 v4, 31, v3
	v_lshlrev_b64 v[4:5], 2, v[3:4]
	v_cmp_gt_u32_e64 s[0:1], s20, v12
	v_add_co_u32_e32 v6, vcc, s6, v4
	v_addc_co_u32_e32 v7, vcc, v13, v5, vcc
	global_load_dword v17, v[6:7], off
	v_mov_b32_e32 v15, 0
	s_and_saveexec_b64 s[2:3], s[0:1]
	s_cbranch_execz .LBB3_7
; %bb.6:                                ;   in Loop: Header=BB3_5 Depth=1
	v_add_u32_e32 v6, v11, v12
	v_ashrrev_i32_e32 v7, 31, v6
	v_lshlrev_b64 v[6:7], 2, v[6:7]
	v_mov_b32_e32 v1, s13
	v_add_co_u32_e32 v6, vcc, s12, v6
	v_addc_co_u32_e32 v7, vcc, v1, v7, vcc
	global_load_dword v15, v[6:7], off
.LBB3_7:                                ;   in Loop: Header=BB3_5 Depth=1
	s_or_b64 exec, exec, s[2:3]
	v_mov_b32_e32 v14, 0
	s_and_saveexec_b64 s[2:3], s[0:1]
	s_cbranch_execz .LBB3_9
; %bb.8:                                ;   in Loop: Header=BB3_5 Depth=1
	v_add_u32_e32 v6, v11, v12
	v_ashrrev_i32_e32 v7, 31, v6
	v_lshlrev_b64 v[6:7], 2, v[6:7]
	v_mov_b32_e32 v1, s15
	v_add_co_u32_e32 v6, vcc, s14, v6
	v_addc_co_u32_e32 v7, vcc, v1, v7, vcc
	global_load_dword v14, v[6:7], off
.LBB3_9:                                ;   in Loop: Header=BB3_5 Depth=1
	s_or_b64 exec, exec, s[2:3]
	v_mov_b32_e32 v1, s17
	v_add_co_u32_e32 v4, vcc, s16, v4
	v_addc_co_u32_e32 v5, vcc, v1, v5, vcc
	v_add_u32_e32 v1, s23, v3
	global_load_dword v18, v[4:5], off
	v_lshlrev_b64 v[4:5], 2, v[1:2]
	s_waitcnt vmcnt(3)
	v_mov_b32_e32 v19, s9
	v_add_co_u32_e32 v9, vcc, s8, v4
	v_add_u32_e32 v1, s24, v3
	v_addc_co_u32_e32 v10, vcc, v19, v5, vcc
	v_lshlrev_b64 v[5:6], 2, v[1:2]
	v_add_u32_e32 v1, s25, v3
	v_add_co_u32_e32 v5, vcc, s8, v5
	v_lshlrev_b64 v[7:8], 2, v[1:2]
	v_addc_co_u32_e32 v6, vcc, v19, v6, vcc
	v_add_u32_e32 v1, s26, v3
	v_add_co_u32_e32 v7, vcc, s8, v7
	v_lshlrev_b64 v[3:4], 2, v[1:2]
	v_addc_co_u32_e32 v8, vcc, v19, v8, vcc
	v_add_co_u32_e32 v3, vcc, s8, v3
	v_addc_co_u32_e32 v4, vcc, v19, v4, vcc
	global_load_dword v22, v[9:10], off
	global_load_dword v21, v[5:6], off
	;; [unrolled: 1-line block ×4, first 2 shown]
	v_cmp_ne_u32_e64 s[2:3], s20, v12
	s_waitcnt vmcnt(4)
	v_cmp_ne_u32_e32 vcc, 1, v18
	s_and_b64 s[2:3], s[2:3], vcc
	v_mul_f32_e32 v18, v17, v15
	s_and_saveexec_b64 s[18:19], s[2:3]
	s_xor_b64 s[2:3], exec, s[18:19]
	s_cbranch_execz .LBB3_11
; %bb.10:                               ;   in Loop: Header=BB3_5 Depth=1
	v_add_u32_e32 v29, v11, v12
	v_add_u32_e32 v1, s23, v29
	v_lshlrev_b64 v[23:24], 2, v[1:2]
	v_add_u32_e32 v1, s24, v29
	v_lshlrev_b64 v[25:26], 2, v[1:2]
	v_add_u32_e32 v1, s25, v29
	v_lshlrev_b64 v[27:28], 2, v[1:2]
	v_add_u32_e32 v1, s26, v29
	v_lshlrev_b64 v[29:30], 2, v[1:2]
	v_fma_f32 v1, v16, v14, -v18
	v_div_scale_f32 v18, s[18:19], v1, v1, 1.0
	v_mov_b32_e32 v31, s9
	v_add_co_u32_e32 v23, vcc, s8, v23
	v_addc_co_u32_e32 v24, vcc, v31, v24, vcc
	v_add_co_u32_e32 v25, vcc, s8, v25
	v_addc_co_u32_e32 v26, vcc, v31, v26, vcc
	;; [unrolled: 2-line block ×4, first 2 shown]
	v_rcp_f32_e32 v31, v18
	v_fma_f32 v32, -v18, v31, 1.0
	v_fmac_f32_e32 v31, v32, v31
	v_div_scale_f32 v32, vcc, 1.0, v1, 1.0
	v_mul_f32_e32 v33, v32, v31
	v_fma_f32 v34, -v18, v33, v32
	v_fmac_f32_e32 v33, v34, v31
	v_fma_f32 v18, -v18, v33, v32
	v_div_fmas_f32 v18, v18, v31, v33
	global_load_dword v31, v[23:24], off
	global_load_dword v32, v[25:26], off
	global_load_dword v33, v[29:30], off
	v_div_fixup_f32 v1, v18, v1, 1.0
	global_load_dword v18, v[27:28], off
	s_waitcnt vmcnt(7)
	v_mul_f32_e32 v22, v1, v22
	s_waitcnt vmcnt(3)
	v_mul_f32_e32 v31, v1, v31
	v_mul_f32_e32 v34, v17, v31
	v_fma_f32 v34, v14, v22, -v34
	global_store_dword v[9:10], v34, off
	v_mul_f32_e32 v9, v1, v21
	v_mul_f32_e32 v10, v1, v19
	;; [unrolled: 1-line block ×5, first 2 shown]
	v_fma_f32 v20, v16, v31, -v20
	s_waitcnt vmcnt(3)
	v_mul_f32_e32 v31, v1, v32
	v_fma_f32 v21, v16, v31, -v21
	v_mul_f32_e32 v31, v17, v31
	v_mul_f32_e32 v22, v15, v10
	;; [unrolled: 1-line block ×3, first 2 shown]
	v_fma_f32 v9, v14, v9, -v31
	global_store_dword v[5:6], v9, off
	s_waitcnt vmcnt(2)
	v_mul_f32_e32 v18, v1, v18
	v_mul_f32_e32 v1, v1, v33
	v_fma_f32 v22, v16, v18, -v22
	v_mul_f32_e32 v18, v17, v18
	v_fma_f32 v6, v16, v1, -v15
	;; [unrolled: 2-line block ×3, first 2 shown]
	v_fma_f32 v1, v14, v19, -v1
	global_store_dword v[7:8], v5, off
	global_store_dword v[3:4], v1, off
	;; [unrolled: 1-line block ×6, first 2 shown]
                                        ; implicit-def: $vgpr16
                                        ; implicit-def: $vgpr15
                                        ; implicit-def: $vgpr14
                                        ; implicit-def: $vgpr18
                                        ; implicit-def: $vgpr9_vgpr10
                                        ; implicit-def: $vgpr22
                                        ; implicit-def: $vgpr5_vgpr6
                                        ; implicit-def: $vgpr21
                                        ; implicit-def: $vgpr7_vgpr8
                                        ; implicit-def: $vgpr19
                                        ; implicit-def: $vgpr3_vgpr4
                                        ; implicit-def: $vgpr20
.LBB3_11:                               ;   in Loop: Header=BB3_5 Depth=1
	s_or_saveexec_b64 s[2:3], s[2:3]
	v_mov_b32_e32 v1, 0
	v_mov_b32_e32 v17, s27
	s_xor_b64 exec, exec, s[2:3]
	s_cbranch_execz .LBB3_4
; %bb.12:                               ;   in Loop: Header=BB3_5 Depth=1
	v_div_scale_f32 v1, s[18:19], v16, v16, 1.0
	v_div_scale_f32 v17, vcc, 1.0, v16, 1.0
	v_rcp_f32_e32 v23, v1
	v_fma_f32 v24, -v1, v23, 1.0
	v_fmac_f32_e32 v23, v24, v23
	v_mul_f32_e32 v24, v17, v23
	v_fma_f32 v25, -v1, v24, v17
	v_fmac_f32_e32 v24, v25, v23
	v_fma_f32 v1, -v1, v24, v17
	v_div_fmas_f32 v1, v1, v23, v24
	v_div_fixup_f32 v16, v1, v16, 1.0
	s_waitcnt vmcnt(3)
	v_mul_f32_e32 v22, v16, v22
	s_waitcnt vmcnt(2)
	v_mul_f32_e32 v21, v16, v21
	;; [unrolled: 2-line block ×4, first 2 shown]
	global_store_dword v[9:10], v22, off
	global_store_dword v[5:6], v21, off
	;; [unrolled: 1-line block ×4, first 2 shown]
	s_and_saveexec_b64 s[18:19], s[0:1]
	s_cbranch_execz .LBB3_3
; %bb.13:                               ;   in Loop: Header=BB3_5 Depth=1
	v_add_u32_e32 v9, v11, v12
	v_add_u32_e32 v1, s23, v9
	v_lshlrev_b64 v[3:4], 2, v[1:2]
	v_add_u32_e32 v1, s24, v9
	v_mov_b32_e32 v20, s9
	v_add_co_u32_e32 v3, vcc, s8, v3
	v_lshlrev_b64 v[5:6], 2, v[1:2]
	v_addc_co_u32_e32 v4, vcc, v20, v4, vcc
	v_add_co_u32_e32 v5, vcc, s8, v5
	global_load_dword v23, v[3:4], off
	v_addc_co_u32_e32 v6, vcc, v20, v6, vcc
	global_load_dword v24, v[5:6], off
	v_add_u32_e32 v1, s25, v9
	v_lshlrev_b64 v[7:8], 2, v[1:2]
	v_add_u32_e32 v1, s26, v9
	v_lshlrev_b64 v[9:10], 2, v[1:2]
	v_add_co_u32_e32 v7, vcc, s8, v7
	v_addc_co_u32_e32 v8, vcc, v20, v8, vcc
	v_add_co_u32_e32 v9, vcc, s8, v9
	v_addc_co_u32_e32 v10, vcc, v20, v10, vcc
	s_waitcnt vmcnt(1)
	v_fma_f32 v1, -v15, v22, v23
	global_store_dword v[3:4], v1, off
	global_load_dword v3, v[7:8], off
	s_waitcnt vmcnt(2)
	v_fma_f32 v1, -v15, v21, v24
	global_store_dword v[5:6], v1, off
	global_load_dword v1, v[9:10], off
	s_waitcnt vmcnt(2)
	v_fma_f32 v3, -v15, v19, v3
	global_store_dword v[7:8], v3, off
	s_waitcnt vmcnt(1)
	v_fma_f32 v1, -v15, v17, v1
	global_store_dword v[9:10], v1, off
	s_branch .LBB3_3
.LBB3_14:
	s_or_b64 exec, exec, s[4:5]
	s_branch .LBB3_16
.LBB3_15:
	v_mov_b32_e32 v12, 0
.LBB3_16:
	v_subrev_u32_e32 v3, s20, v12
	v_add_u32_e32 v1, v3, v0
	v_ashrrev_i32_e32 v2, 31, v1
	v_lshlrev_b64 v[1:2], 2, v[1:2]
	s_waitcnt lgkmcnt(0)
	v_mov_b32_e32 v4, s17
	v_add_co_u32_e32 v1, vcc, s16, v1
	v_addc_co_u32_e32 v2, vcc, v4, v2, vcc
	s_waitcnt vmcnt(0)
	buffer_wbinvl1_vol
	global_load_dword v1, v[1:2], off
	s_waitcnt vmcnt(0)
	v_mul_lo_u32 v1, v1, s20
	v_sub_u32_e32 v5, v3, v1
	v_cmp_lt_i32_e32 vcc, -1, v5
	s_and_b64 exec, exec, vcc
	s_cbranch_execz .LBB3_23
; %bb.17:
	s_lshl_b32 s4, s22, 2
	s_add_i32 s5, s4, s21
	s_add_i32 s6, s5, s21
	;; [unrolled: 1-line block ×3, first 2 shown]
	s_and_b32 s12, s21, -2
	s_mov_b64 s[0:1], 0
	v_mov_b32_e32 v6, s17
	v_mov_b32_e32 v7, s11
	;; [unrolled: 1-line block ×3, first 2 shown]
	s_branch .LBB3_19
.LBB3_18:                               ;   in Loop: Header=BB3_19 Depth=1
	s_or_b64 exec, exec, s[2:3]
	v_sub_u32_e32 v5, v5, v1
	v_cmp_gt_i32_e32 vcc, 0, v5
	s_or_b64 s[0:1], vcc, s[0:1]
	s_andn2_b64 exec, exec, s[0:1]
	s_cbranch_execz .LBB3_23
.LBB3_19:                               ; =>This Inner Loop Header: Depth=1
	v_add_u32_e32 v3, v5, v0
	s_waitcnt vmcnt(0)
	v_ashrrev_i32_e32 v4, 31, v3
	v_lshlrev_b64 v[8:9], 2, v[3:4]
	v_add_co_u32_e32 v12, vcc, s16, v8
	v_addc_co_u32_e32 v13, vcc, v6, v9, vcc
	v_add_co_u32_e32 v8, vcc, s10, v8
	global_load_dword v1, v[12:13], off
	v_addc_co_u32_e32 v9, vcc, v7, v9, vcc
	global_load_dword v4, v[8:9], off
	s_waitcnt vmcnt(1)
	v_cmp_ne_u32_e32 vcc, 1, v1
	s_and_saveexec_b64 s[2:3], vcc
	s_xor_b64 s[2:3], exec, s[2:3]
	s_cbranch_execz .LBB3_21
; %bb.20:                               ;   in Loop: Header=BB3_19 Depth=1
	v_add_u32_e32 v10, v11, v5
	v_add_u32_e32 v1, s4, v10
	v_lshlrev_b64 v[8:9], 2, v[1:2]
	v_mov_b32_e32 v1, s9
	v_add_co_u32_e32 v8, vcc, s8, v8
	v_addc_co_u32_e32 v9, vcc, v1, v9, vcc
	v_add_u32_e32 v1, s5, v10
	v_lshlrev_b64 v[12:13], 2, v[1:2]
	v_add_u32_e32 v1, s6, v10
	v_lshlrev_b64 v[14:15], 2, v[1:2]
	;; [unrolled: 2-line block ×4, first 2 shown]
	v_mov_b32_e32 v1, s9
	v_add_co_u32_e32 v18, vcc, s8, v18
	v_addc_co_u32_e32 v19, vcc, v1, v19, vcc
	global_load_dword v10, v[8:9], off
	global_load_dword v20, v[18:19], off
	v_add_co_u32_e32 v8, vcc, s8, v12
	v_addc_co_u32_e32 v9, vcc, v1, v13, vcc
	v_mov_b32_e32 v21, s9
	v_add_co_u32_e32 v12, vcc, s8, v14
	v_addc_co_u32_e32 v13, vcc, v21, v15, vcc
	v_mov_b32_e32 v22, s9
	v_add_co_u32_e32 v14, vcc, s8, v16
	v_add_u32_e32 v1, s5, v3
	v_addc_co_u32_e32 v15, vcc, v22, v17, vcc
	global_load_dword v16, v[8:9], off
	global_load_dword v17, v[12:13], off
	;; [unrolled: 1-line block ×3, first 2 shown]
	v_lshlrev_b64 v[8:9], 2, v[1:2]
	v_mov_b32_e32 v12, s9
	v_add_co_u32_e32 v8, vcc, s8, v8
	v_addc_co_u32_e32 v9, vcc, v12, v9, vcc
	v_mov_b32_e32 v15, s9
	s_waitcnt vmcnt(3)
	v_fma_f32 v1, -v4, v10, v20
	global_store_dword v[18:19], v1, off
	global_load_dword v14, v[8:9], off
	v_add_u32_e32 v1, s6, v3
	v_lshlrev_b64 v[12:13], 2, v[1:2]
	v_add_co_u32_e32 v12, vcc, s8, v12
	v_addc_co_u32_e32 v13, vcc, v15, v13, vcc
	s_waitcnt vmcnt(0)
	v_fma_f32 v1, -v4, v16, v14
	global_store_dword v[8:9], v1, off
	global_load_dword v14, v[12:13], off
	v_add_u32_e32 v1, s7, v3
	v_lshlrev_b64 v[8:9], 2, v[1:2]
	v_add_co_u32_e32 v8, vcc, s8, v8
	v_addc_co_u32_e32 v9, vcc, v15, v9, vcc
	s_waitcnt vmcnt(0)
	v_fma_f32 v1, -v4, v17, v14
	global_store_dword v[12:13], v1, off
	global_load_dword v3, v[8:9], off
	v_subrev_u32_e32 v1, s20, v5
	v_add_u32_e32 v12, v1, v0
	v_ashrrev_i32_e32 v13, 31, v12
	v_lshlrev_b64 v[13:14], 2, v[12:13]
	v_add_u32_e32 v1, s4, v12
	v_add_co_u32_e32 v13, vcc, s10, v13
	v_addc_co_u32_e32 v14, vcc, v7, v14, vcc
	global_load_dword v18, v[13:14], off
	v_lshlrev_b64 v[13:14], 2, v[1:2]
	v_add_co_u32_e32 v13, vcc, s8, v13
	v_addc_co_u32_e32 v14, vcc, v15, v14, vcc
	s_waitcnt vmcnt(1)
	v_fma_f32 v1, -v4, v21, v3
	global_store_dword v[8:9], v1, off
	global_load_dword v8, v[13:14], off
	v_add_u32_e32 v1, s5, v12
	v_lshlrev_b64 v[3:4], 2, v[1:2]
	v_mov_b32_e32 v9, s9
	v_add_co_u32_e32 v3, vcc, s8, v3
	v_addc_co_u32_e32 v4, vcc, v9, v4, vcc
	s_waitcnt vmcnt(0)
	v_fma_f32 v1, -v18, v10, v8
	global_store_dword v[13:14], v1, off
	global_load_dword v10, v[3:4], off
	v_add_u32_e32 v1, s6, v12
	v_lshlrev_b64 v[8:9], 2, v[1:2]
	v_mov_b32_e32 v13, s9
	v_add_co_u32_e32 v8, vcc, s8, v8
	v_addc_co_u32_e32 v9, vcc, v13, v9, vcc
	s_waitcnt vmcnt(0)
	v_fma_f32 v1, -v18, v16, v10
	global_store_dword v[3:4], v1, off
	global_load_dword v10, v[8:9], off
	v_add_u32_e32 v1, s7, v12
	v_lshlrev_b64 v[3:4], 2, v[1:2]
	v_add_co_u32_e32 v3, vcc, s8, v3
	v_addc_co_u32_e32 v4, vcc, v13, v4, vcc
	s_waitcnt vmcnt(0)
	v_fma_f32 v1, -v18, v17, v10
	global_store_dword v[8:9], v1, off
	global_load_dword v1, v[3:4], off
	s_waitcnt vmcnt(0)
	v_fma_f32 v1, -v18, v21, v1
	global_store_dword v[3:4], v1, off
                                        ; implicit-def: $vgpr3
                                        ; implicit-def: $vgpr4
.LBB3_21:                               ;   in Loop: Header=BB3_19 Depth=1
	s_or_saveexec_b64 s[2:3], s[2:3]
	v_mov_b32_e32 v1, s12
	s_xor_b64 exec, exec, s[2:3]
	s_cbranch_execz .LBB3_18
; %bb.22:                               ;   in Loop: Header=BB3_19 Depth=1
	v_add_u32_e32 v10, v11, v5
	v_add_u32_e32 v1, s4, v10
	v_lshlrev_b64 v[8:9], 2, v[1:2]
	v_mov_b32_e32 v1, s9
	v_add_co_u32_e32 v8, vcc, s8, v8
	v_addc_co_u32_e32 v9, vcc, v1, v9, vcc
	v_add_u32_e32 v1, s4, v3
	v_lshlrev_b64 v[12:13], 2, v[1:2]
	v_mov_b32_e32 v1, s9
	v_add_co_u32_e32 v12, vcc, s8, v12
	v_addc_co_u32_e32 v13, vcc, v1, v13, vcc
	global_load_dword v16, v[8:9], off
	global_load_dword v17, v[12:13], off
	v_add_u32_e32 v1, s5, v10
	v_lshlrev_b64 v[8:9], 2, v[1:2]
	v_add_u32_e32 v1, s5, v3
	v_mov_b32_e32 v18, s9
	v_lshlrev_b64 v[14:15], 2, v[1:2]
	v_add_co_u32_e32 v8, vcc, s8, v8
	v_addc_co_u32_e32 v9, vcc, v18, v9, vcc
	v_mov_b32_e32 v19, s9
	v_add_co_u32_e32 v14, vcc, s8, v14
	v_addc_co_u32_e32 v15, vcc, v19, v15, vcc
	s_waitcnt vmcnt(0)
	v_fma_f32 v1, -v4, v16, v17
	global_store_dword v[12:13], v1, off
	global_load_dword v16, v[8:9], off
	global_load_dword v17, v[14:15], off
	v_add_u32_e32 v1, s6, v10
	v_lshlrev_b64 v[8:9], 2, v[1:2]
	v_add_u32_e32 v1, s6, v3
	v_lshlrev_b64 v[12:13], 2, v[1:2]
	v_add_co_u32_e32 v8, vcc, s8, v8
	v_addc_co_u32_e32 v9, vcc, v18, v9, vcc
	v_add_co_u32_e32 v12, vcc, s8, v12
	v_addc_co_u32_e32 v13, vcc, v19, v13, vcc
	s_waitcnt vmcnt(0)
	v_fma_f32 v1, -v4, v16, v17
	global_store_dword v[14:15], v1, off
	global_load_dword v16, v[8:9], off
	global_load_dword v17, v[12:13], off
	v_add_u32_e32 v1, s7, v10
	v_lshlrev_b64 v[8:9], 2, v[1:2]
	v_add_u32_e32 v1, s7, v3
	v_lshlrev_b64 v[14:15], 2, v[1:2]
	v_add_co_u32_e32 v8, vcc, s8, v8
	v_addc_co_u32_e32 v9, vcc, v18, v9, vcc
	v_add_co_u32_e32 v14, vcc, s8, v14
	v_addc_co_u32_e32 v15, vcc, v19, v15, vcc
	s_waitcnt vmcnt(0)
	v_fma_f32 v1, -v4, v16, v17
	global_store_dword v[12:13], v1, off
	global_load_dword v1, v[8:9], off
	s_nop 0
	global_load_dword v3, v[14:15], off
	s_waitcnt vmcnt(0)
	v_fma_f32 v1, -v4, v1, v3
	global_store_dword v[14:15], v1, off
	v_mov_b32_e32 v1, s20
	s_branch .LBB3_18
.LBB3_23:
	s_endpgm
	.section	.rodata,"a",@progbits
	.p2align	6, 0x0
	.amdhsa_kernel _ZN9rocsparseL19gtsv_LBM_rhs_kernelILj256ELj2ELj4EfEEviiiPKT2_S3_S3_PS1_S3_PKi
		.amdhsa_group_segment_fixed_size 0
		.amdhsa_private_segment_fixed_size 0
		.amdhsa_kernarg_size 64
		.amdhsa_user_sgpr_count 6
		.amdhsa_user_sgpr_private_segment_buffer 1
		.amdhsa_user_sgpr_dispatch_ptr 0
		.amdhsa_user_sgpr_queue_ptr 0
		.amdhsa_user_sgpr_kernarg_segment_ptr 1
		.amdhsa_user_sgpr_dispatch_id 0
		.amdhsa_user_sgpr_flat_scratch_init 0
		.amdhsa_user_sgpr_private_segment_size 0
		.amdhsa_uses_dynamic_stack 0
		.amdhsa_system_sgpr_private_segment_wavefront_offset 0
		.amdhsa_system_sgpr_workgroup_id_x 1
		.amdhsa_system_sgpr_workgroup_id_y 1
		.amdhsa_system_sgpr_workgroup_id_z 0
		.amdhsa_system_sgpr_workgroup_info 0
		.amdhsa_system_vgpr_workitem_id 0
		.amdhsa_next_free_vgpr 35
		.amdhsa_next_free_sgpr 28
		.amdhsa_reserve_vcc 1
		.amdhsa_reserve_flat_scratch 0
		.amdhsa_float_round_mode_32 0
		.amdhsa_float_round_mode_16_64 0
		.amdhsa_float_denorm_mode_32 3
		.amdhsa_float_denorm_mode_16_64 3
		.amdhsa_dx10_clamp 1
		.amdhsa_ieee_mode 1
		.amdhsa_fp16_overflow 0
		.amdhsa_exception_fp_ieee_invalid_op 0
		.amdhsa_exception_fp_denorm_src 0
		.amdhsa_exception_fp_ieee_div_zero 0
		.amdhsa_exception_fp_ieee_overflow 0
		.amdhsa_exception_fp_ieee_underflow 0
		.amdhsa_exception_fp_ieee_inexact 0
		.amdhsa_exception_int_div_zero 0
	.end_amdhsa_kernel
	.section	.text._ZN9rocsparseL19gtsv_LBM_rhs_kernelILj256ELj2ELj4EfEEviiiPKT2_S3_S3_PS1_S3_PKi,"axG",@progbits,_ZN9rocsparseL19gtsv_LBM_rhs_kernelILj256ELj2ELj4EfEEviiiPKT2_S3_S3_PS1_S3_PKi,comdat
.Lfunc_end3:
	.size	_ZN9rocsparseL19gtsv_LBM_rhs_kernelILj256ELj2ELj4EfEEviiiPKT2_S3_S3_PS1_S3_PKi, .Lfunc_end3-_ZN9rocsparseL19gtsv_LBM_rhs_kernelILj256ELj2ELj4EfEEviiiPKT2_S3_S3_PS1_S3_PKi
                                        ; -- End function
	.set _ZN9rocsparseL19gtsv_LBM_rhs_kernelILj256ELj2ELj4EfEEviiiPKT2_S3_S3_PS1_S3_PKi.num_vgpr, 35
	.set _ZN9rocsparseL19gtsv_LBM_rhs_kernelILj256ELj2ELj4EfEEviiiPKT2_S3_S3_PS1_S3_PKi.num_agpr, 0
	.set _ZN9rocsparseL19gtsv_LBM_rhs_kernelILj256ELj2ELj4EfEEviiiPKT2_S3_S3_PS1_S3_PKi.numbered_sgpr, 28
	.set _ZN9rocsparseL19gtsv_LBM_rhs_kernelILj256ELj2ELj4EfEEviiiPKT2_S3_S3_PS1_S3_PKi.num_named_barrier, 0
	.set _ZN9rocsparseL19gtsv_LBM_rhs_kernelILj256ELj2ELj4EfEEviiiPKT2_S3_S3_PS1_S3_PKi.private_seg_size, 0
	.set _ZN9rocsparseL19gtsv_LBM_rhs_kernelILj256ELj2ELj4EfEEviiiPKT2_S3_S3_PS1_S3_PKi.uses_vcc, 1
	.set _ZN9rocsparseL19gtsv_LBM_rhs_kernelILj256ELj2ELj4EfEEviiiPKT2_S3_S3_PS1_S3_PKi.uses_flat_scratch, 0
	.set _ZN9rocsparseL19gtsv_LBM_rhs_kernelILj256ELj2ELj4EfEEviiiPKT2_S3_S3_PS1_S3_PKi.has_dyn_sized_stack, 0
	.set _ZN9rocsparseL19gtsv_LBM_rhs_kernelILj256ELj2ELj4EfEEviiiPKT2_S3_S3_PS1_S3_PKi.has_recursion, 0
	.set _ZN9rocsparseL19gtsv_LBM_rhs_kernelILj256ELj2ELj4EfEEviiiPKT2_S3_S3_PS1_S3_PKi.has_indirect_call, 0
	.section	.AMDGPU.csdata,"",@progbits
; Kernel info:
; codeLenInByte = 2460
; TotalNumSgprs: 32
; NumVgprs: 35
; ScratchSize: 0
; MemoryBound: 0
; FloatMode: 240
; IeeeMode: 1
; LDSByteSize: 0 bytes/workgroup (compile time only)
; SGPRBlocks: 3
; VGPRBlocks: 8
; NumSGPRsForWavesPerEU: 32
; NumVGPRsForWavesPerEU: 35
; Occupancy: 7
; WaveLimiterHint : 0
; COMPUTE_PGM_RSRC2:SCRATCH_EN: 0
; COMPUTE_PGM_RSRC2:USER_SGPR: 6
; COMPUTE_PGM_RSRC2:TRAP_HANDLER: 0
; COMPUTE_PGM_RSRC2:TGID_X_EN: 1
; COMPUTE_PGM_RSRC2:TGID_Y_EN: 1
; COMPUTE_PGM_RSRC2:TGID_Z_EN: 0
; COMPUTE_PGM_RSRC2:TIDIG_COMP_CNT: 0
	.section	.text._ZN9rocsparseL19gtsv_LBM_rhs_kernelILj256ELj2ELj2EfEEviiiPKT2_S3_S3_PS1_S3_PKi,"axG",@progbits,_ZN9rocsparseL19gtsv_LBM_rhs_kernelILj256ELj2ELj2EfEEviiiPKT2_S3_S3_PS1_S3_PKi,comdat
	.globl	_ZN9rocsparseL19gtsv_LBM_rhs_kernelILj256ELj2ELj2EfEEviiiPKT2_S3_S3_PS1_S3_PKi ; -- Begin function _ZN9rocsparseL19gtsv_LBM_rhs_kernelILj256ELj2ELj2EfEEviiiPKT2_S3_S3_PS1_S3_PKi
	.p2align	8
	.type	_ZN9rocsparseL19gtsv_LBM_rhs_kernelILj256ELj2ELj2EfEEviiiPKT2_S3_S3_PS1_S3_PKi,@function
_ZN9rocsparseL19gtsv_LBM_rhs_kernelILj256ELj2ELj2EfEEviiiPKT2_S3_S3_PS1_S3_PKi: ; @_ZN9rocsparseL19gtsv_LBM_rhs_kernelILj256ELj2ELj2EfEEviiiPKT2_S3_S3_PS1_S3_PKi
; %bb.0:
	s_load_dword s21, s[4:5], 0x0
	v_lshl_or_b32 v0, s6, 8, v0
	s_waitcnt lgkmcnt(0)
	s_lshr_b32 s20, s21, 1
	v_cmp_gt_i32_e32 vcc, s20, v0
	s_and_saveexec_b64 s[0:1], vcc
	s_cbranch_execz .LBB4_23
; %bb.1:
	s_load_dwordx4 s[8:11], s[4:5], 0x28
	s_load_dwordx2 s[16:17], s[4:5], 0x38
	s_cmp_lt_i32 s21, 1
	v_add_u32_e32 v7, s20, v0
	s_mul_i32 s22, s7, s21
	s_cbranch_scc1 .LBB4_15
; %bb.2:
	s_load_dwordx4 s[12:15], s[4:5], 0x10
	s_load_dwordx2 s[6:7], s[4:5], 0x20
	v_ashrrev_i32_e32 v1, 31, v0
	v_lshlrev_b64 v[1:2], 2, v[0:1]
	s_lshl_b32 s23, s22, 1
	s_waitcnt lgkmcnt(0)
	v_mov_b32_e32 v3, s15
	v_add_co_u32_e32 v1, vcc, s14, v1
	v_addc_co_u32_e32 v2, vcc, v3, v2, vcc
	global_load_dword v10, v[1:2], off
	s_add_i32 s24, s23, s21
	s_and_b32 s25, s21, 0x7ffffffe
	v_mov_b32_e32 v2, 0
	s_mov_b64 s[4:5], 0
	v_mov_b32_e32 v9, s7
	v_mov_b32_e32 v8, 0
	s_branch .LBB4_5
.LBB4_3:                                ;   in Loop: Header=BB4_5 Depth=1
	s_or_b64 exec, exec, s[18:19]
	v_fma_f32 v13, -v10, v14, v12
	v_mov_b32_e32 v16, s20
.LBB4_4:                                ;   in Loop: Header=BB4_5 Depth=1
	s_or_b64 exec, exec, s[2:3]
	v_add_u32_e32 v8, v16, v8
	v_cmp_le_i32_e32 vcc, s21, v8
	s_or_b64 s[4:5], vcc, s[4:5]
	v_mov_b32_e32 v10, v13
	s_andn2_b64 exec, exec, s[4:5]
	s_cbranch_execz .LBB4_14
.LBB4_5:                                ; =>This Inner Loop Header: Depth=1
	v_add_u32_e32 v5, v8, v0
	v_ashrrev_i32_e32 v6, 31, v5
	v_lshlrev_b64 v[3:4], 2, v[5:6]
	v_cmp_gt_u32_e64 s[0:1], s20, v8
	v_add_co_u32_e32 v11, vcc, s6, v3
	v_addc_co_u32_e32 v12, vcc, v9, v4, vcc
	global_load_dword v13, v[11:12], off
	v_mov_b32_e32 v11, 0
	s_and_saveexec_b64 s[2:3], s[0:1]
	s_cbranch_execz .LBB4_7
; %bb.6:                                ;   in Loop: Header=BB4_5 Depth=1
	v_add_u32_e32 v11, v7, v8
	v_ashrrev_i32_e32 v12, 31, v11
	v_lshlrev_b64 v[11:12], 2, v[11:12]
	s_waitcnt vmcnt(2)
	v_mov_b32_e32 v1, s13
	v_add_co_u32_e32 v11, vcc, s12, v11
	v_addc_co_u32_e32 v12, vcc, v1, v12, vcc
	global_load_dword v11, v[11:12], off
.LBB4_7:                                ;   in Loop: Header=BB4_5 Depth=1
	s_or_b64 exec, exec, s[2:3]
	v_mov_b32_e32 v12, 0
	s_and_saveexec_b64 s[2:3], s[0:1]
	s_cbranch_execz .LBB4_9
; %bb.8:                                ;   in Loop: Header=BB4_5 Depth=1
	v_add_u32_e32 v14, v7, v8
	s_waitcnt vmcnt(1)
	v_ashrrev_i32_e32 v15, 31, v14
	v_lshlrev_b64 v[14:15], 2, v[14:15]
	v_mov_b32_e32 v1, s15
	v_add_co_u32_e32 v14, vcc, s14, v14
	v_addc_co_u32_e32 v15, vcc, v1, v15, vcc
	global_load_dword v12, v[14:15], off
.LBB4_9:                                ;   in Loop: Header=BB4_5 Depth=1
	s_or_b64 exec, exec, s[2:3]
	s_waitcnt vmcnt(2)
	v_mov_b32_e32 v1, s17
	v_add_co_u32_e32 v3, vcc, s16, v3
	v_addc_co_u32_e32 v4, vcc, v1, v4, vcc
	v_add_u32_e32 v1, s23, v5
	global_load_dword v14, v[3:4], off
	v_lshlrev_b64 v[3:4], 2, v[1:2]
	v_add_u32_e32 v1, s24, v5
	s_waitcnt vmcnt(2)
	v_mov_b32_e32 v15, s9
	v_add_co_u32_e32 v3, vcc, s8, v3
	v_lshlrev_b64 v[5:6], 2, v[1:2]
	v_addc_co_u32_e32 v4, vcc, v15, v4, vcc
	v_add_co_u32_e32 v5, vcc, s8, v5
	v_addc_co_u32_e32 v6, vcc, v15, v6, vcc
	global_load_dword v1, v[3:4], off
	global_load_dword v15, v[5:6], off
	v_cmp_ne_u32_e64 s[2:3], s20, v8
	s_waitcnt vmcnt(2)
	v_cmp_ne_u32_e32 vcc, 1, v14
	s_and_b64 s[2:3], s[2:3], vcc
	v_mul_f32_e32 v14, v13, v11
	s_and_saveexec_b64 s[18:19], s[2:3]
	s_xor_b64 s[2:3], exec, s[18:19]
	s_cbranch_execz .LBB4_11
; %bb.10:                               ;   in Loop: Header=BB4_5 Depth=1
	v_fma_f32 v14, v10, v12, -v14
	v_div_scale_f32 v16, s[18:19], v14, v14, 1.0
	v_mov_b32_e32 v21, s9
	v_rcp_f32_e32 v17, v16
	v_fma_f32 v18, -v16, v17, 1.0
	v_fmac_f32_e32 v17, v18, v17
	v_div_scale_f32 v18, vcc, 1.0, v14, 1.0
	v_mul_f32_e32 v19, v18, v17
	v_fma_f32 v20, -v16, v19, v18
	v_fmac_f32_e32 v19, v20, v17
	v_fma_f32 v16, -v16, v19, v18
	v_div_fmas_f32 v16, v16, v17, v19
	v_div_fixup_f32 v18, v16, v14, 1.0
	v_add_u32_e32 v16, v7, v8
	s_waitcnt vmcnt(1)
	v_mul_f32_e32 v19, v18, v1
	v_add_u32_e32 v1, s23, v16
	s_waitcnt vmcnt(0)
	v_mul_f32_e32 v20, v18, v15
	v_lshlrev_b64 v[14:15], 2, v[1:2]
	v_add_co_u32_e32 v14, vcc, s8, v14
	v_addc_co_u32_e32 v15, vcc, v21, v15, vcc
	global_load_dword v1, v[14:15], off
	s_waitcnt vmcnt(0)
	v_mul_f32_e32 v22, v18, v1
	v_add_u32_e32 v1, s24, v16
	v_lshlrev_b64 v[16:17], 2, v[1:2]
	v_add_co_u32_e32 v16, vcc, s8, v16
	v_addc_co_u32_e32 v17, vcc, v21, v17, vcc
	global_load_dword v1, v[16:17], off
	s_waitcnt vmcnt(0)
	v_mul_f32_e32 v1, v18, v1
	v_mul_f32_e32 v18, v13, v22
	v_fma_f32 v18, v12, v19, -v18
	global_store_dword v[3:4], v18, off
	v_mul_f32_e32 v3, v13, v1
	v_fma_f32 v3, v12, v20, -v3
	global_store_dword v[5:6], v3, off
	;; [unrolled: 3-line block ×4, first 2 shown]
                                        ; implicit-def: $vgpr14
                                        ; implicit-def: $vgpr12
                                        ; implicit-def: $vgpr10
                                        ; implicit-def: $vgpr1
                                        ; implicit-def: $vgpr15
                                        ; implicit-def: $vgpr3_vgpr4
                                        ; implicit-def: $vgpr5_vgpr6
                                        ; implicit-def: $vgpr11
.LBB4_11:                               ;   in Loop: Header=BB4_5 Depth=1
	s_or_saveexec_b64 s[2:3], s[2:3]
	v_mov_b32_e32 v13, 0
	v_mov_b32_e32 v16, s25
	s_xor_b64 exec, exec, s[2:3]
	s_cbranch_execz .LBB4_4
; %bb.12:                               ;   in Loop: Header=BB4_5 Depth=1
	v_div_scale_f32 v13, s[18:19], v10, v10, 1.0
	v_div_scale_f32 v16, vcc, 1.0, v10, 1.0
	v_rcp_f32_e32 v17, v13
	v_fma_f32 v18, -v13, v17, 1.0
	v_fmac_f32_e32 v17, v18, v17
	v_mul_f32_e32 v18, v16, v17
	v_fma_f32 v19, -v13, v18, v16
	v_fmac_f32_e32 v18, v19, v17
	v_fma_f32 v13, -v13, v18, v16
	v_div_fmas_f32 v13, v13, v17, v18
	v_div_fixup_f32 v10, v13, v10, 1.0
	s_waitcnt vmcnt(1)
	v_mul_f32_e32 v16, v10, v1
	s_waitcnt vmcnt(0)
	v_mul_f32_e32 v13, v10, v15
	global_store_dword v[3:4], v16, off
	global_store_dword v[5:6], v13, off
	s_and_saveexec_b64 s[18:19], s[0:1]
	s_cbranch_execz .LBB4_3
; %bb.13:                               ;   in Loop: Header=BB4_5 Depth=1
	v_add_u32_e32 v5, v7, v8
	v_add_u32_e32 v1, s23, v5
	v_lshlrev_b64 v[3:4], 2, v[1:2]
	v_add_u32_e32 v1, s24, v5
	v_mov_b32_e32 v15, s9
	v_add_co_u32_e32 v3, vcc, s8, v3
	v_lshlrev_b64 v[5:6], 2, v[1:2]
	v_addc_co_u32_e32 v4, vcc, v15, v4, vcc
	v_add_co_u32_e32 v5, vcc, s8, v5
	v_addc_co_u32_e32 v6, vcc, v15, v6, vcc
	global_load_dword v17, v[3:4], off
	global_load_dword v1, v[5:6], off
	s_waitcnt vmcnt(1)
	v_fma_f32 v15, -v11, v16, v17
	s_waitcnt vmcnt(0)
	v_fma_f32 v1, -v11, v13, v1
	global_store_dword v[3:4], v15, off
	global_store_dword v[5:6], v1, off
	s_branch .LBB4_3
.LBB4_14:
	s_or_b64 exec, exec, s[4:5]
	s_branch .LBB4_16
.LBB4_15:
	v_mov_b32_e32 v8, 0
.LBB4_16:
	v_subrev_u32_e32 v3, s20, v8
	s_waitcnt vmcnt(1)
	v_add_u32_e32 v1, v3, v0
	v_ashrrev_i32_e32 v2, 31, v1
	v_lshlrev_b64 v[1:2], 2, v[1:2]
	s_waitcnt lgkmcnt(0)
	v_mov_b32_e32 v4, s17
	v_add_co_u32_e32 v1, vcc, s16, v1
	v_addc_co_u32_e32 v2, vcc, v4, v2, vcc
	s_waitcnt vmcnt(0)
	buffer_wbinvl1_vol
	global_load_dword v1, v[1:2], off
	s_waitcnt vmcnt(0)
	v_mul_lo_u32 v1, v1, s20
	v_sub_u32_e32 v5, v3, v1
	v_cmp_lt_i32_e32 vcc, -1, v5
	s_and_b64 exec, exec, vcc
	s_cbranch_execz .LBB4_23
; %bb.17:
	s_lshl_b32 s4, s22, 1
	s_add_i32 s5, s4, s21
	s_and_b32 s6, s21, -2
	s_mov_b64 s[0:1], 0
	v_mov_b32_e32 v6, s17
	v_mov_b32_e32 v8, s11
	;; [unrolled: 1-line block ×3, first 2 shown]
	s_branch .LBB4_19
.LBB4_18:                               ;   in Loop: Header=BB4_19 Depth=1
	s_or_b64 exec, exec, s[2:3]
	v_sub_u32_e32 v5, v5, v1
	v_cmp_gt_i32_e32 vcc, 0, v5
	s_or_b64 s[0:1], vcc, s[0:1]
	s_andn2_b64 exec, exec, s[0:1]
	s_cbranch_execz .LBB4_23
.LBB4_19:                               ; =>This Inner Loop Header: Depth=1
	v_add_u32_e32 v3, v5, v0
	s_waitcnt vmcnt(0)
	v_ashrrev_i32_e32 v4, 31, v3
	v_lshlrev_b64 v[9:10], 2, v[3:4]
	v_add_co_u32_e32 v11, vcc, s16, v9
	v_addc_co_u32_e32 v12, vcc, v6, v10, vcc
	v_add_co_u32_e32 v9, vcc, s10, v9
	global_load_dword v1, v[11:12], off
	v_addc_co_u32_e32 v10, vcc, v8, v10, vcc
	global_load_dword v4, v[9:10], off
	s_waitcnt vmcnt(1)
	v_cmp_ne_u32_e32 vcc, 1, v1
	s_and_saveexec_b64 s[2:3], vcc
	s_xor_b64 s[2:3], exec, s[2:3]
	s_cbranch_execz .LBB4_21
; %bb.20:                               ;   in Loop: Header=BB4_19 Depth=1
	v_add_u32_e32 v11, v7, v5
	v_add_u32_e32 v1, s4, v11
	v_lshlrev_b64 v[9:10], 2, v[1:2]
	v_mov_b32_e32 v1, s9
	v_add_co_u32_e32 v9, vcc, s8, v9
	v_addc_co_u32_e32 v10, vcc, v1, v10, vcc
	v_add_u32_e32 v1, s5, v11
	v_lshlrev_b64 v[11:12], 2, v[1:2]
	v_mov_b32_e32 v1, s9
	v_add_co_u32_e32 v11, vcc, s8, v11
	v_addc_co_u32_e32 v12, vcc, v1, v12, vcc
	;; [unrolled: 5-line block ×3, first 2 shown]
	v_add_u32_e32 v1, s5, v3
	v_lshlrev_b64 v[15:16], 2, v[1:2]
	v_subrev_u32_e32 v17, s20, v5
	v_mov_b32_e32 v1, s9
	v_add_co_u32_e32 v15, vcc, s8, v15
	v_add_u32_e32 v17, v17, v0
	v_addc_co_u32_e32 v16, vcc, v1, v16, vcc
	v_add_u32_e32 v1, s4, v17
	v_lshlrev_b64 v[18:19], 2, v[1:2]
	v_mov_b32_e32 v1, s9
	v_add_co_u32_e32 v20, vcc, s8, v18
	v_addc_co_u32_e32 v21, vcc, v1, v19, vcc
	global_load_dword v19, v[9:10], off
	global_load_dword v1, v[13:14], off
	;; [unrolled: 1-line block ×3, first 2 shown]
	v_ashrrev_i32_e32 v18, 31, v17
	v_lshlrev_b64 v[9:10], 2, v[17:18]
	v_add_co_u32_e32 v9, vcc, s10, v9
	v_addc_co_u32_e32 v10, vcc, v8, v10, vcc
	s_waitcnt vmcnt(1)
	v_fma_f32 v1, -v4, v19, v1
	global_store_dword v[13:14], v1, off
	global_load_dword v1, v[15:16], off
	s_nop 0
	global_load_dword v11, v[9:10], off
	v_mov_b32_e32 v10, s9
	s_waitcnt vmcnt(1)
	v_fma_f32 v1, -v4, v22, v1
	global_store_dword v[15:16], v1, off
	global_load_dword v9, v[20:21], off
	v_add_u32_e32 v1, s5, v17
	v_lshlrev_b64 v[3:4], 2, v[1:2]
	v_add_co_u32_e32 v3, vcc, s8, v3
	v_addc_co_u32_e32 v4, vcc, v10, v4, vcc
	s_waitcnt vmcnt(0)
	v_fma_f32 v1, -v11, v19, v9
	global_store_dword v[20:21], v1, off
	global_load_dword v1, v[3:4], off
	s_waitcnt vmcnt(0)
	v_fma_f32 v1, -v11, v22, v1
	global_store_dword v[3:4], v1, off
                                        ; implicit-def: $vgpr3
                                        ; implicit-def: $vgpr4
.LBB4_21:                               ;   in Loop: Header=BB4_19 Depth=1
	s_or_saveexec_b64 s[2:3], s[2:3]
	v_mov_b32_e32 v1, s6
	s_xor_b64 exec, exec, s[2:3]
	s_cbranch_execz .LBB4_18
; %bb.22:                               ;   in Loop: Header=BB4_19 Depth=1
	v_add_u32_e32 v13, v7, v5
	v_add_u32_e32 v1, s4, v13
	v_lshlrev_b64 v[9:10], 2, v[1:2]
	v_mov_b32_e32 v1, s9
	v_add_co_u32_e32 v9, vcc, s8, v9
	v_addc_co_u32_e32 v10, vcc, v1, v10, vcc
	v_add_u32_e32 v1, s4, v3
	v_lshlrev_b64 v[11:12], 2, v[1:2]
	v_mov_b32_e32 v1, s9
	v_add_co_u32_e32 v11, vcc, s8, v11
	v_addc_co_u32_e32 v12, vcc, v1, v12, vcc
	global_load_dword v15, v[9:10], off
	global_load_dword v16, v[11:12], off
	v_add_u32_e32 v1, s5, v13
	v_lshlrev_b64 v[9:10], 2, v[1:2]
	v_add_u32_e32 v1, s5, v3
	v_mov_b32_e32 v17, s9
	v_lshlrev_b64 v[13:14], 2, v[1:2]
	v_add_co_u32_e32 v9, vcc, s8, v9
	v_addc_co_u32_e32 v10, vcc, v17, v10, vcc
	v_mov_b32_e32 v18, s9
	v_add_co_u32_e32 v13, vcc, s8, v13
	v_addc_co_u32_e32 v14, vcc, v18, v14, vcc
	s_waitcnt vmcnt(0)
	v_fma_f32 v1, -v4, v15, v16
	global_store_dword v[11:12], v1, off
	global_load_dword v1, v[9:10], off
	s_nop 0
	global_load_dword v3, v[13:14], off
	s_waitcnt vmcnt(0)
	v_fma_f32 v1, -v4, v1, v3
	global_store_dword v[13:14], v1, off
	v_mov_b32_e32 v1, s20
	s_branch .LBB4_18
.LBB4_23:
	s_endpgm
	.section	.rodata,"a",@progbits
	.p2align	6, 0x0
	.amdhsa_kernel _ZN9rocsparseL19gtsv_LBM_rhs_kernelILj256ELj2ELj2EfEEviiiPKT2_S3_S3_PS1_S3_PKi
		.amdhsa_group_segment_fixed_size 0
		.amdhsa_private_segment_fixed_size 0
		.amdhsa_kernarg_size 64
		.amdhsa_user_sgpr_count 6
		.amdhsa_user_sgpr_private_segment_buffer 1
		.amdhsa_user_sgpr_dispatch_ptr 0
		.amdhsa_user_sgpr_queue_ptr 0
		.amdhsa_user_sgpr_kernarg_segment_ptr 1
		.amdhsa_user_sgpr_dispatch_id 0
		.amdhsa_user_sgpr_flat_scratch_init 0
		.amdhsa_user_sgpr_private_segment_size 0
		.amdhsa_uses_dynamic_stack 0
		.amdhsa_system_sgpr_private_segment_wavefront_offset 0
		.amdhsa_system_sgpr_workgroup_id_x 1
		.amdhsa_system_sgpr_workgroup_id_y 1
		.amdhsa_system_sgpr_workgroup_id_z 0
		.amdhsa_system_sgpr_workgroup_info 0
		.amdhsa_system_vgpr_workitem_id 0
		.amdhsa_next_free_vgpr 23
		.amdhsa_next_free_sgpr 26
		.amdhsa_reserve_vcc 1
		.amdhsa_reserve_flat_scratch 0
		.amdhsa_float_round_mode_32 0
		.amdhsa_float_round_mode_16_64 0
		.amdhsa_float_denorm_mode_32 3
		.amdhsa_float_denorm_mode_16_64 3
		.amdhsa_dx10_clamp 1
		.amdhsa_ieee_mode 1
		.amdhsa_fp16_overflow 0
		.amdhsa_exception_fp_ieee_invalid_op 0
		.amdhsa_exception_fp_denorm_src 0
		.amdhsa_exception_fp_ieee_div_zero 0
		.amdhsa_exception_fp_ieee_overflow 0
		.amdhsa_exception_fp_ieee_underflow 0
		.amdhsa_exception_fp_ieee_inexact 0
		.amdhsa_exception_int_div_zero 0
	.end_amdhsa_kernel
	.section	.text._ZN9rocsparseL19gtsv_LBM_rhs_kernelILj256ELj2ELj2EfEEviiiPKT2_S3_S3_PS1_S3_PKi,"axG",@progbits,_ZN9rocsparseL19gtsv_LBM_rhs_kernelILj256ELj2ELj2EfEEviiiPKT2_S3_S3_PS1_S3_PKi,comdat
.Lfunc_end4:
	.size	_ZN9rocsparseL19gtsv_LBM_rhs_kernelILj256ELj2ELj2EfEEviiiPKT2_S3_S3_PS1_S3_PKi, .Lfunc_end4-_ZN9rocsparseL19gtsv_LBM_rhs_kernelILj256ELj2ELj2EfEEviiiPKT2_S3_S3_PS1_S3_PKi
                                        ; -- End function
	.set _ZN9rocsparseL19gtsv_LBM_rhs_kernelILj256ELj2ELj2EfEEviiiPKT2_S3_S3_PS1_S3_PKi.num_vgpr, 23
	.set _ZN9rocsparseL19gtsv_LBM_rhs_kernelILj256ELj2ELj2EfEEviiiPKT2_S3_S3_PS1_S3_PKi.num_agpr, 0
	.set _ZN9rocsparseL19gtsv_LBM_rhs_kernelILj256ELj2ELj2EfEEviiiPKT2_S3_S3_PS1_S3_PKi.numbered_sgpr, 26
	.set _ZN9rocsparseL19gtsv_LBM_rhs_kernelILj256ELj2ELj2EfEEviiiPKT2_S3_S3_PS1_S3_PKi.num_named_barrier, 0
	.set _ZN9rocsparseL19gtsv_LBM_rhs_kernelILj256ELj2ELj2EfEEviiiPKT2_S3_S3_PS1_S3_PKi.private_seg_size, 0
	.set _ZN9rocsparseL19gtsv_LBM_rhs_kernelILj256ELj2ELj2EfEEviiiPKT2_S3_S3_PS1_S3_PKi.uses_vcc, 1
	.set _ZN9rocsparseL19gtsv_LBM_rhs_kernelILj256ELj2ELj2EfEEviiiPKT2_S3_S3_PS1_S3_PKi.uses_flat_scratch, 0
	.set _ZN9rocsparseL19gtsv_LBM_rhs_kernelILj256ELj2ELj2EfEEviiiPKT2_S3_S3_PS1_S3_PKi.has_dyn_sized_stack, 0
	.set _ZN9rocsparseL19gtsv_LBM_rhs_kernelILj256ELj2ELj2EfEEviiiPKT2_S3_S3_PS1_S3_PKi.has_recursion, 0
	.set _ZN9rocsparseL19gtsv_LBM_rhs_kernelILj256ELj2ELj2EfEEviiiPKT2_S3_S3_PS1_S3_PKi.has_indirect_call, 0
	.section	.AMDGPU.csdata,"",@progbits
; Kernel info:
; codeLenInByte = 1720
; TotalNumSgprs: 30
; NumVgprs: 23
; ScratchSize: 0
; MemoryBound: 0
; FloatMode: 240
; IeeeMode: 1
; LDSByteSize: 0 bytes/workgroup (compile time only)
; SGPRBlocks: 3
; VGPRBlocks: 5
; NumSGPRsForWavesPerEU: 30
; NumVGPRsForWavesPerEU: 23
; Occupancy: 10
; WaveLimiterHint : 0
; COMPUTE_PGM_RSRC2:SCRATCH_EN: 0
; COMPUTE_PGM_RSRC2:USER_SGPR: 6
; COMPUTE_PGM_RSRC2:TRAP_HANDLER: 0
; COMPUTE_PGM_RSRC2:TGID_X_EN: 1
; COMPUTE_PGM_RSRC2:TGID_Y_EN: 1
; COMPUTE_PGM_RSRC2:TGID_Z_EN: 0
; COMPUTE_PGM_RSRC2:TIDIG_COMP_CNT: 0
	.section	.text._ZN9rocsparseL19gtsv_LBM_rhs_kernelILj256ELj2ELj1EfEEviiiPKT2_S3_S3_PS1_S3_PKi,"axG",@progbits,_ZN9rocsparseL19gtsv_LBM_rhs_kernelILj256ELj2ELj1EfEEviiiPKT2_S3_S3_PS1_S3_PKi,comdat
	.globl	_ZN9rocsparseL19gtsv_LBM_rhs_kernelILj256ELj2ELj1EfEEviiiPKT2_S3_S3_PS1_S3_PKi ; -- Begin function _ZN9rocsparseL19gtsv_LBM_rhs_kernelILj256ELj2ELj1EfEEviiiPKT2_S3_S3_PS1_S3_PKi
	.p2align	8
	.type	_ZN9rocsparseL19gtsv_LBM_rhs_kernelILj256ELj2ELj1EfEEviiiPKT2_S3_S3_PS1_S3_PKi,@function
_ZN9rocsparseL19gtsv_LBM_rhs_kernelILj256ELj2ELj1EfEEviiiPKT2_S3_S3_PS1_S3_PKi: ; @_ZN9rocsparseL19gtsv_LBM_rhs_kernelILj256ELj2ELj1EfEEviiiPKT2_S3_S3_PS1_S3_PKi
; %bb.0:
	s_load_dword s22, s[4:5], 0x0
	v_lshl_or_b32 v0, s6, 8, v0
	s_waitcnt lgkmcnt(0)
	s_lshr_b32 s20, s22, 1
	v_cmp_gt_i32_e32 vcc, s20, v0
	s_and_saveexec_b64 s[0:1], vcc
	s_cbranch_execz .LBB5_23
; %bb.1:
	s_load_dwordx4 s[8:11], s[4:5], 0x28
	s_load_dwordx2 s[16:17], s[4:5], 0x38
	s_cmp_lt_i32 s22, 1
	s_mul_i32 s21, s22, s7
	s_cbranch_scc1 .LBB5_15
; %bb.2:
	s_load_dwordx4 s[12:15], s[4:5], 0x10
	s_load_dwordx2 s[6:7], s[4:5], 0x20
	v_ashrrev_i32_e32 v1, 31, v0
	v_lshlrev_b64 v[1:2], 2, v[0:1]
	v_add_u32_e32 v9, s20, v0
	s_waitcnt lgkmcnt(0)
	v_mov_b32_e32 v3, s15
	v_add_co_u32_e32 v1, vcc, s14, v1
	v_addc_co_u32_e32 v2, vcc, v3, v2, vcc
	global_load_dword v12, v[1:2], off
	v_add_u32_e32 v10, s21, v9
	s_and_b32 s23, s22, 0x7ffffffe
	v_mov_b32_e32 v2, 0
	s_mov_b64 s[4:5], 0
	v_mov_b32_e32 v11, s7
	v_mov_b32_e32 v8, 0
	s_branch .LBB5_5
.LBB5_3:                                ;   in Loop: Header=BB5_5 Depth=1
	s_or_b64 exec, exec, s[18:19]
	v_fma_f32 v1, -v12, v5, v7
	v_mov_b32_e32 v14, s20
.LBB5_4:                                ;   in Loop: Header=BB5_5 Depth=1
	s_or_b64 exec, exec, s[2:3]
	v_add_u32_e32 v8, v14, v8
	v_cmp_le_i32_e32 vcc, s22, v8
	s_or_b64 s[4:5], vcc, s[4:5]
	v_mov_b32_e32 v12, v1
	s_andn2_b64 exec, exec, s[4:5]
	s_cbranch_execz .LBB5_14
.LBB5_5:                                ; =>This Inner Loop Header: Depth=1
	v_add_u32_e32 v3, v8, v0
	v_ashrrev_i32_e32 v4, 31, v3
	v_lshlrev_b64 v[4:5], 2, v[3:4]
	v_cmp_gt_u32_e64 s[0:1], s20, v8
	s_waitcnt vmcnt(0)
	v_add_co_u32_e32 v6, vcc, s6, v4
	v_addc_co_u32_e32 v7, vcc, v11, v5, vcc
	global_load_dword v14, v[6:7], off
	v_add_u32_e32 v6, v9, v8
	v_mov_b32_e32 v13, 0
	s_and_saveexec_b64 s[2:3], s[0:1]
	s_cbranch_execz .LBB5_7
; %bb.6:                                ;   in Loop: Header=BB5_5 Depth=1
	v_ashrrev_i32_e32 v7, 31, v6
	v_lshlrev_b64 v[15:16], 2, v[6:7]
	v_mov_b32_e32 v1, s13
	v_add_co_u32_e32 v15, vcc, s12, v15
	v_addc_co_u32_e32 v16, vcc, v1, v16, vcc
	global_load_dword v13, v[15:16], off
.LBB5_7:                                ;   in Loop: Header=BB5_5 Depth=1
	s_or_b64 exec, exec, s[2:3]
	v_mov_b32_e32 v7, 0
	s_and_saveexec_b64 s[2:3], s[0:1]
	s_cbranch_execz .LBB5_9
; %bb.8:                                ;   in Loop: Header=BB5_5 Depth=1
	v_ashrrev_i32_e32 v7, 31, v6
	v_lshlrev_b64 v[6:7], 2, v[6:7]
	v_mov_b32_e32 v1, s15
	v_add_co_u32_e32 v6, vcc, s14, v6
	v_addc_co_u32_e32 v7, vcc, v1, v7, vcc
	global_load_dword v7, v[6:7], off
.LBB5_9:                                ;   in Loop: Header=BB5_5 Depth=1
	s_or_b64 exec, exec, s[2:3]
	v_mov_b32_e32 v1, s17
	v_add_co_u32_e32 v4, vcc, s16, v4
	v_addc_co_u32_e32 v5, vcc, v1, v5, vcc
	v_add_u32_e32 v1, s21, v3
	global_load_dword v5, v[4:5], off
	v_lshlrev_b64 v[3:4], 2, v[1:2]
	v_mov_b32_e32 v1, s9
	v_add_co_u32_e32 v3, vcc, s8, v3
	v_addc_co_u32_e32 v4, vcc, v1, v4, vcc
	global_load_dword v6, v[3:4], off
	v_cmp_ne_u32_e32 vcc, s20, v8
	s_waitcnt vmcnt(1)
	v_cmp_ne_u32_e64 s[2:3], 1, v5
	s_and_b64 s[2:3], vcc, s[2:3]
	v_mul_f32_e32 v5, v14, v13
	s_and_saveexec_b64 s[18:19], s[2:3]
	s_xor_b64 s[2:3], exec, s[18:19]
	s_cbranch_execz .LBB5_11
; %bb.10:                               ;   in Loop: Header=BB5_5 Depth=1
	v_add_u32_e32 v1, v10, v8
	v_lshlrev_b64 v[15:16], 2, v[1:2]
	v_mov_b32_e32 v1, s9
	v_add_co_u32_e32 v15, vcc, s8, v15
	v_addc_co_u32_e32 v16, vcc, v1, v16, vcc
	global_load_dword v1, v[15:16], off
	v_fma_f32 v5, v12, v7, -v5
	v_div_scale_f32 v17, s[18:19], v5, v5, 1.0
	v_div_scale_f32 v18, vcc, 1.0, v5, 1.0
	v_rcp_f32_e32 v19, v17
	v_fma_f32 v20, -v17, v19, 1.0
	v_fmac_f32_e32 v19, v20, v19
	v_mul_f32_e32 v20, v18, v19
	v_fma_f32 v21, -v17, v20, v18
	v_fmac_f32_e32 v20, v21, v19
	v_fma_f32 v17, -v17, v20, v18
	v_div_fmas_f32 v17, v17, v19, v20
	v_div_fixup_f32 v5, v17, v5, 1.0
	s_waitcnt vmcnt(1)
	v_mul_f32_e32 v6, v5, v6
	v_mul_f32_e32 v13, v13, v6
	s_waitcnt vmcnt(0)
	v_mul_f32_e32 v1, v5, v1
	v_mul_f32_e32 v5, v14, v1
	v_fma_f32 v5, v7, v6, -v5
	v_fma_f32 v1, v12, v1, -v13
	global_store_dword v[3:4], v5, off
	global_store_dword v[15:16], v1, off
                                        ; implicit-def: $vgpr5
                                        ; implicit-def: $vgpr7
                                        ; implicit-def: $vgpr12
                                        ; implicit-def: $vgpr6
                                        ; implicit-def: $vgpr3_vgpr4
                                        ; implicit-def: $vgpr13
.LBB5_11:                               ;   in Loop: Header=BB5_5 Depth=1
	s_or_saveexec_b64 s[2:3], s[2:3]
	v_mov_b32_e32 v1, 0
	v_mov_b32_e32 v14, s23
	s_xor_b64 exec, exec, s[2:3]
	s_cbranch_execz .LBB5_4
; %bb.12:                               ;   in Loop: Header=BB5_5 Depth=1
	v_div_scale_f32 v1, s[18:19], v12, v12, 1.0
	v_div_scale_f32 v14, vcc, 1.0, v12, 1.0
	v_rcp_f32_e32 v15, v1
	v_fma_f32 v16, -v1, v15, 1.0
	v_fmac_f32_e32 v15, v16, v15
	v_mul_f32_e32 v16, v14, v15
	v_fma_f32 v17, -v1, v16, v14
	v_fmac_f32_e32 v16, v17, v15
	v_fma_f32 v1, -v1, v16, v14
	v_div_fmas_f32 v1, v1, v15, v16
	v_div_fixup_f32 v12, v1, v12, 1.0
	s_waitcnt vmcnt(0)
	v_mul_f32_e32 v6, v12, v6
	global_store_dword v[3:4], v6, off
	s_and_saveexec_b64 s[18:19], s[0:1]
	s_cbranch_execz .LBB5_3
; %bb.13:                               ;   in Loop: Header=BB5_5 Depth=1
	v_add_u32_e32 v1, v10, v8
	v_lshlrev_b64 v[3:4], 2, v[1:2]
	v_mov_b32_e32 v1, s9
	v_add_co_u32_e32 v3, vcc, s8, v3
	v_addc_co_u32_e32 v4, vcc, v1, v4, vcc
	global_load_dword v1, v[3:4], off
	s_waitcnt vmcnt(0)
	v_fma_f32 v1, -v13, v6, v1
	global_store_dword v[3:4], v1, off
	s_branch .LBB5_3
.LBB5_14:
	s_or_b64 exec, exec, s[4:5]
	s_branch .LBB5_16
.LBB5_15:
	v_mov_b32_e32 v8, 0
.LBB5_16:
	v_subrev_u32_e32 v3, s20, v8
	v_add_u32_e32 v1, v3, v0
	v_ashrrev_i32_e32 v2, 31, v1
	v_lshlrev_b64 v[1:2], 2, v[1:2]
	s_waitcnt lgkmcnt(0)
	v_mov_b32_e32 v4, s17
	v_add_co_u32_e32 v1, vcc, s16, v1
	v_addc_co_u32_e32 v2, vcc, v4, v2, vcc
	s_waitcnt vmcnt(0)
	buffer_wbinvl1_vol
	global_load_dword v1, v[1:2], off
	s_waitcnt vmcnt(0)
	v_mul_lo_u32 v1, v1, s20
	v_sub_u32_e32 v5, v3, v1
	v_cmp_lt_i32_e32 vcc, -1, v5
	s_and_b64 exec, exec, vcc
	s_cbranch_execz .LBB5_23
; %bb.17:
	s_add_i32 s0, s21, s20
	v_add_u32_e32 v6, s0, v0
	s_and_b32 s4, s22, -2
	s_mov_b64 s[0:1], 0
	v_mov_b32_e32 v7, s17
	v_mov_b32_e32 v8, s11
	v_mov_b32_e32 v2, 0
	s_branch .LBB5_19
.LBB5_18:                               ;   in Loop: Header=BB5_19 Depth=1
	s_or_b64 exec, exec, s[2:3]
	v_sub_u32_e32 v5, v5, v1
	v_cmp_gt_i32_e32 vcc, 0, v5
	s_or_b64 s[0:1], vcc, s[0:1]
	s_andn2_b64 exec, exec, s[0:1]
	s_cbranch_execz .LBB5_23
.LBB5_19:                               ; =>This Inner Loop Header: Depth=1
	v_add_u32_e32 v3, v5, v0
	s_waitcnt vmcnt(0)
	v_ashrrev_i32_e32 v4, 31, v3
	v_lshlrev_b64 v[9:10], 2, v[3:4]
	v_add_co_u32_e32 v11, vcc, s16, v9
	v_addc_co_u32_e32 v12, vcc, v7, v10, vcc
	v_add_co_u32_e32 v9, vcc, s10, v9
	global_load_dword v1, v[11:12], off
	v_addc_co_u32_e32 v10, vcc, v8, v10, vcc
	global_load_dword v4, v[9:10], off
	s_waitcnt vmcnt(1)
	v_cmp_ne_u32_e32 vcc, 1, v1
	s_and_saveexec_b64 s[2:3], vcc
	s_xor_b64 s[2:3], exec, s[2:3]
	s_cbranch_execz .LBB5_21
; %bb.20:                               ;   in Loop: Header=BB5_19 Depth=1
	v_add_u32_e32 v1, v6, v5
	v_lshlrev_b64 v[9:10], 2, v[1:2]
	v_mov_b32_e32 v1, s9
	v_add_co_u32_e32 v9, vcc, s8, v9
	v_addc_co_u32_e32 v10, vcc, v1, v10, vcc
	v_add_u32_e32 v1, s21, v3
	v_lshlrev_b64 v[11:12], 2, v[1:2]
	v_mov_b32_e32 v1, s9
	v_add_co_u32_e32 v11, vcc, s8, v11
	v_addc_co_u32_e32 v12, vcc, v1, v12, vcc
	global_load_dword v15, v[9:10], off
	global_load_dword v3, v[11:12], off
	v_subrev_u32_e32 v1, s20, v5
	v_add_u32_e32 v9, v1, v0
	v_ashrrev_i32_e32 v10, 31, v9
	v_add_u32_e32 v1, s21, v9
	v_lshlrev_b64 v[9:10], 2, v[9:10]
	v_lshlrev_b64 v[13:14], 2, v[1:2]
	v_add_co_u32_e32 v9, vcc, s10, v9
	v_addc_co_u32_e32 v10, vcc, v8, v10, vcc
	v_mov_b32_e32 v16, s9
	global_load_dword v1, v[9:10], off
	s_waitcnt vmcnt(1)
	v_fma_f32 v3, -v4, v15, v3
	global_store_dword v[11:12], v3, off
	v_add_co_u32_e32 v3, vcc, s8, v13
	v_addc_co_u32_e32 v4, vcc, v16, v14, vcc
	global_load_dword v9, v[3:4], off
	s_waitcnt vmcnt(0)
	v_fma_f32 v1, -v1, v15, v9
	global_store_dword v[3:4], v1, off
                                        ; implicit-def: $vgpr3
                                        ; implicit-def: $vgpr4
.LBB5_21:                               ;   in Loop: Header=BB5_19 Depth=1
	s_or_saveexec_b64 s[2:3], s[2:3]
	v_mov_b32_e32 v1, s4
	s_xor_b64 exec, exec, s[2:3]
	s_cbranch_execz .LBB5_18
; %bb.22:                               ;   in Loop: Header=BB5_19 Depth=1
	v_add_u32_e32 v1, v6, v5
	v_lshlrev_b64 v[9:10], 2, v[1:2]
	v_mov_b32_e32 v1, s9
	v_add_co_u32_e32 v9, vcc, s8, v9
	v_addc_co_u32_e32 v10, vcc, v1, v10, vcc
	v_add_u32_e32 v1, s21, v3
	v_lshlrev_b64 v[11:12], 2, v[1:2]
	v_mov_b32_e32 v1, s9
	v_add_co_u32_e32 v11, vcc, s8, v11
	v_addc_co_u32_e32 v12, vcc, v1, v12, vcc
	global_load_dword v1, v[9:10], off
	global_load_dword v3, v[11:12], off
	s_waitcnt vmcnt(0)
	v_fma_f32 v1, -v4, v1, v3
	global_store_dword v[11:12], v1, off
	v_mov_b32_e32 v1, s20
	s_branch .LBB5_18
.LBB5_23:
	s_endpgm
	.section	.rodata,"a",@progbits
	.p2align	6, 0x0
	.amdhsa_kernel _ZN9rocsparseL19gtsv_LBM_rhs_kernelILj256ELj2ELj1EfEEviiiPKT2_S3_S3_PS1_S3_PKi
		.amdhsa_group_segment_fixed_size 0
		.amdhsa_private_segment_fixed_size 0
		.amdhsa_kernarg_size 64
		.amdhsa_user_sgpr_count 6
		.amdhsa_user_sgpr_private_segment_buffer 1
		.amdhsa_user_sgpr_dispatch_ptr 0
		.amdhsa_user_sgpr_queue_ptr 0
		.amdhsa_user_sgpr_kernarg_segment_ptr 1
		.amdhsa_user_sgpr_dispatch_id 0
		.amdhsa_user_sgpr_flat_scratch_init 0
		.amdhsa_user_sgpr_private_segment_size 0
		.amdhsa_uses_dynamic_stack 0
		.amdhsa_system_sgpr_private_segment_wavefront_offset 0
		.amdhsa_system_sgpr_workgroup_id_x 1
		.amdhsa_system_sgpr_workgroup_id_y 1
		.amdhsa_system_sgpr_workgroup_id_z 0
		.amdhsa_system_sgpr_workgroup_info 0
		.amdhsa_system_vgpr_workitem_id 0
		.amdhsa_next_free_vgpr 22
		.amdhsa_next_free_sgpr 24
		.amdhsa_reserve_vcc 1
		.amdhsa_reserve_flat_scratch 0
		.amdhsa_float_round_mode_32 0
		.amdhsa_float_round_mode_16_64 0
		.amdhsa_float_denorm_mode_32 3
		.amdhsa_float_denorm_mode_16_64 3
		.amdhsa_dx10_clamp 1
		.amdhsa_ieee_mode 1
		.amdhsa_fp16_overflow 0
		.amdhsa_exception_fp_ieee_invalid_op 0
		.amdhsa_exception_fp_denorm_src 0
		.amdhsa_exception_fp_ieee_div_zero 0
		.amdhsa_exception_fp_ieee_overflow 0
		.amdhsa_exception_fp_ieee_underflow 0
		.amdhsa_exception_fp_ieee_inexact 0
		.amdhsa_exception_int_div_zero 0
	.end_amdhsa_kernel
	.section	.text._ZN9rocsparseL19gtsv_LBM_rhs_kernelILj256ELj2ELj1EfEEviiiPKT2_S3_S3_PS1_S3_PKi,"axG",@progbits,_ZN9rocsparseL19gtsv_LBM_rhs_kernelILj256ELj2ELj1EfEEviiiPKT2_S3_S3_PS1_S3_PKi,comdat
.Lfunc_end5:
	.size	_ZN9rocsparseL19gtsv_LBM_rhs_kernelILj256ELj2ELj1EfEEviiiPKT2_S3_S3_PS1_S3_PKi, .Lfunc_end5-_ZN9rocsparseL19gtsv_LBM_rhs_kernelILj256ELj2ELj1EfEEviiiPKT2_S3_S3_PS1_S3_PKi
                                        ; -- End function
	.set _ZN9rocsparseL19gtsv_LBM_rhs_kernelILj256ELj2ELj1EfEEviiiPKT2_S3_S3_PS1_S3_PKi.num_vgpr, 22
	.set _ZN9rocsparseL19gtsv_LBM_rhs_kernelILj256ELj2ELj1EfEEviiiPKT2_S3_S3_PS1_S3_PKi.num_agpr, 0
	.set _ZN9rocsparseL19gtsv_LBM_rhs_kernelILj256ELj2ELj1EfEEviiiPKT2_S3_S3_PS1_S3_PKi.numbered_sgpr, 24
	.set _ZN9rocsparseL19gtsv_LBM_rhs_kernelILj256ELj2ELj1EfEEviiiPKT2_S3_S3_PS1_S3_PKi.num_named_barrier, 0
	.set _ZN9rocsparseL19gtsv_LBM_rhs_kernelILj256ELj2ELj1EfEEviiiPKT2_S3_S3_PS1_S3_PKi.private_seg_size, 0
	.set _ZN9rocsparseL19gtsv_LBM_rhs_kernelILj256ELj2ELj1EfEEviiiPKT2_S3_S3_PS1_S3_PKi.uses_vcc, 1
	.set _ZN9rocsparseL19gtsv_LBM_rhs_kernelILj256ELj2ELj1EfEEviiiPKT2_S3_S3_PS1_S3_PKi.uses_flat_scratch, 0
	.set _ZN9rocsparseL19gtsv_LBM_rhs_kernelILj256ELj2ELj1EfEEviiiPKT2_S3_S3_PS1_S3_PKi.has_dyn_sized_stack, 0
	.set _ZN9rocsparseL19gtsv_LBM_rhs_kernelILj256ELj2ELj1EfEEviiiPKT2_S3_S3_PS1_S3_PKi.has_recursion, 0
	.set _ZN9rocsparseL19gtsv_LBM_rhs_kernelILj256ELj2ELj1EfEEviiiPKT2_S3_S3_PS1_S3_PKi.has_indirect_call, 0
	.section	.AMDGPU.csdata,"",@progbits
; Kernel info:
; codeLenInByte = 1276
; TotalNumSgprs: 28
; NumVgprs: 22
; ScratchSize: 0
; MemoryBound: 0
; FloatMode: 240
; IeeeMode: 1
; LDSByteSize: 0 bytes/workgroup (compile time only)
; SGPRBlocks: 3
; VGPRBlocks: 5
; NumSGPRsForWavesPerEU: 28
; NumVGPRsForWavesPerEU: 22
; Occupancy: 10
; WaveLimiterHint : 0
; COMPUTE_PGM_RSRC2:SCRATCH_EN: 0
; COMPUTE_PGM_RSRC2:USER_SGPR: 6
; COMPUTE_PGM_RSRC2:TRAP_HANDLER: 0
; COMPUTE_PGM_RSRC2:TGID_X_EN: 1
; COMPUTE_PGM_RSRC2:TGID_Y_EN: 1
; COMPUTE_PGM_RSRC2:TGID_Z_EN: 0
; COMPUTE_PGM_RSRC2:TIDIG_COMP_CNT: 0
	.section	.text._ZN9rocsparseL29gtsv_spike_block_level_kernelILj256ELj2EfEEviiiPT1_PKS1_S4_S2_S2_S2_S2_S2_,"axG",@progbits,_ZN9rocsparseL29gtsv_spike_block_level_kernelILj256ELj2EfEEviiiPT1_PKS1_S4_S2_S2_S2_S2_S2_,comdat
	.globl	_ZN9rocsparseL29gtsv_spike_block_level_kernelILj256ELj2EfEEviiiPT1_PKS1_S4_S2_S2_S2_S2_S2_ ; -- Begin function _ZN9rocsparseL29gtsv_spike_block_level_kernelILj256ELj2EfEEviiiPT1_PKS1_S4_S2_S2_S2_S2_S2_
	.p2align	8
	.type	_ZN9rocsparseL29gtsv_spike_block_level_kernelILj256ELj2EfEEviiiPT1_PKS1_S4_S2_S2_S2_S2_S2_,@function
_ZN9rocsparseL29gtsv_spike_block_level_kernelILj256ELj2EfEEviiiPT1_PKS1_S4_S2_S2_S2_S2_S2_: ; @_ZN9rocsparseL29gtsv_spike_block_level_kernelILj256ELj2EfEEviiiPT1_PKS1_S4_S2_S2_S2_S2_S2_
; %bb.0:
	s_load_dword s19, s[4:5], 0x0
	s_load_dwordx2 s[8:9], s[4:5], 0x18
	v_lshl_or_b32 v2, s6, 8, v0
	v_mov_b32_e32 v4, 0
	v_mov_b32_e32 v1, 0
	s_waitcnt lgkmcnt(0)
	s_lshr_b32 s18, s19, 1
	v_cmp_gt_i32_e64 s[0:1], s18, v2
	s_and_saveexec_b64 s[2:3], s[0:1]
	s_cbranch_execz .LBB6_2
; %bb.1:
	v_ashrrev_i32_e32 v3, 31, v2
	v_lshlrev_b64 v[5:6], 2, v[2:3]
	v_mov_b32_e32 v1, s9
	v_add_co_u32_e32 v5, vcc, s8, v5
	v_addc_co_u32_e32 v6, vcc, v1, v6, vcc
	global_load_dword v1, v[5:6], off
.LBB6_2:
	s_or_b64 exec, exec, s[2:3]
	s_load_dwordx2 s[2:3], s[4:5], 0x20
	v_lshlrev_b32_e32 v6, 2, v0
	v_or_b32_e32 v7, 0x800, v6
	s_waitcnt vmcnt(0)
	ds_write_b32 v6, v1 offset:2048
	v_add_u32_e32 v1, s18, v2
	s_and_saveexec_b64 s[10:11], s[0:1]
	s_cbranch_execz .LBB6_4
; %bb.3:
	v_add_u32_e32 v3, s18, v2
	v_mov_b32_e32 v4, 0
	v_lshlrev_b64 v[3:4], 2, v[3:4]
	v_mov_b32_e32 v5, s9
	v_add_co_u32_e32 v3, vcc, s8, v3
	v_addc_co_u32_e32 v4, vcc, v5, v4, vcc
	global_load_dword v4, v[3:4], off
.LBB6_4:
	s_or_b64 exec, exec, s[10:11]
	s_waitcnt vmcnt(0)
	ds_write_b32 v7, v4 offset:1024
	v_mov_b32_e32 v4, 0
	v_mov_b32_e32 v3, 0
	s_and_saveexec_b64 s[8:9], s[0:1]
	s_cbranch_execz .LBB6_6
; %bb.5:
	v_ashrrev_i32_e32 v3, 31, v2
	v_lshlrev_b64 v[8:9], 2, v[2:3]
	s_waitcnt lgkmcnt(0)
	v_mov_b32_e32 v3, s3
	v_add_co_u32_e32 v8, vcc, s2, v8
	v_addc_co_u32_e32 v9, vcc, v3, v9, vcc
	global_load_dword v3, v[8:9], off
.LBB6_6:
	s_or_b64 exec, exec, s[8:9]
	s_load_dwordx2 s[12:13], s[4:5], 0x10
	s_waitcnt vmcnt(0)
	ds_write_b32 v6, v3
	s_and_saveexec_b64 s[8:9], s[0:1]
	s_cbranch_execz .LBB6_8
; %bb.7:
	v_add_u32_e32 v3, s18, v2
	v_mov_b32_e32 v4, 0
	v_lshlrev_b64 v[3:4], 2, v[3:4]
	s_waitcnt lgkmcnt(0)
	v_mov_b32_e32 v5, s3
	v_add_co_u32_e32 v3, vcc, s2, v3
	v_addc_co_u32_e32 v4, vcc, v5, v4, vcc
	global_load_dword v4, v[3:4], off
.LBB6_8:
	s_or_b64 exec, exec, s[8:9]
	s_mul_i32 s19, s19, s7
	s_waitcnt vmcnt(0)
	ds_write_b32 v6, v4 offset:1024
	v_mov_b32_e32 v3, 0
	v_add_u32_e32 v4, s19, v2
	v_mov_b32_e32 v8, 0
	s_waitcnt lgkmcnt(0)
	s_and_saveexec_b64 s[2:3], s[0:1]
	s_cbranch_execz .LBB6_10
; %bb.9:
	v_ashrrev_i32_e32 v5, 31, v4
	v_lshlrev_b64 v[8:9], 2, v[4:5]
	v_mov_b32_e32 v5, s13
	v_add_co_u32_e32 v8, vcc, s12, v8
	v_addc_co_u32_e32 v9, vcc, v5, v9, vcc
	global_load_dword v8, v[8:9], off
.LBB6_10:
	s_or_b64 exec, exec, s[2:3]
	v_or_b32_e32 v5, 0x1000, v6
	s_waitcnt vmcnt(0)
	ds_write_b32 v6, v8 offset:4096
	s_and_saveexec_b64 s[2:3], s[0:1]
	s_cbranch_execz .LBB6_12
; %bb.11:
	s_add_i32 s8, s19, s18
	v_add_u32_e32 v8, s8, v2
	v_mov_b32_e32 v9, 0
	v_lshlrev_b64 v[8:9], 2, v[8:9]
	v_mov_b32_e32 v3, s13
	v_add_co_u32_e32 v8, vcc, s12, v8
	v_addc_co_u32_e32 v9, vcc, v3, v9, vcc
	global_load_dword v3, v[8:9], off
.LBB6_12:
	s_or_b64 exec, exec, s[2:3]
	s_movk_i32 s2, 0x80
	v_cmp_gt_u32_e32 vcc, s2, v0
	s_waitcnt vmcnt(0)
	ds_write_b32 v5, v3 offset:1024
	s_waitcnt lgkmcnt(0)
	s_barrier
	s_and_saveexec_b64 s[2:3], vcc
	s_cbranch_execz .LBB6_14
; %bb.13:
	v_add_u32_e32 v3, v7, v6
	v_add_u32_e32 v20, v6, v6
	ds_read2st64_b64 v[8:11], v3 offset1:2
	ds_read2st64_b64 v[12:15], v20 offset1:2
	v_add_u32_e32 v23, v5, v6
	s_waitcnt lgkmcnt(0)
	v_fma_f32 v21, -v9, v14, 1.0
	v_div_scale_f32 v16, s[8:9], v21, v21, 1.0
	v_div_scale_f32 v17, vcc, 1.0, v21, 1.0
	v_rcp_f32_e32 v18, v16
	v_fma_f32 v19, -v16, v18, 1.0
	v_fmac_f32_e32 v18, v19, v18
	v_mul_f32_e32 v19, v17, v18
	v_fma_f32 v22, -v16, v19, v17
	v_fmac_f32_e32 v19, v22, v18
	v_fma_f32 v16, -v16, v19, v17
	v_div_fmas_f32 v22, v16, v18, v19
	ds_read2st64_b64 v[16:19], v23 offset1:2
	s_waitcnt lgkmcnt(0)
	v_fma_f32 v24, -v9, v18, v17
	v_fma_f32 v18, -v14, v17, v18
	v_mul_f32_e32 v9, v9, v10
	v_mul_f32_e32 v14, v14, v13
	v_div_fixup_f32 v21, v22, v21, 1.0
	v_mul_f32_e32 v17, v24, v21
	v_mul_f32_e32 v18, v21, v18
	v_fma_f32 v16, -v17, v12, v16
	v_fma_f32 v19, -v11, v18, v19
	v_mul_f32_e64 v9, v9, -v21
	v_mul_f32_e32 v13, v21, v13
	v_mul_f32_e64 v14, v14, -v21
	v_mul_f32_e32 v10, v21, v10
	v_fma_f32 v8, -v9, v12, v8
	v_mul_f32_e64 v12, v13, -v12
	v_fma_f32 v15, -v14, v11, v15
	v_mul_f32_e64 v11, v10, -v11
	ds_write2st64_b64 v23, v[16:17], v[18:19] offset1:2
	ds_write2st64_b64 v20, v[12:13], v[14:15] offset1:2
	;; [unrolled: 1-line block ×3, first 2 shown]
.LBB6_14:
	s_or_b64 exec, exec, s[2:3]
	v_cmp_gt_u32_e32 vcc, 64, v0
	s_waitcnt lgkmcnt(0)
	s_barrier
	s_and_saveexec_b64 s[2:3], vcc
	s_cbranch_execz .LBB6_16
; %bb.15:
	v_lshlrev_b32_e32 v3, 4, v0
	v_add_u32_e32 v19, 0x800, v3
	v_add_u32_e32 v20, 0x400, v3
	ds_read2_b32 v[8:9], v19 offset1:2
	ds_read2_b32 v[10:11], v20 offset0:1 offset1:3
	s_waitcnt lgkmcnt(0)
	v_fma_f32 v12, -v9, v10, 1.0
	v_div_scale_f32 v13, s[8:9], v12, v12, 1.0
	v_rcp_f32_e32 v14, v13
	v_fma_f32 v15, -v13, v14, 1.0
	v_fmac_f32_e32 v14, v15, v14
	v_div_scale_f32 v15, vcc, 1.0, v12, 1.0
	v_mul_f32_e32 v16, v15, v14
	v_fma_f32 v17, -v13, v16, v15
	v_fmac_f32_e32 v16, v17, v14
	v_fma_f32 v13, -v13, v16, v15
	v_div_fmas_f32 v13, v13, v14, v16
	v_mad_u32_u24 v17, v0, 12, v5
	v_add_u32_e32 v22, 0x400, v17
	v_div_fixup_f32 v21, v13, v12, 1.0
	ds_read2_b32 v[12:13], v22 offset0:1 offset1:3
	ds_read2_b32 v[14:15], v17 offset1:2
	s_waitcnt lgkmcnt(0)
	v_fma_f32 v16, -v10, v15, v12
	v_mul_f32_e32 v23, v21, v16
	v_fma_f32 v12, -v9, v12, v15
	ds_read2_b32 v[15:16], v3 offset1:2
	v_mul_f32_e32 v12, v12, v21
	s_waitcnt lgkmcnt(0)
	v_fma_f32 v14, -v12, v15, v14
	ds_write2_b32 v17, v14, v12 offset1:2
	v_add_u32_e32 v12, 0xc00, v3
	ds_read2_b32 v[17:18], v12 offset0:1 offset1:3
	v_mul_f32_e32 v10, v10, v16
	v_mul_f32_e64 v10, v10, -v21
	s_waitcnt lgkmcnt(0)
	v_mul_f32_e32 v9, v9, v17
	v_fma_f32 v13, -v18, v23, v13
	v_mul_f32_e64 v9, v9, -v21
	ds_write2_b32 v22, v23, v13 offset0:1 offset1:3
	v_mul_f32_e32 v13, v21, v16
	v_fma_f32 v8, -v9, v15, v8
	ds_write2_b32 v19, v8, v9 offset1:2
	v_mul_f32_e64 v8, v13, -v15
	v_mul_f32_e32 v14, v21, v17
	ds_write2_b32 v3, v8, v13 offset1:2
	v_fma_f32 v3, -v10, v18, v11
	ds_write2_b32 v20, v10, v3 offset0:1 offset1:3
	v_mul_f32_e64 v3, v14, -v18
	ds_write2_b32 v12, v14, v3 offset0:1 offset1:3
.LBB6_16:
	s_or_b64 exec, exec, s[2:3]
	v_cmp_gt_u32_e32 vcc, 32, v0
	s_waitcnt lgkmcnt(0)
	s_barrier
	s_and_saveexec_b64 s[2:3], vcc
	s_cbranch_execz .LBB6_18
; %bb.17:
	v_lshlrev_b32_e32 v3, 5, v0
	v_add_u32_e32 v19, 0x800, v3
	v_add_u32_e32 v20, 0x400, v3
	ds_read2_b32 v[8:9], v19 offset1:4
	ds_read2_b32 v[10:11], v20 offset0:3 offset1:7
	v_add_u32_e32 v22, 0x1400, v3
	s_waitcnt lgkmcnt(0)
	v_fma_f32 v12, -v9, v10, 1.0
	v_div_scale_f32 v13, s[8:9], v12, v12, 1.0
	v_rcp_f32_e32 v14, v13
	v_fma_f32 v15, -v13, v14, 1.0
	v_fmac_f32_e32 v14, v15, v14
	v_div_scale_f32 v15, vcc, 1.0, v12, 1.0
	v_mul_f32_e32 v16, v15, v14
	v_fma_f32 v17, -v13, v16, v15
	v_fmac_f32_e32 v16, v17, v14
	v_fma_f32 v13, -v13, v16, v15
	v_div_fmas_f32 v13, v13, v14, v16
	v_add_u32_e32 v17, 0x1000, v3
	ds_read2_b32 v[14:15], v17 offset1:4
	v_div_fixup_f32 v21, v13, v12, 1.0
	ds_read2_b32 v[12:13], v22 offset0:3 offset1:7
	s_waitcnt lgkmcnt(0)
	v_fma_f32 v16, -v10, v15, v12
	v_mul_f32_e32 v23, v21, v16
	v_fma_f32 v12, -v9, v12, v15
	ds_read2_b32 v[15:16], v3 offset1:4
	v_mul_f32_e32 v12, v12, v21
	s_waitcnt lgkmcnt(0)
	v_fma_f32 v14, -v12, v15, v14
	ds_write2_b32 v17, v14, v12 offset1:4
	v_add_u32_e32 v12, 0xc00, v3
	ds_read2_b32 v[17:18], v12 offset0:3 offset1:7
	v_mul_f32_e32 v10, v10, v16
	v_mul_f32_e64 v10, v10, -v21
	s_waitcnt lgkmcnt(0)
	v_mul_f32_e32 v9, v9, v17
	v_fma_f32 v13, -v18, v23, v13
	v_mul_f32_e64 v9, v9, -v21
	ds_write2_b32 v22, v23, v13 offset0:3 offset1:7
	v_mul_f32_e32 v13, v21, v16
	v_fma_f32 v8, -v9, v15, v8
	ds_write2_b32 v19, v8, v9 offset1:4
	v_mul_f32_e64 v8, v13, -v15
	v_mul_f32_e32 v14, v21, v17
	ds_write2_b32 v3, v8, v13 offset1:4
	v_fma_f32 v3, -v10, v18, v11
	ds_write2_b32 v20, v10, v3 offset0:3 offset1:7
	v_mul_f32_e64 v3, v14, -v18
	ds_write2_b32 v12, v14, v3 offset0:3 offset1:7
.LBB6_18:
	s_or_b64 exec, exec, s[2:3]
	v_cmp_gt_u32_e32 vcc, 16, v0
	s_waitcnt lgkmcnt(0)
	s_barrier
	s_and_saveexec_b64 s[2:3], vcc
	s_cbranch_execz .LBB6_20
; %bb.19:
	v_lshlrev_b32_e32 v3, 6, v0
	v_add_u32_e32 v19, 0x800, v3
	v_add_u32_e32 v20, 0x400, v3
	ds_read2_b32 v[8:9], v19 offset1:8
	ds_read2_b32 v[10:11], v20 offset0:7 offset1:15
	v_add_u32_e32 v22, 0x1400, v3
	s_waitcnt lgkmcnt(0)
	v_fma_f32 v12, -v9, v10, 1.0
	v_div_scale_f32 v13, s[8:9], v12, v12, 1.0
	v_rcp_f32_e32 v14, v13
	v_fma_f32 v15, -v13, v14, 1.0
	v_fmac_f32_e32 v14, v15, v14
	v_div_scale_f32 v15, vcc, 1.0, v12, 1.0
	v_mul_f32_e32 v16, v15, v14
	v_fma_f32 v17, -v13, v16, v15
	v_fmac_f32_e32 v16, v17, v14
	v_fma_f32 v13, -v13, v16, v15
	v_div_fmas_f32 v13, v13, v14, v16
	v_add_u32_e32 v17, 0x1000, v3
	ds_read2_b32 v[14:15], v17 offset1:8
	v_div_fixup_f32 v21, v13, v12, 1.0
	ds_read2_b32 v[12:13], v22 offset0:7 offset1:15
	s_waitcnt lgkmcnt(0)
	v_fma_f32 v16, -v10, v15, v12
	v_mul_f32_e32 v23, v21, v16
	v_fma_f32 v12, -v9, v12, v15
	ds_read2_b32 v[15:16], v3 offset1:8
	v_mul_f32_e32 v12, v12, v21
	s_waitcnt lgkmcnt(0)
	v_fma_f32 v14, -v12, v15, v14
	ds_write2_b32 v17, v14, v12 offset1:8
	v_add_u32_e32 v12, 0xc00, v3
	ds_read2_b32 v[17:18], v12 offset0:7 offset1:15
	v_mul_f32_e32 v10, v10, v16
	v_mul_f32_e64 v10, v10, -v21
	s_waitcnt lgkmcnt(0)
	v_mul_f32_e32 v9, v9, v17
	v_fma_f32 v13, -v18, v23, v13
	v_mul_f32_e64 v9, v9, -v21
	ds_write2_b32 v22, v23, v13 offset0:7 offset1:15
	v_mul_f32_e32 v13, v21, v16
	v_fma_f32 v8, -v9, v15, v8
	ds_write2_b32 v19, v8, v9 offset1:8
	v_mul_f32_e64 v8, v13, -v15
	v_mul_f32_e32 v14, v21, v17
	ds_write2_b32 v3, v8, v13 offset1:8
	v_fma_f32 v3, -v10, v18, v11
	ds_write2_b32 v20, v10, v3 offset0:7 offset1:15
	v_mul_f32_e64 v3, v14, -v18
	ds_write2_b32 v12, v14, v3 offset0:7 offset1:15
.LBB6_20:
	;; [unrolled: 58-line block ×4, first 2 shown]
	s_or_b64 exec, exec, s[2:3]
	v_cmp_gt_u32_e32 vcc, 2, v0
	s_waitcnt lgkmcnt(0)
	s_barrier
	s_and_saveexec_b64 s[2:3], vcc
	s_cbranch_execz .LBB6_26
; %bb.25:
	v_lshlrev_b32_e32 v3, 9, v0
	v_add_u32_e32 v20, 0xfc, v3
	ds_read2st64_b32 v[8:9], v20 offset0:4 offset1:5
	ds_read2st64_b32 v[10:11], v3 offset0:8 offset1:9
	;; [unrolled: 1-line block ×3, first 2 shown]
	ds_read2st64_b32 v[14:15], v3 offset1:1
	ds_read2st64_b32 v[16:17], v20 offset0:12 offset1:13
	s_waitcnt lgkmcnt(3)
	v_fma_f32 v21, -v11, v8, 1.0
	v_div_scale_f32 v18, s[8:9], v21, v21, 1.0
	v_div_scale_f32 v19, vcc, 1.0, v21, 1.0
	v_rcp_f32_e32 v22, v18
	v_fma_f32 v23, -v18, v22, 1.0
	v_fmac_f32_e32 v22, v23, v22
	v_mul_f32_e32 v23, v19, v22
	v_fma_f32 v24, -v18, v23, v19
	v_fmac_f32_e32 v23, v24, v22
	v_fma_f32 v18, -v18, v23, v19
	v_div_fmas_f32 v22, v18, v22, v23
	ds_read2st64_b32 v[18:19], v20 offset0:20 offset1:21
	s_waitcnt lgkmcnt(0)
	v_fma_f32 v23, -v8, v13, v18
	v_fma_f32 v13, -v11, v18, v13
	v_mul_f32_e32 v8, v8, v15
	v_mul_f32_e32 v11, v11, v16
	v_div_fixup_f32 v18, v22, v21, 1.0
	v_mul_f32_e32 v13, v13, v18
	v_mul_f32_e32 v21, v18, v23
	v_mul_f32_e64 v8, v8, -v18
	v_mul_f32_e32 v15, v18, v15
	v_mul_f32_e64 v11, v11, -v18
	v_mul_f32_e32 v16, v18, v16
	v_fma_f32 v12, -v13, v14, v12
	v_fma_f32 v18, -v17, v21, v19
	;; [unrolled: 1-line block ×3, first 2 shown]
	v_mul_f32_e64 v14, v15, -v14
	v_fma_f32 v9, -v8, v17, v9
	v_mul_f32_e64 v17, v16, -v17
	ds_write2st64_b32 v3, v12, v13 offset0:16 offset1:17
	ds_write2st64_b32 v20, v21, v18 offset0:20 offset1:21
	;; [unrolled: 1-line block ×3, first 2 shown]
	ds_write2st64_b32 v3, v14, v15 offset1:1
	ds_write2st64_b32 v20, v8, v9 offset0:4 offset1:5
	ds_write2st64_b32 v20, v16, v17 offset0:12 offset1:13
.LBB6_26:
	s_or_b64 exec, exec, s[2:3]
	v_cmp_eq_u32_e64 s[2:3], 0, v0
	s_waitcnt lgkmcnt(0)
	s_barrier
	s_and_saveexec_b64 s[8:9], s[2:3]
	s_cbranch_execz .LBB6_28
; %bb.27:
	s_movk_i32 s10, 0xa00
	v_add_u32_e64 v3, s10, 0
	v_mov_b32_e32 v0, 0
	ds_read2_b32 v[8:9], v3 offset1:255
	ds_read_b32 v18, v0 offset:1532
	v_mov_b32_e32 v19, 0x7fc
	ds_read2_b32 v[10:11], v19 offset1:1
	ds_read_b32 v20, v0 offset:6140
	v_mov_b32_e32 v24, 0xffc
	s_waitcnt lgkmcnt(2)
	v_fma_f32 v21, -v8, v18, 1.0
	v_div_scale_f32 v12, s[10:11], v21, v21, 1.0
	v_div_scale_f32 v13, vcc, 1.0, v21, 1.0
	s_movk_i32 s10, 0x1200
	v_add_u32_e64 v23, s10, 0
	v_rcp_f32_e32 v14, v12
	v_fma_f32 v15, -v12, v14, 1.0
	v_fmac_f32_e32 v14, v15, v14
	v_mul_f32_e32 v15, v13, v14
	v_fma_f32 v16, -v12, v15, v13
	v_fmac_f32_e32 v15, v16, v14
	v_fma_f32 v12, -v12, v15, v13
	v_div_fmas_f32 v22, v12, v14, v15
	ds_read2st64_b32 v[12:13], v0 offset1:2
	ds_read2_b32 v[14:15], v23 offset1:255
	ds_read2_b32 v[16:17], v24 offset1:1
	s_waitcnt lgkmcnt(2)
	v_mul_f32_e32 v25, v18, v13
	s_waitcnt lgkmcnt(1)
	v_fma_f32 v18, -v18, v14, v15
	v_fma_f32 v14, -v8, v15, v14
	v_mul_f32_e32 v8, v8, v9
	v_div_fixup_f32 v15, v22, v21, 1.0
	v_mul_f32_e32 v18, v15, v18
	v_mul_f32_e32 v14, v14, v15
	v_mul_f32_e64 v21, v25, -v15
	v_mul_f32_e32 v13, v15, v13
	v_mul_f32_e64 v8, v8, -v15
	v_mul_f32_e32 v9, v15, v9
	s_waitcnt lgkmcnt(0)
	v_fma_f32 v15, -v16, v18, v20
	ds_write2_b32 v23, v14, v18 offset1:255
	v_fma_f32 v14, -v14, v12, v17
	ds_write_b32 v0, v21 offset:1532
	ds_write2_b32 v3, v8, v9 offset1:255
	v_fma_f32 v3, -v8, v12, v11
	v_mul_f32_e64 v8, v13, -v12
	v_fma_f32 v10, -v21, v16, v10
	v_mul_f32_e64 v9, v9, -v16
	ds_write_b32 v0, v15 offset:6140
	ds_write2st64_b32 v0, v8, v13 offset1:2
	ds_write2_b32 v19, v10, v3 offset1:1
	ds_write2_b32 v24, v9, v14 offset1:1
.LBB6_28:
	s_or_b64 exec, exec, s[8:9]
	s_load_dwordx2 s[14:15], s[4:5], 0x48
	s_load_dwordx4 s[8:11], s[4:5], 0x38
	s_waitcnt lgkmcnt(0)
	s_barrier
	s_and_saveexec_b64 s[16:17], s[0:1]
	s_cbranch_execnz .LBB6_31
; %bb.29:
	s_or_b64 exec, exec, s[16:17]
	s_and_saveexec_b64 s[0:1], s[2:3]
	s_cbranch_execnz .LBB6_35
.LBB6_30:
	s_endpgm
.LBB6_31:
	s_cmp_eq_u32 s7, 0
	s_cbranch_scc1 .LBB6_39
; %bb.32:
	v_add_u32_e32 v0, s18, v2
	s_cbranch_execnz .LBB6_34
.LBB6_33:
	s_load_dwordx4 s[20:23], s[4:5], 0x28
	ds_read2st64_b32 v[7:8], v7 offset1:4
	v_ashrrev_i32_e32 v3, 31, v2
	v_lshlrev_b64 v[9:10], 2, v[2:3]
	s_waitcnt lgkmcnt(0)
	v_mov_b32_e32 v0, s21
	v_add_co_u32_e32 v2, vcc, s20, v9
	v_addc_co_u32_e32 v3, vcc, v0, v10, vcc
	global_store_dword v[2:3], v7, off
	v_mov_b32_e32 v2, 0
	v_lshlrev_b64 v[2:3], 2, v[1:2]
	ds_read2st64_b32 v[6:7], v6 offset1:4
	v_add_co_u32_e32 v11, vcc, s20, v2
	v_addc_co_u32_e32 v12, vcc, v0, v3, vcc
	global_store_dword v[11:12], v8, off
	v_mov_b32_e32 v0, s23
	v_add_co_u32_e32 v8, vcc, s22, v9
	v_addc_co_u32_e32 v9, vcc, v0, v10, vcc
	v_add_co_u32_e32 v2, vcc, s22, v2
	v_addc_co_u32_e32 v3, vcc, v0, v3, vcc
	v_mov_b32_e32 v0, v1
	s_waitcnt lgkmcnt(0)
	global_store_dword v[8:9], v6, off
	global_store_dword v[2:3], v7, off
.LBB6_34:
	ds_read2st64_b32 v[1:2], v5 offset1:4
	v_ashrrev_i32_e32 v5, 31, v4
	v_lshlrev_b64 v[3:4], 2, v[4:5]
	v_mov_b32_e32 v5, s13
	v_add_co_u32_e32 v3, vcc, s12, v3
	v_addc_co_u32_e32 v4, vcc, v5, v4, vcc
	s_waitcnt lgkmcnt(0)
	global_store_dword v[3:4], v1, off
	v_add_u32_e32 v0, s19, v0
	v_mov_b32_e32 v1, 0
	v_lshlrev_b64 v[0:1], 2, v[0:1]
	v_mov_b32_e32 v3, s13
	v_add_co_u32_e32 v0, vcc, s12, v0
	v_addc_co_u32_e32 v1, vcc, v3, v1, vcc
	global_store_dword v[0:1], v2, off
	s_or_b64 exec, exec, s[16:17]
	s_and_saveexec_b64 s[0:1], s[2:3]
	s_cbranch_execz .LBB6_30
.LBB6_35:
	s_cmp_eq_u32 s7, 0
	s_cbranch_scc1 .LBB6_40
; %bb.36:
	s_load_dword s2, s[4:5], 0x50
	s_cbranch_execnz .LBB6_38
.LBB6_37:
	v_mov_b32_e32 v0, 0x7fc
	ds_read2_b32 v[0:1], v0 offset1:1
	s_waitcnt lgkmcnt(0)
	s_load_dword s2, s[4:5], 0x50
	s_mov_b32 s0, s7
	s_ashr_i32 s7, s6, 31
	s_lshl_b64 s[12:13], s[6:7], 2
	s_mov_b32 s7, s0
	s_add_u32 s0, s10, s12
	s_addc_u32 s1, s11, s13
	v_mov_b32_e32 v2, 0
	ds_read_b32 v3, v2 offset:4092
	ds_read_b32 v4, v2
	global_store_dword v2, v1, s[0:1]
	s_waitcnt lgkmcnt(0)
	s_add_i32 s0, s2, s6
	s_mov_b32 s1, 0
	s_lshl_b64 s[0:1], s[0:1], 2
	s_add_u32 s4, s10, s0
	s_addc_u32 s5, s11, s1
	global_store_dword v2, v3, s[4:5]
	s_add_u32 s4, s14, s12
	s_addc_u32 s5, s15, s13
	s_add_u32 s0, s14, s0
	s_addc_u32 s1, s15, s1
	global_store_dword v2, v4, s[4:5]
	global_store_dword v2, v0, s[0:1]
.LBB6_38:
	s_waitcnt lgkmcnt(0)
	s_mul_i32 s0, s2, s7
	s_lshl_b32 s0, s0, 1
	s_add_i32 s0, s0, s6
	s_mov_b32 s1, 0
	v_mov_b32_e32 v0, 0
	s_lshl_b64 s[4:5], s[0:1], 2
	ds_read_b32 v1, v0 offset:4096
	ds_read_b32 v2, v0 offset:6140
	s_add_u32 s4, s8, s4
	s_addc_u32 s5, s9, s5
	s_add_i32 s0, s0, s2
	s_lshl_b64 s[0:1], s[0:1], 2
	s_add_u32 s0, s8, s0
	s_addc_u32 s1, s9, s1
	s_waitcnt lgkmcnt(1)
	global_store_dword v0, v1, s[4:5]
	s_waitcnt lgkmcnt(0)
	global_store_dword v0, v2, s[0:1]
	s_endpgm
.LBB6_39:
                                        ; implicit-def: $vgpr0
	s_branch .LBB6_33
.LBB6_40:
                                        ; implicit-def: $sgpr2
	s_branch .LBB6_37
	.section	.rodata,"a",@progbits
	.p2align	6, 0x0
	.amdhsa_kernel _ZN9rocsparseL29gtsv_spike_block_level_kernelILj256ELj2EfEEviiiPT1_PKS1_S4_S2_S2_S2_S2_S2_
		.amdhsa_group_segment_fixed_size 6144
		.amdhsa_private_segment_fixed_size 0
		.amdhsa_kernarg_size 336
		.amdhsa_user_sgpr_count 6
		.amdhsa_user_sgpr_private_segment_buffer 1
		.amdhsa_user_sgpr_dispatch_ptr 0
		.amdhsa_user_sgpr_queue_ptr 0
		.amdhsa_user_sgpr_kernarg_segment_ptr 1
		.amdhsa_user_sgpr_dispatch_id 0
		.amdhsa_user_sgpr_flat_scratch_init 0
		.amdhsa_user_sgpr_private_segment_size 0
		.amdhsa_uses_dynamic_stack 0
		.amdhsa_system_sgpr_private_segment_wavefront_offset 0
		.amdhsa_system_sgpr_workgroup_id_x 1
		.amdhsa_system_sgpr_workgroup_id_y 1
		.amdhsa_system_sgpr_workgroup_id_z 0
		.amdhsa_system_sgpr_workgroup_info 0
		.amdhsa_system_vgpr_workitem_id 0
		.amdhsa_next_free_vgpr 26
		.amdhsa_next_free_sgpr 24
		.amdhsa_reserve_vcc 1
		.amdhsa_reserve_flat_scratch 0
		.amdhsa_float_round_mode_32 0
		.amdhsa_float_round_mode_16_64 0
		.amdhsa_float_denorm_mode_32 3
		.amdhsa_float_denorm_mode_16_64 3
		.amdhsa_dx10_clamp 1
		.amdhsa_ieee_mode 1
		.amdhsa_fp16_overflow 0
		.amdhsa_exception_fp_ieee_invalid_op 0
		.amdhsa_exception_fp_denorm_src 0
		.amdhsa_exception_fp_ieee_div_zero 0
		.amdhsa_exception_fp_ieee_overflow 0
		.amdhsa_exception_fp_ieee_underflow 0
		.amdhsa_exception_fp_ieee_inexact 0
		.amdhsa_exception_int_div_zero 0
	.end_amdhsa_kernel
	.section	.text._ZN9rocsparseL29gtsv_spike_block_level_kernelILj256ELj2EfEEviiiPT1_PKS1_S4_S2_S2_S2_S2_S2_,"axG",@progbits,_ZN9rocsparseL29gtsv_spike_block_level_kernelILj256ELj2EfEEviiiPT1_PKS1_S4_S2_S2_S2_S2_S2_,comdat
.Lfunc_end6:
	.size	_ZN9rocsparseL29gtsv_spike_block_level_kernelILj256ELj2EfEEviiiPT1_PKS1_S4_S2_S2_S2_S2_S2_, .Lfunc_end6-_ZN9rocsparseL29gtsv_spike_block_level_kernelILj256ELj2EfEEviiiPT1_PKS1_S4_S2_S2_S2_S2_S2_
                                        ; -- End function
	.set _ZN9rocsparseL29gtsv_spike_block_level_kernelILj256ELj2EfEEviiiPT1_PKS1_S4_S2_S2_S2_S2_S2_.num_vgpr, 26
	.set _ZN9rocsparseL29gtsv_spike_block_level_kernelILj256ELj2EfEEviiiPT1_PKS1_S4_S2_S2_S2_S2_S2_.num_agpr, 0
	.set _ZN9rocsparseL29gtsv_spike_block_level_kernelILj256ELj2EfEEviiiPT1_PKS1_S4_S2_S2_S2_S2_S2_.numbered_sgpr, 24
	.set _ZN9rocsparseL29gtsv_spike_block_level_kernelILj256ELj2EfEEviiiPT1_PKS1_S4_S2_S2_S2_S2_S2_.num_named_barrier, 0
	.set _ZN9rocsparseL29gtsv_spike_block_level_kernelILj256ELj2EfEEviiiPT1_PKS1_S4_S2_S2_S2_S2_S2_.private_seg_size, 0
	.set _ZN9rocsparseL29gtsv_spike_block_level_kernelILj256ELj2EfEEviiiPT1_PKS1_S4_S2_S2_S2_S2_S2_.uses_vcc, 1
	.set _ZN9rocsparseL29gtsv_spike_block_level_kernelILj256ELj2EfEEviiiPT1_PKS1_S4_S2_S2_S2_S2_S2_.uses_flat_scratch, 0
	.set _ZN9rocsparseL29gtsv_spike_block_level_kernelILj256ELj2EfEEviiiPT1_PKS1_S4_S2_S2_S2_S2_S2_.has_dyn_sized_stack, 0
	.set _ZN9rocsparseL29gtsv_spike_block_level_kernelILj256ELj2EfEEviiiPT1_PKS1_S4_S2_S2_S2_S2_S2_.has_recursion, 0
	.set _ZN9rocsparseL29gtsv_spike_block_level_kernelILj256ELj2EfEEviiiPT1_PKS1_S4_S2_S2_S2_S2_S2_.has_indirect_call, 0
	.section	.AMDGPU.csdata,"",@progbits
; Kernel info:
; codeLenInByte = 3840
; TotalNumSgprs: 28
; NumVgprs: 26
; ScratchSize: 0
; MemoryBound: 0
; FloatMode: 240
; IeeeMode: 1
; LDSByteSize: 6144 bytes/workgroup (compile time only)
; SGPRBlocks: 3
; VGPRBlocks: 6
; NumSGPRsForWavesPerEU: 28
; NumVGPRsForWavesPerEU: 26
; Occupancy: 9
; WaveLimiterHint : 0
; COMPUTE_PGM_RSRC2:SCRATCH_EN: 0
; COMPUTE_PGM_RSRC2:USER_SGPR: 6
; COMPUTE_PGM_RSRC2:TRAP_HANDLER: 0
; COMPUTE_PGM_RSRC2:TGID_X_EN: 1
; COMPUTE_PGM_RSRC2:TGID_Y_EN: 1
; COMPUTE_PGM_RSRC2:TGID_Z_EN: 0
; COMPUTE_PGM_RSRC2:TIDIG_COMP_CNT: 0
	.section	.text._ZN9rocsparseL34gtsv_solve_spike_grid_level_kernelILj2EfEEviiiPT0_PKS1_S4_,"axG",@progbits,_ZN9rocsparseL34gtsv_solve_spike_grid_level_kernelILj2EfEEviiiPT0_PKS1_S4_,comdat
	.globl	_ZN9rocsparseL34gtsv_solve_spike_grid_level_kernelILj2EfEEviiiPT0_PKS1_S4_ ; -- Begin function _ZN9rocsparseL34gtsv_solve_spike_grid_level_kernelILj2EfEEviiiPT0_PKS1_S4_
	.p2align	8
	.type	_ZN9rocsparseL34gtsv_solve_spike_grid_level_kernelILj2EfEEviiiPT0_PKS1_S4_,@function
_ZN9rocsparseL34gtsv_solve_spike_grid_level_kernelILj2EfEEviiiPT0_PKS1_S4_: ; @_ZN9rocsparseL34gtsv_solve_spike_grid_level_kernelILj2EfEEviiiPT0_PKS1_S4_
; %bb.0:
	s_load_dwordx4 s[0:3], s[4:5], 0x10
	s_load_dwordx2 s[8:9], s[4:5], 0x20
	v_lshl_or_b32 v3, s7, 2, v0
	v_mov_b32_e32 v4, 0
	v_lshlrev_b64 v[1:2], 2, v[3:4]
	v_or_b32_e32 v3, 2, v3
	s_waitcnt lgkmcnt(0)
	v_mov_b32_e32 v12, s1
	v_add_co_u32_e32 v1, vcc, s0, v1
	v_lshlrev_b64 v[5:6], 2, v[3:4]
	v_addc_co_u32_e32 v2, vcc, v12, v2, vcc
	v_lshlrev_b32_e32 v7, 2, v0
	v_add_co_u32_e32 v5, vcc, s0, v5
	global_load_dword v8, v7, s[2:3]
	global_load_dword v9, v7, s[2:3] offset:8
	global_load_dword v10, v7, s[8:9]
	global_load_dword v11, v7, s[8:9] offset:8
	v_addc_co_u32_e32 v6, vcc, v12, v6, vcc
	global_load_dword v12, v[1:2], off
	global_load_dword v13, v[5:6], off
	v_or_b32_e32 v3, 32, v7
	v_cmp_eq_u32_e32 vcc, 0, v0
	s_waitcnt vmcnt(4)
	ds_write2_b32 v7, v8, v9 offset0:4 offset1:6
	s_waitcnt vmcnt(2)
	ds_write2_b32 v7, v10, v11 offset1:2
	s_waitcnt vmcnt(0)
	ds_write2_b32 v7, v12, v13 offset0:8 offset1:10
	s_waitcnt lgkmcnt(0)
	; wave barrier
	s_and_saveexec_b64 s[0:1], vcc
	s_cbranch_execz .LBB7_2
; %bb.1:
	ds_read_b128 v[7:10], v4
	ds_read_b128 v[11:14], v4 offset:16
	s_waitcnt lgkmcnt(0)
	v_fma_f32 v0, -v12, v9, 1.0
	v_div_scale_f32 v15, s[2:3], v0, v0, 1.0
	v_div_scale_f32 v16, vcc, 1.0, v0, 1.0
	v_rcp_f32_e32 v17, v15
	v_fma_f32 v18, -v15, v17, 1.0
	v_fmac_f32_e32 v17, v18, v17
	v_mul_f32_e32 v18, v16, v17
	v_fma_f32 v19, -v15, v18, v16
	v_fmac_f32_e32 v18, v19, v17
	v_fma_f32 v15, -v15, v18, v16
	v_div_fmas_f32 v19, v15, v17, v18
	ds_read_b128 v[15:18], v4 offset:32
	s_waitcnt lgkmcnt(0)
	v_fma_f32 v20, -v9, v16, v17
	v_fma_f32 v16, -v12, v17, v16
	v_mul_f32_e32 v9, v9, v8
	v_mul_f32_e32 v12, v12, v13
	v_div_fixup_f32 v0, v19, v0, 1.0
	v_mul_f32_e32 v17, v0, v20
	v_mul_f32_e32 v16, v16, v0
	v_fma_f32 v15, -v16, v7, v15
	v_fma_f32 v18, -v17, v14, v18
	v_mul_f32_e64 v9, v9, -v0
	v_mul_f32_e32 v8, v0, v8
	v_mul_f32_e64 v12, v12, -v0
	v_mul_f32_e32 v13, v0, v13
	v_fma_f32 v11, -v7, v12, v11
	v_mul_f32_e64 v7, v8, -v7
	v_fma_f32 v10, -v14, v9, v10
	v_mul_f32_e64 v14, v13, -v14
	ds_write_b128 v4, v[15:18] offset:32
	ds_write_b128 v4, v[7:10]
	ds_write_b128 v4, v[11:14] offset:16
.LBB7_2:
	s_or_b64 exec, exec, s[0:1]
	s_waitcnt lgkmcnt(0)
	; wave barrier
	ds_read2_b32 v[3:4], v3 offset1:2
	s_waitcnt lgkmcnt(0)
	global_store_dword v[1:2], v3, off
	global_store_dword v[5:6], v4, off
	s_endpgm
	.section	.rodata,"a",@progbits
	.p2align	6, 0x0
	.amdhsa_kernel _ZN9rocsparseL34gtsv_solve_spike_grid_level_kernelILj2EfEEviiiPT0_PKS1_S4_
		.amdhsa_group_segment_fixed_size 48
		.amdhsa_private_segment_fixed_size 0
		.amdhsa_kernarg_size 40
		.amdhsa_user_sgpr_count 6
		.amdhsa_user_sgpr_private_segment_buffer 1
		.amdhsa_user_sgpr_dispatch_ptr 0
		.amdhsa_user_sgpr_queue_ptr 0
		.amdhsa_user_sgpr_kernarg_segment_ptr 1
		.amdhsa_user_sgpr_dispatch_id 0
		.amdhsa_user_sgpr_flat_scratch_init 0
		.amdhsa_user_sgpr_private_segment_size 0
		.amdhsa_uses_dynamic_stack 0
		.amdhsa_system_sgpr_private_segment_wavefront_offset 0
		.amdhsa_system_sgpr_workgroup_id_x 1
		.amdhsa_system_sgpr_workgroup_id_y 1
		.amdhsa_system_sgpr_workgroup_id_z 0
		.amdhsa_system_sgpr_workgroup_info 0
		.amdhsa_system_vgpr_workitem_id 0
		.amdhsa_next_free_vgpr 21
		.amdhsa_next_free_sgpr 10
		.amdhsa_reserve_vcc 1
		.amdhsa_reserve_flat_scratch 0
		.amdhsa_float_round_mode_32 0
		.amdhsa_float_round_mode_16_64 0
		.amdhsa_float_denorm_mode_32 3
		.amdhsa_float_denorm_mode_16_64 3
		.amdhsa_dx10_clamp 1
		.amdhsa_ieee_mode 1
		.amdhsa_fp16_overflow 0
		.amdhsa_exception_fp_ieee_invalid_op 0
		.amdhsa_exception_fp_denorm_src 0
		.amdhsa_exception_fp_ieee_div_zero 0
		.amdhsa_exception_fp_ieee_overflow 0
		.amdhsa_exception_fp_ieee_underflow 0
		.amdhsa_exception_fp_ieee_inexact 0
		.amdhsa_exception_int_div_zero 0
	.end_amdhsa_kernel
	.section	.text._ZN9rocsparseL34gtsv_solve_spike_grid_level_kernelILj2EfEEviiiPT0_PKS1_S4_,"axG",@progbits,_ZN9rocsparseL34gtsv_solve_spike_grid_level_kernelILj2EfEEviiiPT0_PKS1_S4_,comdat
.Lfunc_end7:
	.size	_ZN9rocsparseL34gtsv_solve_spike_grid_level_kernelILj2EfEEviiiPT0_PKS1_S4_, .Lfunc_end7-_ZN9rocsparseL34gtsv_solve_spike_grid_level_kernelILj2EfEEviiiPT0_PKS1_S4_
                                        ; -- End function
	.set _ZN9rocsparseL34gtsv_solve_spike_grid_level_kernelILj2EfEEviiiPT0_PKS1_S4_.num_vgpr, 21
	.set _ZN9rocsparseL34gtsv_solve_spike_grid_level_kernelILj2EfEEviiiPT0_PKS1_S4_.num_agpr, 0
	.set _ZN9rocsparseL34gtsv_solve_spike_grid_level_kernelILj2EfEEviiiPT0_PKS1_S4_.numbered_sgpr, 10
	.set _ZN9rocsparseL34gtsv_solve_spike_grid_level_kernelILj2EfEEviiiPT0_PKS1_S4_.num_named_barrier, 0
	.set _ZN9rocsparseL34gtsv_solve_spike_grid_level_kernelILj2EfEEviiiPT0_PKS1_S4_.private_seg_size, 0
	.set _ZN9rocsparseL34gtsv_solve_spike_grid_level_kernelILj2EfEEviiiPT0_PKS1_S4_.uses_vcc, 1
	.set _ZN9rocsparseL34gtsv_solve_spike_grid_level_kernelILj2EfEEviiiPT0_PKS1_S4_.uses_flat_scratch, 0
	.set _ZN9rocsparseL34gtsv_solve_spike_grid_level_kernelILj2EfEEviiiPT0_PKS1_S4_.has_dyn_sized_stack, 0
	.set _ZN9rocsparseL34gtsv_solve_spike_grid_level_kernelILj2EfEEviiiPT0_PKS1_S4_.has_recursion, 0
	.set _ZN9rocsparseL34gtsv_solve_spike_grid_level_kernelILj2EfEEviiiPT0_PKS1_S4_.has_indirect_call, 0
	.section	.AMDGPU.csdata,"",@progbits
; Kernel info:
; codeLenInByte = 460
; TotalNumSgprs: 14
; NumVgprs: 21
; ScratchSize: 0
; MemoryBound: 0
; FloatMode: 240
; IeeeMode: 1
; LDSByteSize: 48 bytes/workgroup (compile time only)
; SGPRBlocks: 1
; VGPRBlocks: 5
; NumSGPRsForWavesPerEU: 14
; NumVGPRsForWavesPerEU: 21
; Occupancy: 10
; WaveLimiterHint : 0
; COMPUTE_PGM_RSRC2:SCRATCH_EN: 0
; COMPUTE_PGM_RSRC2:USER_SGPR: 6
; COMPUTE_PGM_RSRC2:TRAP_HANDLER: 0
; COMPUTE_PGM_RSRC2:TGID_X_EN: 1
; COMPUTE_PGM_RSRC2:TGID_Y_EN: 1
; COMPUTE_PGM_RSRC2:TGID_Z_EN: 0
; COMPUTE_PGM_RSRC2:TIDIG_COMP_CNT: 0
	.section	.text._ZN9rocsparseL34gtsv_solve_spike_grid_level_kernelILj4EfEEviiiPT0_PKS1_S4_,"axG",@progbits,_ZN9rocsparseL34gtsv_solve_spike_grid_level_kernelILj4EfEEviiiPT0_PKS1_S4_,comdat
	.globl	_ZN9rocsparseL34gtsv_solve_spike_grid_level_kernelILj4EfEEviiiPT0_PKS1_S4_ ; -- Begin function _ZN9rocsparseL34gtsv_solve_spike_grid_level_kernelILj4EfEEviiiPT0_PKS1_S4_
	.p2align	8
	.type	_ZN9rocsparseL34gtsv_solve_spike_grid_level_kernelILj4EfEEviiiPT0_PKS1_S4_,@function
_ZN9rocsparseL34gtsv_solve_spike_grid_level_kernelILj4EfEEviiiPT0_PKS1_S4_: ; @_ZN9rocsparseL34gtsv_solve_spike_grid_level_kernelILj4EfEEviiiPT0_PKS1_S4_
; %bb.0:
	s_load_dwordx4 s[0:3], s[4:5], 0x10
	s_load_dwordx2 s[8:9], s[4:5], 0x20
	v_lshl_or_b32 v3, s7, 3, v0
	v_mov_b32_e32 v4, 0
	v_lshlrev_b64 v[1:2], 2, v[3:4]
	v_or_b32_e32 v3, 4, v3
	s_waitcnt lgkmcnt(0)
	v_mov_b32_e32 v5, s1
	v_add_co_u32_e32 v1, vcc, s0, v1
	v_lshlrev_b64 v[3:4], 2, v[3:4]
	v_addc_co_u32_e32 v2, vcc, v5, v2, vcc
	v_lshlrev_b32_e32 v6, 2, v0
	v_add_co_u32_e32 v3, vcc, s0, v3
	global_load_dword v7, v6, s[2:3]
	global_load_dword v8, v6, s[2:3] offset:16
	global_load_dword v9, v6, s[8:9]
	global_load_dword v10, v6, s[8:9] offset:16
	v_addc_co_u32_e32 v4, vcc, v5, v4, vcc
	global_load_dword v11, v[1:2], off
	global_load_dword v12, v[3:4], off
	v_or_b32_e32 v5, 64, v6
	v_cmp_gt_u32_e64 s[0:1], 2, v0
	s_waitcnt vmcnt(4)
	ds_write2_b32 v6, v7, v8 offset0:8 offset1:12
	s_waitcnt vmcnt(2)
	ds_write2_b32 v6, v9, v10 offset1:4
	s_waitcnt vmcnt(0)
	ds_write2_b32 v6, v11, v12 offset0:16 offset1:20
	s_waitcnt lgkmcnt(0)
	; wave barrier
	s_and_saveexec_b64 s[2:3], s[0:1]
	s_cbranch_execz .LBB8_2
; %bb.1:
	v_or_b32_e32 v7, 32, v6
	v_add_u32_e32 v21, v7, v6
	v_add_u32_e32 v22, v6, v6
	ds_read2_b64 v[7:10], v21 offset1:2
	ds_read2_b64 v[11:14], v22 offset1:2
	v_add_u32_e32 v6, v5, v6
	s_waitcnt lgkmcnt(0)
	v_fma_f32 v15, -v8, v13, 1.0
	v_div_scale_f32 v16, s[4:5], v15, v15, 1.0
	v_rcp_f32_e32 v17, v16
	v_fma_f32 v18, -v16, v17, 1.0
	v_fmac_f32_e32 v17, v18, v17
	v_div_scale_f32 v18, vcc, 1.0, v15, 1.0
	v_mul_f32_e32 v19, v18, v17
	v_fma_f32 v20, -v16, v19, v18
	v_fmac_f32_e32 v19, v20, v17
	v_fma_f32 v16, -v16, v19, v18
	v_div_fmas_f32 v16, v16, v17, v19
	v_div_fixup_f32 v23, v16, v15, 1.0
	ds_read2_b64 v[15:18], v6 offset1:2
	s_waitcnt lgkmcnt(0)
	v_fma_f32 v19, -v13, v16, v17
	v_fma_f32 v16, -v8, v17, v16
	v_mul_f32_e32 v19, v23, v19
	v_mul_f32_e32 v16, v16, v23
	v_fma_f32 v15, -v16, v11, v15
	v_fma_f32 v20, -v10, v19, v18
	ds_write2_b64 v6, v[15:16], v[19:20] offset1:2
	v_mul_f32_e32 v6, v13, v12
	v_mul_f32_e32 v8, v8, v9
	v_mul_f32_e64 v6, v6, -v23
	v_mul_f32_e32 v12, v23, v12
	v_mul_f32_e64 v16, v8, -v23
	v_mul_f32_e32 v8, v23, v9
	v_fma_f32 v15, -v16, v11, v7
	v_mul_f32_e64 v11, v12, -v11
	v_fma_f32 v7, -v6, v10, v14
	v_mul_f32_e64 v9, v8, -v10
	ds_write2_b64 v22, v[11:12], v[6:7] offset1:2
	ds_write2_b64 v21, v[15:16], v[8:9] offset1:2
.LBB8_2:
	s_or_b64 exec, exec, s[2:3]
	v_cmp_eq_u32_e64 s[2:3], 0, v0
	s_waitcnt lgkmcnt(0)
	; wave barrier
	s_and_saveexec_b64 s[4:5], s[2:3]
	s_cbranch_execz .LBB8_4
; %bb.3:
	v_mov_b32_e32 v18, 0
	ds_read2_b32 v[6:7], v18 offset0:5 offset1:10
	s_waitcnt lgkmcnt(0)
	v_fma_f32 v19, -v7, v6, 1.0
	v_div_scale_f32 v8, s[6:7], v19, v19, 1.0
	v_div_scale_f32 v9, vcc, 1.0, v19, 1.0
	v_rcp_f32_e32 v10, v8
	v_fma_f32 v11, -v8, v10, 1.0
	v_fmac_f32_e32 v10, v11, v10
	v_mul_f32_e32 v11, v9, v10
	v_fma_f32 v12, -v8, v11, v9
	v_fmac_f32_e32 v11, v12, v10
	v_fma_f32 v8, -v8, v11, v9
	v_div_fmas_f32 v20, v8, v10, v11
	ds_read2_b32 v[8:9], v18 offset0:13 offset1:18
	ds_read2_b32 v[10:11], v18 offset0:21 offset1:23
	ds_read2_b32 v[12:13], v18 offset1:2
	ds_read2_b32 v[14:15], v18 offset0:15 offset1:16
	ds_read2_b32 v[16:17], v18 offset0:7 offset1:8
	s_waitcnt lgkmcnt(3)
	v_fma_f32 v21, -v6, v9, v10
	v_fma_f32 v9, -v7, v10, v9
	s_waitcnt lgkmcnt(2)
	v_mul_f32_e32 v6, v6, v13
	v_mul_f32_e32 v7, v7, v8
	v_div_fixup_f32 v10, v20, v19, 1.0
	v_mul_f32_e32 v19, v10, v21
	v_mul_f32_e32 v9, v9, v10
	v_mul_f32_e64 v6, v6, -v10
	v_mul_f32_e32 v13, v10, v13
	v_mul_f32_e64 v7, v7, -v10
	v_mul_f32_e32 v8, v10, v8
	s_waitcnt lgkmcnt(1)
	v_fma_f32 v11, -v14, v19, v11
	v_fma_f32 v10, -v9, v12, v15
	ds_write2_b32 v18, v6, v7 offset0:5 offset1:10
	ds_write2_b32 v18, v8, v9 offset0:13 offset1:18
	s_waitcnt lgkmcnt(2)
	v_fma_f32 v7, -v7, v12, v17
	v_mul_f32_e64 v9, v13, -v12
	v_fma_f32 v6, -v6, v14, v16
	v_mul_f32_e64 v8, v8, -v14
	ds_write2_b32 v18, v19, v11 offset0:21 offset1:23
	ds_write2_b32 v18, v9, v13 offset1:2
	ds_write2_b32 v18, v6, v7 offset0:7 offset1:8
	ds_write2_b32 v18, v8, v10 offset0:15 offset1:16
.LBB8_4:
	s_or_b64 exec, exec, s[4:5]
	s_waitcnt lgkmcnt(0)
	; wave barrier
	s_and_saveexec_b64 s[4:5], s[0:1]
	s_cbranch_execz .LBB8_6
; %bb.5:
	v_lshlrev_b32_e32 v6, 1, v0
	v_lshlrev_b32_e32 v0, 3, v0
	v_mov_b32_e32 v7, 0x4c
	v_mov_b32_e32 v8, 0x48
	v_max_u32_e32 v6, 1, v6
	v_cndmask_b32_e64 v12, v7, v8, s[2:3]
	v_lshlrev_b32_e32 v13, 2, v6
	ds_read2_b32 v[6:7], v0 offset0:17 offset1:20
	ds_read2_b32 v[8:9], v0 offset0:1 offset1:4
	;; [unrolled: 1-line block ×3, first 2 shown]
	ds_read_b32 v14, v13 offset:76
	ds_read_b32 v15, v12
	s_waitcnt lgkmcnt(1)
	v_fma_f32 v7, -v11, v14, v7
	s_waitcnt lgkmcnt(0)
	v_fma_f32 v7, -v9, v15, v7
	ds_write_b32 v0, v7 offset:80
	ds_read_b32 v7, v13 offset:76
	s_waitcnt lgkmcnt(0)
	v_fma_f32 v6, -v10, v7, v6
	ds_write_b32 v0, v6 offset:68
	ds_read_b32 v7, v12
	s_waitcnt lgkmcnt(0)
	v_fma_f32 v6, -v8, v7, v6
	ds_write_b32 v0, v6 offset:68
.LBB8_6:
	s_or_b64 exec, exec, s[4:5]
	s_waitcnt lgkmcnt(0)
	; wave barrier
	ds_read2_b32 v[5:6], v5 offset1:4
	s_waitcnt lgkmcnt(0)
	global_store_dword v[1:2], v5, off
	global_store_dword v[3:4], v6, off
	s_endpgm
	.section	.rodata,"a",@progbits
	.p2align	6, 0x0
	.amdhsa_kernel _ZN9rocsparseL34gtsv_solve_spike_grid_level_kernelILj4EfEEviiiPT0_PKS1_S4_
		.amdhsa_group_segment_fixed_size 96
		.amdhsa_private_segment_fixed_size 0
		.amdhsa_kernarg_size 40
		.amdhsa_user_sgpr_count 6
		.amdhsa_user_sgpr_private_segment_buffer 1
		.amdhsa_user_sgpr_dispatch_ptr 0
		.amdhsa_user_sgpr_queue_ptr 0
		.amdhsa_user_sgpr_kernarg_segment_ptr 1
		.amdhsa_user_sgpr_dispatch_id 0
		.amdhsa_user_sgpr_flat_scratch_init 0
		.amdhsa_user_sgpr_private_segment_size 0
		.amdhsa_uses_dynamic_stack 0
		.amdhsa_system_sgpr_private_segment_wavefront_offset 0
		.amdhsa_system_sgpr_workgroup_id_x 1
		.amdhsa_system_sgpr_workgroup_id_y 1
		.amdhsa_system_sgpr_workgroup_id_z 0
		.amdhsa_system_sgpr_workgroup_info 0
		.amdhsa_system_vgpr_workitem_id 0
		.amdhsa_next_free_vgpr 24
		.amdhsa_next_free_sgpr 10
		.amdhsa_reserve_vcc 1
		.amdhsa_reserve_flat_scratch 0
		.amdhsa_float_round_mode_32 0
		.amdhsa_float_round_mode_16_64 0
		.amdhsa_float_denorm_mode_32 3
		.amdhsa_float_denorm_mode_16_64 3
		.amdhsa_dx10_clamp 1
		.amdhsa_ieee_mode 1
		.amdhsa_fp16_overflow 0
		.amdhsa_exception_fp_ieee_invalid_op 0
		.amdhsa_exception_fp_denorm_src 0
		.amdhsa_exception_fp_ieee_div_zero 0
		.amdhsa_exception_fp_ieee_overflow 0
		.amdhsa_exception_fp_ieee_underflow 0
		.amdhsa_exception_fp_ieee_inexact 0
		.amdhsa_exception_int_div_zero 0
	.end_amdhsa_kernel
	.section	.text._ZN9rocsparseL34gtsv_solve_spike_grid_level_kernelILj4EfEEviiiPT0_PKS1_S4_,"axG",@progbits,_ZN9rocsparseL34gtsv_solve_spike_grid_level_kernelILj4EfEEviiiPT0_PKS1_S4_,comdat
.Lfunc_end8:
	.size	_ZN9rocsparseL34gtsv_solve_spike_grid_level_kernelILj4EfEEviiiPT0_PKS1_S4_, .Lfunc_end8-_ZN9rocsparseL34gtsv_solve_spike_grid_level_kernelILj4EfEEviiiPT0_PKS1_S4_
                                        ; -- End function
	.set _ZN9rocsparseL34gtsv_solve_spike_grid_level_kernelILj4EfEEviiiPT0_PKS1_S4_.num_vgpr, 24
	.set _ZN9rocsparseL34gtsv_solve_spike_grid_level_kernelILj4EfEEviiiPT0_PKS1_S4_.num_agpr, 0
	.set _ZN9rocsparseL34gtsv_solve_spike_grid_level_kernelILj4EfEEviiiPT0_PKS1_S4_.numbered_sgpr, 10
	.set _ZN9rocsparseL34gtsv_solve_spike_grid_level_kernelILj4EfEEviiiPT0_PKS1_S4_.num_named_barrier, 0
	.set _ZN9rocsparseL34gtsv_solve_spike_grid_level_kernelILj4EfEEviiiPT0_PKS1_S4_.private_seg_size, 0
	.set _ZN9rocsparseL34gtsv_solve_spike_grid_level_kernelILj4EfEEviiiPT0_PKS1_S4_.uses_vcc, 1
	.set _ZN9rocsparseL34gtsv_solve_spike_grid_level_kernelILj4EfEEviiiPT0_PKS1_S4_.uses_flat_scratch, 0
	.set _ZN9rocsparseL34gtsv_solve_spike_grid_level_kernelILj4EfEEviiiPT0_PKS1_S4_.has_dyn_sized_stack, 0
	.set _ZN9rocsparseL34gtsv_solve_spike_grid_level_kernelILj4EfEEviiiPT0_PKS1_S4_.has_recursion, 0
	.set _ZN9rocsparseL34gtsv_solve_spike_grid_level_kernelILj4EfEEviiiPT0_PKS1_S4_.has_indirect_call, 0
	.section	.AMDGPU.csdata,"",@progbits
; Kernel info:
; codeLenInByte = 992
; TotalNumSgprs: 14
; NumVgprs: 24
; ScratchSize: 0
; MemoryBound: 0
; FloatMode: 240
; IeeeMode: 1
; LDSByteSize: 96 bytes/workgroup (compile time only)
; SGPRBlocks: 1
; VGPRBlocks: 5
; NumSGPRsForWavesPerEU: 14
; NumVGPRsForWavesPerEU: 24
; Occupancy: 10
; WaveLimiterHint : 0
; COMPUTE_PGM_RSRC2:SCRATCH_EN: 0
; COMPUTE_PGM_RSRC2:USER_SGPR: 6
; COMPUTE_PGM_RSRC2:TRAP_HANDLER: 0
; COMPUTE_PGM_RSRC2:TGID_X_EN: 1
; COMPUTE_PGM_RSRC2:TGID_Y_EN: 1
; COMPUTE_PGM_RSRC2:TGID_Z_EN: 0
; COMPUTE_PGM_RSRC2:TIDIG_COMP_CNT: 0
	.section	.text._ZN9rocsparseL34gtsv_solve_spike_grid_level_kernelILj8EfEEviiiPT0_PKS1_S4_,"axG",@progbits,_ZN9rocsparseL34gtsv_solve_spike_grid_level_kernelILj8EfEEviiiPT0_PKS1_S4_,comdat
	.globl	_ZN9rocsparseL34gtsv_solve_spike_grid_level_kernelILj8EfEEviiiPT0_PKS1_S4_ ; -- Begin function _ZN9rocsparseL34gtsv_solve_spike_grid_level_kernelILj8EfEEviiiPT0_PKS1_S4_
	.p2align	8
	.type	_ZN9rocsparseL34gtsv_solve_spike_grid_level_kernelILj8EfEEviiiPT0_PKS1_S4_,@function
_ZN9rocsparseL34gtsv_solve_spike_grid_level_kernelILj8EfEEviiiPT0_PKS1_S4_: ; @_ZN9rocsparseL34gtsv_solve_spike_grid_level_kernelILj8EfEEviiiPT0_PKS1_S4_
; %bb.0:
	s_load_dwordx4 s[0:3], s[4:5], 0x10
	s_load_dwordx2 s[8:9], s[4:5], 0x20
	v_lshl_or_b32 v3, s7, 4, v0
	v_mov_b32_e32 v4, 0
	v_lshlrev_b64 v[1:2], 2, v[3:4]
	v_or_b32_e32 v3, 8, v3
	s_waitcnt lgkmcnt(0)
	v_mov_b32_e32 v5, s1
	v_add_co_u32_e32 v1, vcc, s0, v1
	v_lshlrev_b64 v[3:4], 2, v[3:4]
	v_addc_co_u32_e32 v2, vcc, v5, v2, vcc
	v_lshlrev_b32_e32 v6, 2, v0
	v_add_co_u32_e32 v3, vcc, s0, v3
	global_load_dword v7, v6, s[2:3]
	global_load_dword v8, v6, s[2:3] offset:32
	global_load_dword v9, v6, s[8:9]
	global_load_dword v10, v6, s[8:9] offset:32
	v_addc_co_u32_e32 v4, vcc, v5, v4, vcc
	global_load_dword v11, v[1:2], off
	global_load_dword v12, v[3:4], off
	v_or_b32_e32 v5, 0x80, v6
	v_cmp_gt_u32_e64 s[0:1], 4, v0
	s_waitcnt vmcnt(4)
	ds_write2_b32 v6, v7, v8 offset0:16 offset1:24
	s_waitcnt vmcnt(2)
	ds_write2_b32 v6, v9, v10 offset1:8
	s_waitcnt vmcnt(0)
	ds_write2_b32 v6, v11, v12 offset0:32 offset1:40
	s_waitcnt lgkmcnt(0)
	; wave barrier
	s_and_saveexec_b64 s[2:3], s[0:1]
	s_cbranch_execz .LBB9_2
; %bb.1:
	v_or_b32_e32 v7, 64, v6
	v_add_u32_e32 v22, v6, v6
	v_add_u32_e32 v21, v7, v6
	ds_read2_b64 v[7:10], v22 offset1:4
	ds_read2_b64 v[11:14], v21 offset1:4
	v_add_u32_e32 v23, v5, v6
	s_waitcnt lgkmcnt(1)
	v_mul_f32_e32 v25, v9, v8
	s_waitcnt lgkmcnt(0)
	v_fma_f32 v19, -v12, v9, 1.0
	v_div_scale_f32 v15, s[4:5], v19, v19, 1.0
	v_div_scale_f32 v16, vcc, 1.0, v19, 1.0
	v_rcp_f32_e32 v17, v15
	v_fma_f32 v18, -v15, v17, 1.0
	v_fmac_f32_e32 v17, v18, v17
	v_mul_f32_e32 v18, v16, v17
	v_fma_f32 v20, -v15, v18, v16
	v_fmac_f32_e32 v18, v20, v17
	v_fma_f32 v15, -v15, v18, v16
	v_div_fmas_f32 v20, v15, v17, v18
	ds_read2_b64 v[15:18], v23 offset1:4
	s_waitcnt lgkmcnt(0)
	v_fma_f32 v24, -v9, v16, v17
	v_fma_f32 v9, -v12, v17, v16
	v_mul_f32_e32 v12, v12, v13
	v_div_fixup_f32 v26, v20, v19, 1.0
	v_mul_f32_e32 v16, v9, v26
	v_mul_f32_e32 v17, v26, v24
	v_fma_f32 v15, -v16, v7, v15
	v_fma_f32 v18, -v14, v17, v18
	v_mul_f32_e64 v9, v12, -v26
	v_mul_f32_e32 v12, v26, v8
	v_mul_f32_e64 v19, v25, -v26
	v_mul_f32_e32 v13, v26, v13
	v_fma_f32 v8, -v9, v7, v11
	v_mul_f32_e64 v11, v12, -v7
	v_fma_f32 v20, -v19, v14, v10
	v_mul_f32_e64 v14, v13, -v14
	ds_write2_b64 v23, v[15:16], v[17:18] offset1:4
	ds_write2_b64 v22, v[11:12], v[19:20] offset1:4
	;; [unrolled: 1-line block ×3, first 2 shown]
.LBB9_2:
	s_or_b64 exec, exec, s[2:3]
	v_cmp_gt_u32_e64 s[2:3], 2, v0
	v_lshlrev_b32_e32 v7, 4, v0
	s_waitcnt lgkmcnt(0)
	; wave barrier
	s_and_saveexec_b64 s[4:5], s[2:3]
	s_cbranch_execz .LBB9_4
; %bb.3:
	v_mad_u32_u24 v20, v0, 12, v6
	ds_read2_b32 v[8:9], v7 offset0:16 offset1:18
	ds_read2_b32 v[10:11], v20 offset0:9 offset1:11
	v_mad_u32_u24 v23, v0, 12, v5
	s_waitcnt lgkmcnt(0)
	v_fma_f32 v21, -v9, v10, 1.0
	v_div_scale_f32 v12, s[6:7], v21, v21, 1.0
	v_div_scale_f32 v13, vcc, 1.0, v21, 1.0
	v_rcp_f32_e32 v14, v12
	v_fma_f32 v15, -v12, v14, 1.0
	v_fmac_f32_e32 v14, v15, v14
	v_mul_f32_e32 v15, v13, v14
	v_fma_f32 v16, -v12, v15, v13
	v_fmac_f32_e32 v15, v16, v14
	v_fma_f32 v12, -v12, v15, v13
	v_div_fmas_f32 v22, v12, v14, v15
	ds_read2_b32 v[12:13], v7 offset0:25 offset1:27
	ds_read2_b32 v[14:15], v23 offset1:2
	ds_read2_b32 v[16:17], v23 offset0:9 offset1:11
	ds_read2_b32 v[18:19], v20 offset1:2
	s_waitcnt lgkmcnt(1)
	v_fma_f32 v25, -v10, v15, v16
	v_mul_f32_e32 v24, v9, v12
	v_fma_f32 v9, -v9, v16, v15
	s_waitcnt lgkmcnt(0)
	v_mul_f32_e32 v10, v10, v19
	v_div_fixup_f32 v15, v22, v21, 1.0
	v_mul_f32_e32 v9, v9, v15
	v_mul_f32_e32 v16, v15, v25
	v_mul_f32_e64 v10, v10, -v15
	v_mul_f32_e32 v19, v15, v19
	v_mul_f32_e64 v21, v24, -v15
	v_mul_f32_e32 v12, v15, v12
	v_fma_f32 v14, -v9, v18, v14
	v_fma_f32 v15, -v13, v16, v17
	;; [unrolled: 1-line block ×3, first 2 shown]
	v_mul_f32_e64 v17, v19, -v18
	v_fma_f32 v11, -v10, v13, v11
	v_mul_f32_e64 v13, v12, -v13
	ds_write2_b32 v23, v14, v9 offset1:2
	ds_write2_b32 v23, v16, v15 offset0:9 offset1:11
	ds_write2_b32 v7, v8, v21 offset0:16 offset1:18
	ds_write2_b32 v20, v17, v19 offset1:2
	ds_write2_b32 v20, v10, v11 offset0:9 offset1:11
	ds_write2_b32 v7, v12, v13 offset0:25 offset1:27
.LBB9_4:
	s_or_b64 exec, exec, s[4:5]
	v_cmp_eq_u32_e32 vcc, 0, v0
	s_waitcnt lgkmcnt(0)
	; wave barrier
	s_and_saveexec_b64 s[4:5], vcc
	s_cbranch_execz .LBB9_6
; %bb.5:
	v_mov_b32_e32 v20, 0
	ds_read2_b32 v[8:9], v20 offset0:11 offset1:20
	s_waitcnt lgkmcnt(0)
	v_fma_f32 v21, -v9, v8, 1.0
	v_div_scale_f32 v10, s[6:7], v21, v21, 1.0
	v_div_scale_f32 v11, vcc, 1.0, v21, 1.0
	v_rcp_f32_e32 v12, v10
	v_fma_f32 v13, -v10, v12, 1.0
	v_fmac_f32_e32 v12, v13, v12
	v_mul_f32_e32 v13, v11, v12
	v_fma_f32 v14, -v10, v13, v11
	v_fmac_f32_e32 v13, v14, v12
	v_fma_f32 v10, -v10, v13, v11
	v_div_fmas_f32 v22, v10, v12, v13
	ds_read2_b32 v[10:11], v20 offset0:43 offset1:47
	ds_read2_b32 v[12:13], v20 offset0:27 offset1:36
	ds_read2_b32 v[14:15], v20 offset1:4
	ds_read2_b32 v[16:17], v20 offset0:31 offset1:32
	ds_read2_b32 v[18:19], v20 offset0:15 offset1:16
	s_waitcnt lgkmcnt(3)
	v_fma_f32 v23, -v8, v13, v10
	v_fma_f32 v10, -v9, v10, v13
	s_waitcnt lgkmcnt(2)
	v_mul_f32_e32 v8, v8, v15
	v_mul_f32_e32 v9, v9, v12
	v_div_fixup_f32 v13, v22, v21, 1.0
	v_mul_f32_e32 v21, v13, v23
	v_mul_f32_e32 v10, v10, v13
	v_mul_f32_e64 v8, v8, -v13
	v_mul_f32_e32 v15, v13, v15
	v_mul_f32_e64 v9, v9, -v13
	v_mul_f32_e32 v12, v13, v12
	s_waitcnt lgkmcnt(1)
	v_fma_f32 v11, -v16, v21, v11
	v_fma_f32 v13, -v10, v14, v17
	ds_write2_b32 v20, v8, v9 offset0:11 offset1:20
	ds_write2_b32 v20, v12, v10 offset0:27 offset1:36
	s_waitcnt lgkmcnt(2)
	v_fma_f32 v9, -v9, v14, v19
	v_mul_f32_e64 v10, v15, -v14
	v_fma_f32 v8, -v8, v16, v18
	v_mul_f32_e64 v12, v12, -v16
	ds_write2_b32 v20, v21, v11 offset0:43 offset1:47
	ds_write2_b32 v20, v10, v15 offset1:4
	ds_write2_b32 v20, v8, v9 offset0:15 offset1:16
	ds_write2_b32 v20, v12, v13 offset0:31 offset1:32
.LBB9_6:
	s_or_b64 exec, exec, s[4:5]
	s_waitcnt lgkmcnt(0)
	; wave barrier
	s_and_saveexec_b64 s[4:5], s[2:3]
	s_cbranch_execz .LBB9_8
; %bb.7:
	v_max_u32_e32 v12, 1, v6
	v_min_u32_e32 v6, 3, v6
	ds_read2_b32 v[8:9], v7 offset0:34 offset1:41
	ds_read2_b32 v[10:11], v7 offset0:18 offset1:25
	v_lshlrev_b32_e32 v14, 2, v12
	ds_read2_b32 v[12:13], v7 offset0:2 offset1:9
	v_lshlrev_b32_e32 v6, 2, v6
	ds_read_b32 v15, v14 offset:156
	ds_read_b32 v16, v6 offset:144
	s_waitcnt lgkmcnt(1)
	v_fma_f32 v9, -v11, v15, v9
	s_waitcnt lgkmcnt(0)
	v_fma_f32 v9, -v13, v16, v9
	ds_write_b32 v7, v9 offset:164
	ds_read_b32 v9, v14 offset:156
	s_waitcnt lgkmcnt(0)
	v_fma_f32 v8, -v10, v9, v8
	ds_write_b32 v7, v8 offset:136
	ds_read_b32 v6, v6 offset:144
	s_waitcnt lgkmcnt(0)
	v_fma_f32 v6, -v12, v6, v8
	ds_write_b32 v7, v6 offset:136
.LBB9_8:
	s_or_b64 exec, exec, s[4:5]
	s_waitcnt lgkmcnt(0)
	; wave barrier
	s_and_saveexec_b64 s[2:3], s[0:1]
	s_cbranch_execz .LBB9_10
; %bb.9:
	v_lshlrev_b32_e32 v6, 1, v0
	v_max_u32_e32 v10, 1, v6
	v_lshlrev_b32_e32 v0, 3, v0
	v_min_u32_e32 v12, 5, v6
	ds_read2_b32 v[6:7], v0 offset0:33 offset1:40
	ds_read2_b32 v[8:9], v0 offset0:17 offset1:24
	v_lshlrev_b32_e32 v13, 2, v10
	ds_read2_b32 v[10:11], v0 offset0:1 offset1:8
	v_lshlrev_b32_e32 v12, 2, v12
	ds_read_b32 v14, v13 offset:156
	ds_read_b32 v15, v12 offset:136
	s_waitcnt lgkmcnt(1)
	v_fma_f32 v7, -v9, v14, v7
	s_waitcnt lgkmcnt(0)
	v_fma_f32 v7, -v11, v15, v7
	ds_write_b32 v0, v7 offset:160
	ds_read_b32 v7, v13 offset:156
	s_waitcnt lgkmcnt(0)
	v_fma_f32 v6, -v8, v7, v6
	ds_write_b32 v0, v6 offset:132
	ds_read_b32 v7, v12 offset:136
	s_waitcnt lgkmcnt(0)
	v_fma_f32 v6, -v10, v7, v6
	ds_write_b32 v0, v6 offset:132
.LBB9_10:
	s_or_b64 exec, exec, s[2:3]
	s_waitcnt lgkmcnt(0)
	; wave barrier
	ds_read2_b32 v[5:6], v5 offset1:8
	s_waitcnt lgkmcnt(0)
	global_store_dword v[1:2], v5, off
	global_store_dword v[3:4], v6, off
	s_endpgm
	.section	.rodata,"a",@progbits
	.p2align	6, 0x0
	.amdhsa_kernel _ZN9rocsparseL34gtsv_solve_spike_grid_level_kernelILj8EfEEviiiPT0_PKS1_S4_
		.amdhsa_group_segment_fixed_size 192
		.amdhsa_private_segment_fixed_size 0
		.amdhsa_kernarg_size 40
		.amdhsa_user_sgpr_count 6
		.amdhsa_user_sgpr_private_segment_buffer 1
		.amdhsa_user_sgpr_dispatch_ptr 0
		.amdhsa_user_sgpr_queue_ptr 0
		.amdhsa_user_sgpr_kernarg_segment_ptr 1
		.amdhsa_user_sgpr_dispatch_id 0
		.amdhsa_user_sgpr_flat_scratch_init 0
		.amdhsa_user_sgpr_private_segment_size 0
		.amdhsa_uses_dynamic_stack 0
		.amdhsa_system_sgpr_private_segment_wavefront_offset 0
		.amdhsa_system_sgpr_workgroup_id_x 1
		.amdhsa_system_sgpr_workgroup_id_y 1
		.amdhsa_system_sgpr_workgroup_id_z 0
		.amdhsa_system_sgpr_workgroup_info 0
		.amdhsa_system_vgpr_workitem_id 0
		.amdhsa_next_free_vgpr 27
		.amdhsa_next_free_sgpr 10
		.amdhsa_reserve_vcc 1
		.amdhsa_reserve_flat_scratch 0
		.amdhsa_float_round_mode_32 0
		.amdhsa_float_round_mode_16_64 0
		.amdhsa_float_denorm_mode_32 3
		.amdhsa_float_denorm_mode_16_64 3
		.amdhsa_dx10_clamp 1
		.amdhsa_ieee_mode 1
		.amdhsa_fp16_overflow 0
		.amdhsa_exception_fp_ieee_invalid_op 0
		.amdhsa_exception_fp_denorm_src 0
		.amdhsa_exception_fp_ieee_div_zero 0
		.amdhsa_exception_fp_ieee_overflow 0
		.amdhsa_exception_fp_ieee_underflow 0
		.amdhsa_exception_fp_ieee_inexact 0
		.amdhsa_exception_int_div_zero 0
	.end_amdhsa_kernel
	.section	.text._ZN9rocsparseL34gtsv_solve_spike_grid_level_kernelILj8EfEEviiiPT0_PKS1_S4_,"axG",@progbits,_ZN9rocsparseL34gtsv_solve_spike_grid_level_kernelILj8EfEEviiiPT0_PKS1_S4_,comdat
.Lfunc_end9:
	.size	_ZN9rocsparseL34gtsv_solve_spike_grid_level_kernelILj8EfEEviiiPT0_PKS1_S4_, .Lfunc_end9-_ZN9rocsparseL34gtsv_solve_spike_grid_level_kernelILj8EfEEviiiPT0_PKS1_S4_
                                        ; -- End function
	.set _ZN9rocsparseL34gtsv_solve_spike_grid_level_kernelILj8EfEEviiiPT0_PKS1_S4_.num_vgpr, 27
	.set _ZN9rocsparseL34gtsv_solve_spike_grid_level_kernelILj8EfEEviiiPT0_PKS1_S4_.num_agpr, 0
	.set _ZN9rocsparseL34gtsv_solve_spike_grid_level_kernelILj8EfEEviiiPT0_PKS1_S4_.numbered_sgpr, 10
	.set _ZN9rocsparseL34gtsv_solve_spike_grid_level_kernelILj8EfEEviiiPT0_PKS1_S4_.num_named_barrier, 0
	.set _ZN9rocsparseL34gtsv_solve_spike_grid_level_kernelILj8EfEEviiiPT0_PKS1_S4_.private_seg_size, 0
	.set _ZN9rocsparseL34gtsv_solve_spike_grid_level_kernelILj8EfEEviiiPT0_PKS1_S4_.uses_vcc, 1
	.set _ZN9rocsparseL34gtsv_solve_spike_grid_level_kernelILj8EfEEviiiPT0_PKS1_S4_.uses_flat_scratch, 0
	.set _ZN9rocsparseL34gtsv_solve_spike_grid_level_kernelILj8EfEEviiiPT0_PKS1_S4_.has_dyn_sized_stack, 0
	.set _ZN9rocsparseL34gtsv_solve_spike_grid_level_kernelILj8EfEEviiiPT0_PKS1_S4_.has_recursion, 0
	.set _ZN9rocsparseL34gtsv_solve_spike_grid_level_kernelILj8EfEEviiiPT0_PKS1_S4_.has_indirect_call, 0
	.section	.AMDGPU.csdata,"",@progbits
; Kernel info:
; codeLenInByte = 1476
; TotalNumSgprs: 14
; NumVgprs: 27
; ScratchSize: 0
; MemoryBound: 0
; FloatMode: 240
; IeeeMode: 1
; LDSByteSize: 192 bytes/workgroup (compile time only)
; SGPRBlocks: 1
; VGPRBlocks: 6
; NumSGPRsForWavesPerEU: 14
; NumVGPRsForWavesPerEU: 27
; Occupancy: 9
; WaveLimiterHint : 0
; COMPUTE_PGM_RSRC2:SCRATCH_EN: 0
; COMPUTE_PGM_RSRC2:USER_SGPR: 6
; COMPUTE_PGM_RSRC2:TRAP_HANDLER: 0
; COMPUTE_PGM_RSRC2:TGID_X_EN: 1
; COMPUTE_PGM_RSRC2:TGID_Y_EN: 1
; COMPUTE_PGM_RSRC2:TGID_Z_EN: 0
; COMPUTE_PGM_RSRC2:TIDIG_COMP_CNT: 0
	.section	.text._ZN9rocsparseL34gtsv_solve_spike_grid_level_kernelILj16EfEEviiiPT0_PKS1_S4_,"axG",@progbits,_ZN9rocsparseL34gtsv_solve_spike_grid_level_kernelILj16EfEEviiiPT0_PKS1_S4_,comdat
	.globl	_ZN9rocsparseL34gtsv_solve_spike_grid_level_kernelILj16EfEEviiiPT0_PKS1_S4_ ; -- Begin function _ZN9rocsparseL34gtsv_solve_spike_grid_level_kernelILj16EfEEviiiPT0_PKS1_S4_
	.p2align	8
	.type	_ZN9rocsparseL34gtsv_solve_spike_grid_level_kernelILj16EfEEviiiPT0_PKS1_S4_,@function
_ZN9rocsparseL34gtsv_solve_spike_grid_level_kernelILj16EfEEviiiPT0_PKS1_S4_: ; @_ZN9rocsparseL34gtsv_solve_spike_grid_level_kernelILj16EfEEviiiPT0_PKS1_S4_
; %bb.0:
	s_load_dwordx4 s[0:3], s[4:5], 0x10
	s_load_dwordx2 s[8:9], s[4:5], 0x20
	v_lshl_or_b32 v3, s7, 5, v0
	v_mov_b32_e32 v4, 0
	v_lshlrev_b64 v[1:2], 2, v[3:4]
	v_or_b32_e32 v3, 16, v3
	s_waitcnt lgkmcnt(0)
	v_mov_b32_e32 v5, s1
	v_add_co_u32_e32 v1, vcc, s0, v1
	v_lshlrev_b64 v[3:4], 2, v[3:4]
	v_addc_co_u32_e32 v2, vcc, v5, v2, vcc
	v_lshlrev_b32_e32 v6, 2, v0
	v_add_co_u32_e32 v3, vcc, s0, v3
	global_load_dword v7, v6, s[2:3]
	global_load_dword v8, v6, s[2:3] offset:64
	global_load_dword v9, v6, s[8:9]
	global_load_dword v10, v6, s[8:9] offset:64
	v_addc_co_u32_e32 v4, vcc, v5, v4, vcc
	global_load_dword v11, v[1:2], off
	global_load_dword v12, v[3:4], off
	v_or_b32_e32 v5, 0x100, v6
	v_cmp_gt_u32_e64 s[0:1], 8, v0
	s_waitcnt vmcnt(4)
	ds_write2_b32 v6, v7, v8 offset0:32 offset1:48
	s_waitcnt vmcnt(2)
	ds_write2_b32 v6, v9, v10 offset1:16
	s_waitcnt vmcnt(0)
	ds_write2_b32 v6, v11, v12 offset0:64 offset1:80
	s_waitcnt lgkmcnt(0)
	; wave barrier
	s_and_saveexec_b64 s[2:3], s[0:1]
	s_cbranch_execz .LBB10_2
; %bb.1:
	v_or_b32_e32 v7, 0x80, v6
	v_add_u32_e32 v22, v6, v6
	v_add_u32_e32 v21, v7, v6
	ds_read2_b64 v[7:10], v22 offset1:8
	ds_read2_b64 v[11:14], v21 offset1:8
	v_add_u32_e32 v23, v5, v6
	s_waitcnt lgkmcnt(1)
	v_mul_f32_e32 v25, v9, v8
	s_waitcnt lgkmcnt(0)
	v_fma_f32 v19, -v12, v9, 1.0
	v_div_scale_f32 v15, s[4:5], v19, v19, 1.0
	v_div_scale_f32 v16, vcc, 1.0, v19, 1.0
	v_rcp_f32_e32 v17, v15
	v_fma_f32 v18, -v15, v17, 1.0
	v_fmac_f32_e32 v17, v18, v17
	v_mul_f32_e32 v18, v16, v17
	v_fma_f32 v20, -v15, v18, v16
	v_fmac_f32_e32 v18, v20, v17
	v_fma_f32 v15, -v15, v18, v16
	v_div_fmas_f32 v20, v15, v17, v18
	ds_read2_b64 v[15:18], v23 offset1:8
	s_waitcnt lgkmcnt(0)
	v_fma_f32 v24, -v9, v16, v17
	v_fma_f32 v9, -v12, v17, v16
	v_mul_f32_e32 v12, v12, v13
	v_div_fixup_f32 v26, v20, v19, 1.0
	v_mul_f32_e32 v16, v9, v26
	v_mul_f32_e32 v17, v26, v24
	v_fma_f32 v15, -v16, v7, v15
	v_fma_f32 v18, -v14, v17, v18
	v_mul_f32_e64 v9, v12, -v26
	v_mul_f32_e32 v12, v26, v8
	v_mul_f32_e64 v19, v25, -v26
	v_mul_f32_e32 v13, v26, v13
	v_fma_f32 v8, -v9, v7, v11
	v_mul_f32_e64 v11, v12, -v7
	v_fma_f32 v20, -v19, v14, v10
	v_mul_f32_e64 v14, v13, -v14
	ds_write2_b64 v23, v[15:16], v[17:18] offset1:8
	ds_write2_b64 v22, v[11:12], v[19:20] offset1:8
	;; [unrolled: 1-line block ×3, first 2 shown]
.LBB10_2:
	s_or_b64 exec, exec, s[2:3]
	v_cmp_gt_u32_e64 s[2:3], 4, v0
	v_lshlrev_b32_e32 v7, 4, v0
	s_waitcnt lgkmcnt(0)
	; wave barrier
	s_and_saveexec_b64 s[4:5], s[2:3]
	s_cbranch_execz .LBB10_4
; %bb.3:
	v_mad_u32_u24 v20, v0, 12, v6
	ds_read2_b32 v[8:9], v7 offset0:32 offset1:34
	ds_read2_b32 v[10:11], v20 offset0:17 offset1:19
	v_mad_u32_u24 v23, v0, 12, v5
	s_waitcnt lgkmcnt(0)
	v_fma_f32 v21, -v9, v10, 1.0
	v_div_scale_f32 v12, s[6:7], v21, v21, 1.0
	v_div_scale_f32 v13, vcc, 1.0, v21, 1.0
	v_rcp_f32_e32 v14, v12
	v_fma_f32 v15, -v12, v14, 1.0
	v_fmac_f32_e32 v14, v15, v14
	v_mul_f32_e32 v15, v13, v14
	v_fma_f32 v16, -v12, v15, v13
	v_fmac_f32_e32 v15, v16, v14
	v_fma_f32 v12, -v12, v15, v13
	v_div_fmas_f32 v22, v12, v14, v15
	ds_read2_b32 v[12:13], v7 offset0:49 offset1:51
	ds_read2_b32 v[14:15], v23 offset0:17 offset1:19
	ds_read2_b32 v[16:17], v23 offset1:2
	ds_read2_b32 v[18:19], v20 offset1:2
	s_waitcnt lgkmcnt(1)
	v_fma_f32 v25, -v10, v17, v14
	v_mul_f32_e32 v24, v9, v12
	v_fma_f32 v9, -v9, v14, v17
	s_waitcnt lgkmcnt(0)
	v_mul_f32_e32 v10, v10, v19
	v_div_fixup_f32 v14, v22, v21, 1.0
	v_mul_f32_e32 v9, v9, v14
	v_mul_f32_e32 v17, v14, v25
	v_mul_f32_e64 v10, v10, -v14
	v_mul_f32_e32 v19, v14, v19
	v_mul_f32_e64 v21, v24, -v14
	v_mul_f32_e32 v12, v14, v12
	v_fma_f32 v14, -v9, v18, v16
	v_fma_f32 v15, -v13, v17, v15
	;; [unrolled: 1-line block ×3, first 2 shown]
	v_mul_f32_e64 v16, v19, -v18
	v_fma_f32 v11, -v10, v13, v11
	v_mul_f32_e64 v13, v12, -v13
	ds_write2_b32 v23, v14, v9 offset1:2
	ds_write2_b32 v23, v17, v15 offset0:17 offset1:19
	ds_write2_b32 v7, v8, v21 offset0:32 offset1:34
	ds_write2_b32 v20, v16, v19 offset1:2
	ds_write2_b32 v20, v10, v11 offset0:17 offset1:19
	ds_write2_b32 v7, v12, v13 offset0:49 offset1:51
.LBB10_4:
	s_or_b64 exec, exec, s[4:5]
	v_cmp_gt_u32_e64 s[4:5], 2, v0
	v_lshlrev_b32_e32 v8, 5, v0
	s_waitcnt lgkmcnt(0)
	; wave barrier
	s_and_saveexec_b64 s[6:7], s[4:5]
	s_cbranch_execz .LBB10_6
; %bb.5:
	ds_read2_b32 v[9:10], v8 offset0:32 offset1:36
	ds_read2_b32 v[11:12], v8 offset0:19 offset1:23
	s_waitcnt lgkmcnt(0)
	v_fma_f32 v21, -v10, v11, 1.0
	v_div_scale_f32 v13, s[8:9], v21, v21, 1.0
	v_div_scale_f32 v14, vcc, 1.0, v21, 1.0
	v_rcp_f32_e32 v15, v13
	v_fma_f32 v16, -v13, v15, 1.0
	v_fmac_f32_e32 v15, v16, v15
	v_mul_f32_e32 v16, v14, v15
	v_fma_f32 v17, -v13, v16, v14
	v_fmac_f32_e32 v16, v17, v15
	v_fma_f32 v13, -v13, v16, v14
	v_div_fmas_f32 v22, v13, v15, v16
	ds_read2_b32 v[13:14], v8 offset0:83 offset1:87
	ds_read2_b32 v[15:16], v8 offset0:64 offset1:68
	ds_read2_b32 v[17:18], v8 offset1:4
	ds_read2_b32 v[19:20], v8 offset0:51 offset1:55
	s_waitcnt lgkmcnt(2)
	v_fma_f32 v23, -v11, v16, v13
	v_fma_f32 v13, -v10, v13, v16
	s_waitcnt lgkmcnt(1)
	v_mul_f32_e32 v11, v11, v18
	s_waitcnt lgkmcnt(0)
	v_mul_f32_e32 v10, v10, v19
	v_div_fixup_f32 v16, v22, v21, 1.0
	v_mul_f32_e32 v13, v13, v16
	v_mul_f32_e32 v21, v16, v23
	v_mul_f32_e64 v11, v11, -v16
	v_mul_f32_e32 v18, v16, v18
	v_mul_f32_e64 v10, v10, -v16
	v_mul_f32_e32 v16, v16, v19
	v_fma_f32 v15, -v13, v17, v15
	v_fma_f32 v14, -v20, v21, v14
	;; [unrolled: 1-line block ×3, first 2 shown]
	v_mul_f32_e64 v17, v18, -v17
	v_fma_f32 v12, -v11, v20, v12
	v_mul_f32_e64 v19, v16, -v20
	ds_write2_b32 v8, v15, v13 offset0:64 offset1:68
	ds_write2_b32 v8, v21, v14 offset0:83 offset1:87
	;; [unrolled: 1-line block ×3, first 2 shown]
	ds_write2_b32 v8, v17, v18 offset1:4
	ds_write2_b32 v8, v11, v12 offset0:19 offset1:23
	ds_write2_b32 v8, v16, v19 offset0:51 offset1:55
.LBB10_6:
	s_or_b64 exec, exec, s[6:7]
	v_cmp_eq_u32_e32 vcc, 0, v0
	s_waitcnt lgkmcnt(0)
	; wave barrier
	s_and_saveexec_b64 s[6:7], vcc
	s_cbranch_execz .LBB10_8
; %bb.7:
	v_mov_b32_e32 v21, 0
	ds_read2_b32 v[9:10], v21 offset0:23 offset1:40
	s_waitcnt lgkmcnt(0)
	v_fma_f32 v22, -v10, v9, 1.0
	v_div_scale_f32 v11, s[8:9], v22, v22, 1.0
	v_div_scale_f32 v12, vcc, 1.0, v22, 1.0
	v_rcp_f32_e32 v13, v11
	v_fma_f32 v14, -v11, v13, 1.0
	v_fmac_f32_e32 v13, v14, v13
	v_mul_f32_e32 v14, v12, v13
	v_fma_f32 v15, -v11, v14, v12
	v_fmac_f32_e32 v14, v15, v13
	v_fma_f32 v11, -v11, v14, v12
	v_div_fmas_f32 v23, v11, v13, v14
	ds_read2_b32 v[11:12], v21 offset0:87 offset1:95
	ds_read2_b32 v[13:14], v21 offset0:55 offset1:72
	ds_read2_b32 v[15:16], v21 offset1:8
	ds_read2_b32 v[17:18], v21 offset0:63 offset1:64
	ds_read2_b32 v[19:20], v21 offset0:31 offset1:32
	s_waitcnt lgkmcnt(3)
	v_fma_f32 v24, -v9, v14, v11
	v_fma_f32 v11, -v10, v11, v14
	s_waitcnt lgkmcnt(2)
	v_mul_f32_e32 v9, v9, v16
	v_mul_f32_e32 v10, v10, v13
	v_div_fixup_f32 v14, v23, v22, 1.0
	v_mul_f32_e32 v22, v14, v24
	v_mul_f32_e32 v11, v11, v14
	v_mul_f32_e64 v9, v9, -v14
	v_mul_f32_e32 v16, v14, v16
	v_mul_f32_e64 v10, v10, -v14
	v_mul_f32_e32 v13, v14, v13
	s_waitcnt lgkmcnt(1)
	v_fma_f32 v12, -v17, v22, v12
	v_fma_f32 v14, -v11, v15, v18
	ds_write2_b32 v21, v9, v10 offset0:23 offset1:40
	ds_write2_b32 v21, v13, v11 offset0:55 offset1:72
	s_waitcnt lgkmcnt(2)
	v_fma_f32 v10, -v10, v15, v20
	v_mul_f32_e64 v11, v16, -v15
	v_fma_f32 v9, -v9, v17, v19
	v_mul_f32_e64 v13, v13, -v17
	ds_write2_b32 v21, v22, v12 offset0:87 offset1:95
	ds_write2_b32 v21, v11, v16 offset1:8
	ds_write2_b32 v21, v9, v10 offset0:31 offset1:32
	ds_write2_b32 v21, v13, v14 offset0:63 offset1:64
.LBB10_8:
	s_or_b64 exec, exec, s[6:7]
	v_lshlrev_b32_e32 v9, 3, v0
	s_waitcnt lgkmcnt(0)
	; wave barrier
	s_and_saveexec_b64 s[6:7], s[4:5]
	s_cbranch_execz .LBB10_10
; %bb.9:
	v_max_u32_e32 v14, 1, v9
	v_min_u32_e32 v16, 7, v9
	ds_read2_b32 v[10:11], v8 offset0:68 offset1:83
	ds_read2_b32 v[12:13], v8 offset0:36 offset1:51
	v_lshlrev_b32_e32 v17, 2, v14
	ds_read2_b32 v[14:15], v8 offset0:4 offset1:19
	v_lshlrev_b32_e32 v16, 2, v16
	ds_read_b32 v18, v17 offset:316
	ds_read_b32 v19, v16 offset:288
	s_waitcnt lgkmcnt(1)
	v_fma_f32 v11, -v13, v18, v11
	s_waitcnt lgkmcnt(0)
	v_fma_f32 v11, -v15, v19, v11
	ds_write_b32 v8, v11 offset:332
	ds_read_b32 v11, v17 offset:316
	s_waitcnt lgkmcnt(0)
	v_fma_f32 v10, -v12, v11, v10
	ds_write_b32 v8, v10 offset:272
	ds_read_b32 v11, v16 offset:288
	s_waitcnt lgkmcnt(0)
	v_fma_f32 v10, -v14, v11, v10
	ds_write_b32 v8, v10 offset:272
.LBB10_10:
	s_or_b64 exec, exec, s[6:7]
	s_waitcnt lgkmcnt(0)
	; wave barrier
	s_and_saveexec_b64 s[4:5], s[2:3]
	s_cbranch_execz .LBB10_12
; %bb.11:
	v_max_u32_e32 v8, 1, v6
	v_min_u32_e32 v6, 11, v6
	ds_read2_b32 v[10:11], v7 offset0:66 offset1:81
	ds_read2_b32 v[12:13], v7 offset0:34 offset1:49
	v_lshlrev_b32_e32 v8, 2, v8
	ds_read2_b32 v[14:15], v7 offset0:2 offset1:17
	v_lshlrev_b32_e32 v6, 2, v6
	ds_read_b32 v16, v8 offset:316
	ds_read_b32 v17, v6 offset:272
	s_waitcnt lgkmcnt(1)
	v_fma_f32 v11, -v13, v16, v11
	s_waitcnt lgkmcnt(0)
	v_fma_f32 v11, -v15, v17, v11
	ds_write_b32 v7, v11 offset:324
	ds_read_b32 v8, v8 offset:316
	s_waitcnt lgkmcnt(0)
	v_fma_f32 v8, -v12, v8, v10
	ds_write_b32 v7, v8 offset:264
	ds_read_b32 v6, v6 offset:272
	s_waitcnt lgkmcnt(0)
	v_fma_f32 v6, -v14, v6, v8
	ds_write_b32 v7, v6 offset:264
.LBB10_12:
	s_or_b64 exec, exec, s[4:5]
	s_waitcnt lgkmcnt(0)
	; wave barrier
	s_and_saveexec_b64 s[2:3], s[0:1]
	s_cbranch_execz .LBB10_14
; %bb.13:
	v_lshlrev_b32_e32 v0, 1, v0
	v_max_u32_e32 v8, 1, v0
	v_min_u32_e32 v0, 13, v0
	ds_read2_b32 v[6:7], v9 offset0:65 offset1:80
	ds_read2_b32 v[10:11], v9 offset0:33 offset1:48
	v_lshlrev_b32_e32 v8, 2, v8
	ds_read2_b32 v[12:13], v9 offset0:1 offset1:16
	v_lshlrev_b32_e32 v0, 2, v0
	ds_read_b32 v14, v8 offset:316
	ds_read_b32 v15, v0 offset:264
	s_waitcnt lgkmcnt(1)
	v_fma_f32 v7, -v11, v14, v7
	s_waitcnt lgkmcnt(0)
	v_fma_f32 v7, -v13, v15, v7
	ds_write_b32 v9, v7 offset:320
	ds_read_b32 v7, v8 offset:316
	s_waitcnt lgkmcnt(0)
	v_fma_f32 v6, -v10, v7, v6
	ds_write_b32 v9, v6 offset:260
	ds_read_b32 v0, v0 offset:264
	s_waitcnt lgkmcnt(0)
	v_fma_f32 v0, -v12, v0, v6
	ds_write_b32 v9, v0 offset:260
.LBB10_14:
	s_or_b64 exec, exec, s[2:3]
	s_waitcnt lgkmcnt(0)
	; wave barrier
	ds_read2_b32 v[5:6], v5 offset1:16
	s_waitcnt lgkmcnt(0)
	global_store_dword v[1:2], v5, off
	global_store_dword v[3:4], v6, off
	s_endpgm
	.section	.rodata,"a",@progbits
	.p2align	6, 0x0
	.amdhsa_kernel _ZN9rocsparseL34gtsv_solve_spike_grid_level_kernelILj16EfEEviiiPT0_PKS1_S4_
		.amdhsa_group_segment_fixed_size 384
		.amdhsa_private_segment_fixed_size 0
		.amdhsa_kernarg_size 40
		.amdhsa_user_sgpr_count 6
		.amdhsa_user_sgpr_private_segment_buffer 1
		.amdhsa_user_sgpr_dispatch_ptr 0
		.amdhsa_user_sgpr_queue_ptr 0
		.amdhsa_user_sgpr_kernarg_segment_ptr 1
		.amdhsa_user_sgpr_dispatch_id 0
		.amdhsa_user_sgpr_flat_scratch_init 0
		.amdhsa_user_sgpr_private_segment_size 0
		.amdhsa_uses_dynamic_stack 0
		.amdhsa_system_sgpr_private_segment_wavefront_offset 0
		.amdhsa_system_sgpr_workgroup_id_x 1
		.amdhsa_system_sgpr_workgroup_id_y 1
		.amdhsa_system_sgpr_workgroup_id_z 0
		.amdhsa_system_sgpr_workgroup_info 0
		.amdhsa_system_vgpr_workitem_id 0
		.amdhsa_next_free_vgpr 27
		.amdhsa_next_free_sgpr 10
		.amdhsa_reserve_vcc 1
		.amdhsa_reserve_flat_scratch 0
		.amdhsa_float_round_mode_32 0
		.amdhsa_float_round_mode_16_64 0
		.amdhsa_float_denorm_mode_32 3
		.amdhsa_float_denorm_mode_16_64 3
		.amdhsa_dx10_clamp 1
		.amdhsa_ieee_mode 1
		.amdhsa_fp16_overflow 0
		.amdhsa_exception_fp_ieee_invalid_op 0
		.amdhsa_exception_fp_denorm_src 0
		.amdhsa_exception_fp_ieee_div_zero 0
		.amdhsa_exception_fp_ieee_overflow 0
		.amdhsa_exception_fp_ieee_underflow 0
		.amdhsa_exception_fp_ieee_inexact 0
		.amdhsa_exception_int_div_zero 0
	.end_amdhsa_kernel
	.section	.text._ZN9rocsparseL34gtsv_solve_spike_grid_level_kernelILj16EfEEviiiPT0_PKS1_S4_,"axG",@progbits,_ZN9rocsparseL34gtsv_solve_spike_grid_level_kernelILj16EfEEviiiPT0_PKS1_S4_,comdat
.Lfunc_end10:
	.size	_ZN9rocsparseL34gtsv_solve_spike_grid_level_kernelILj16EfEEviiiPT0_PKS1_S4_, .Lfunc_end10-_ZN9rocsparseL34gtsv_solve_spike_grid_level_kernelILj16EfEEviiiPT0_PKS1_S4_
                                        ; -- End function
	.set _ZN9rocsparseL34gtsv_solve_spike_grid_level_kernelILj16EfEEviiiPT0_PKS1_S4_.num_vgpr, 27
	.set _ZN9rocsparseL34gtsv_solve_spike_grid_level_kernelILj16EfEEviiiPT0_PKS1_S4_.num_agpr, 0
	.set _ZN9rocsparseL34gtsv_solve_spike_grid_level_kernelILj16EfEEviiiPT0_PKS1_S4_.numbered_sgpr, 10
	.set _ZN9rocsparseL34gtsv_solve_spike_grid_level_kernelILj16EfEEviiiPT0_PKS1_S4_.num_named_barrier, 0
	.set _ZN9rocsparseL34gtsv_solve_spike_grid_level_kernelILj16EfEEviiiPT0_PKS1_S4_.private_seg_size, 0
	.set _ZN9rocsparseL34gtsv_solve_spike_grid_level_kernelILj16EfEEviiiPT0_PKS1_S4_.uses_vcc, 1
	.set _ZN9rocsparseL34gtsv_solve_spike_grid_level_kernelILj16EfEEviiiPT0_PKS1_S4_.uses_flat_scratch, 0
	.set _ZN9rocsparseL34gtsv_solve_spike_grid_level_kernelILj16EfEEviiiPT0_PKS1_S4_.has_dyn_sized_stack, 0
	.set _ZN9rocsparseL34gtsv_solve_spike_grid_level_kernelILj16EfEEviiiPT0_PKS1_S4_.has_recursion, 0
	.set _ZN9rocsparseL34gtsv_solve_spike_grid_level_kernelILj16EfEEviiiPT0_PKS1_S4_.has_indirect_call, 0
	.section	.AMDGPU.csdata,"",@progbits
; Kernel info:
; codeLenInByte = 1964
; TotalNumSgprs: 14
; NumVgprs: 27
; ScratchSize: 0
; MemoryBound: 0
; FloatMode: 240
; IeeeMode: 1
; LDSByteSize: 384 bytes/workgroup (compile time only)
; SGPRBlocks: 1
; VGPRBlocks: 6
; NumSGPRsForWavesPerEU: 14
; NumVGPRsForWavesPerEU: 27
; Occupancy: 9
; WaveLimiterHint : 0
; COMPUTE_PGM_RSRC2:SCRATCH_EN: 0
; COMPUTE_PGM_RSRC2:USER_SGPR: 6
; COMPUTE_PGM_RSRC2:TRAP_HANDLER: 0
; COMPUTE_PGM_RSRC2:TGID_X_EN: 1
; COMPUTE_PGM_RSRC2:TGID_Y_EN: 1
; COMPUTE_PGM_RSRC2:TGID_Z_EN: 0
; COMPUTE_PGM_RSRC2:TIDIG_COMP_CNT: 0
	.section	.text._ZN9rocsparseL34gtsv_solve_spike_grid_level_kernelILj32EfEEviiiPT0_PKS1_S4_,"axG",@progbits,_ZN9rocsparseL34gtsv_solve_spike_grid_level_kernelILj32EfEEviiiPT0_PKS1_S4_,comdat
	.globl	_ZN9rocsparseL34gtsv_solve_spike_grid_level_kernelILj32EfEEviiiPT0_PKS1_S4_ ; -- Begin function _ZN9rocsparseL34gtsv_solve_spike_grid_level_kernelILj32EfEEviiiPT0_PKS1_S4_
	.p2align	8
	.type	_ZN9rocsparseL34gtsv_solve_spike_grid_level_kernelILj32EfEEviiiPT0_PKS1_S4_,@function
_ZN9rocsparseL34gtsv_solve_spike_grid_level_kernelILj32EfEEviiiPT0_PKS1_S4_: ; @_ZN9rocsparseL34gtsv_solve_spike_grid_level_kernelILj32EfEEviiiPT0_PKS1_S4_
; %bb.0:
	s_load_dwordx4 s[0:3], s[4:5], 0x10
	s_load_dwordx2 s[8:9], s[4:5], 0x20
	v_lshl_or_b32 v3, s7, 6, v0
	v_mov_b32_e32 v4, 0
	v_lshlrev_b64 v[1:2], 2, v[3:4]
	v_or_b32_e32 v3, 32, v3
	s_waitcnt lgkmcnt(0)
	v_mov_b32_e32 v5, s1
	v_add_co_u32_e32 v1, vcc, s0, v1
	v_lshlrev_b64 v[3:4], 2, v[3:4]
	v_addc_co_u32_e32 v2, vcc, v5, v2, vcc
	v_lshlrev_b32_e32 v6, 2, v0
	v_add_co_u32_e32 v3, vcc, s0, v3
	global_load_dword v7, v6, s[2:3]
	global_load_dword v8, v6, s[2:3] offset:128
	global_load_dword v9, v6, s[8:9]
	global_load_dword v10, v6, s[8:9] offset:128
	v_addc_co_u32_e32 v4, vcc, v5, v4, vcc
	global_load_dword v11, v[1:2], off
	global_load_dword v12, v[3:4], off
	v_or_b32_e32 v5, 0x200, v6
	v_cmp_gt_u32_e64 s[0:1], 16, v0
	s_waitcnt vmcnt(4)
	ds_write2_b32 v6, v7, v8 offset0:64 offset1:96
	s_waitcnt vmcnt(2)
	ds_write2_b32 v6, v9, v10 offset1:32
	s_waitcnt vmcnt(0)
	ds_write2_b32 v6, v11, v12 offset0:128 offset1:160
	s_waitcnt lgkmcnt(0)
	; wave barrier
	s_and_saveexec_b64 s[2:3], s[0:1]
	s_cbranch_execz .LBB11_2
; %bb.1:
	v_or_b32_e32 v7, 0x100, v6
	v_add_u32_e32 v22, v6, v6
	v_add_u32_e32 v21, v7, v6
	ds_read2_b64 v[7:10], v22 offset1:16
	ds_read2_b64 v[11:14], v21 offset1:16
	v_add_u32_e32 v23, v5, v6
	s_waitcnt lgkmcnt(1)
	v_mul_f32_e32 v25, v9, v8
	s_waitcnt lgkmcnt(0)
	v_fma_f32 v19, -v12, v9, 1.0
	v_div_scale_f32 v15, s[4:5], v19, v19, 1.0
	v_div_scale_f32 v16, vcc, 1.0, v19, 1.0
	v_rcp_f32_e32 v17, v15
	v_fma_f32 v18, -v15, v17, 1.0
	v_fmac_f32_e32 v17, v18, v17
	v_mul_f32_e32 v18, v16, v17
	v_fma_f32 v20, -v15, v18, v16
	v_fmac_f32_e32 v18, v20, v17
	v_fma_f32 v15, -v15, v18, v16
	v_div_fmas_f32 v20, v15, v17, v18
	ds_read2_b64 v[15:18], v23 offset1:16
	s_waitcnt lgkmcnt(0)
	v_fma_f32 v24, -v9, v16, v17
	v_fma_f32 v9, -v12, v17, v16
	v_mul_f32_e32 v12, v12, v13
	v_div_fixup_f32 v26, v20, v19, 1.0
	v_mul_f32_e32 v16, v9, v26
	v_mul_f32_e32 v17, v26, v24
	v_fma_f32 v15, -v16, v7, v15
	v_fma_f32 v18, -v14, v17, v18
	v_mul_f32_e64 v9, v12, -v26
	v_mul_f32_e32 v12, v26, v8
	v_mul_f32_e64 v19, v25, -v26
	v_mul_f32_e32 v13, v26, v13
	v_fma_f32 v8, -v9, v7, v11
	v_mul_f32_e64 v11, v12, -v7
	v_fma_f32 v20, -v19, v14, v10
	v_mul_f32_e64 v14, v13, -v14
	ds_write2_b64 v23, v[15:16], v[17:18] offset1:16
	ds_write2_b64 v22, v[11:12], v[19:20] offset1:16
	;; [unrolled: 1-line block ×3, first 2 shown]
.LBB11_2:
	s_or_b64 exec, exec, s[2:3]
	v_cmp_gt_u32_e64 s[2:3], 8, v0
	v_lshlrev_b32_e32 v7, 4, v0
	s_waitcnt lgkmcnt(0)
	; wave barrier
	s_and_saveexec_b64 s[4:5], s[2:3]
	s_cbranch_execz .LBB11_4
; %bb.3:
	v_mad_u32_u24 v20, v0, 12, v6
	ds_read2_b32 v[8:9], v7 offset0:64 offset1:66
	ds_read2_b32 v[10:11], v20 offset0:33 offset1:35
	v_mad_u32_u24 v23, v0, 12, v5
	s_waitcnt lgkmcnt(0)
	v_fma_f32 v21, -v9, v10, 1.0
	v_div_scale_f32 v12, s[6:7], v21, v21, 1.0
	v_div_scale_f32 v13, vcc, 1.0, v21, 1.0
	v_rcp_f32_e32 v14, v12
	v_fma_f32 v15, -v12, v14, 1.0
	v_fmac_f32_e32 v14, v15, v14
	v_mul_f32_e32 v15, v13, v14
	v_fma_f32 v16, -v12, v15, v13
	v_fmac_f32_e32 v15, v16, v14
	v_fma_f32 v12, -v12, v15, v13
	v_div_fmas_f32 v22, v12, v14, v15
	ds_read2_b32 v[12:13], v7 offset0:97 offset1:99
	ds_read2_b32 v[14:15], v23 offset0:33 offset1:35
	ds_read2_b32 v[16:17], v23 offset1:2
	ds_read2_b32 v[18:19], v20 offset1:2
	s_waitcnt lgkmcnt(3)
	v_mul_f32_e32 v24, v9, v12
	s_waitcnt lgkmcnt(1)
	v_fma_f32 v25, -v10, v17, v14
	v_fma_f32 v9, -v9, v14, v17
	s_waitcnt lgkmcnt(0)
	v_mul_f32_e32 v10, v10, v19
	v_div_fixup_f32 v14, v22, v21, 1.0
	v_mul_f32_e32 v9, v9, v14
	v_mul_f32_e32 v17, v14, v25
	v_mul_f32_e64 v10, v10, -v14
	v_mul_f32_e32 v19, v14, v19
	v_mul_f32_e64 v21, v24, -v14
	v_mul_f32_e32 v12, v14, v12
	v_fma_f32 v14, -v9, v18, v16
	v_fma_f32 v15, -v13, v17, v15
	;; [unrolled: 1-line block ×3, first 2 shown]
	v_mul_f32_e64 v16, v19, -v18
	v_fma_f32 v11, -v10, v13, v11
	v_mul_f32_e64 v13, v12, -v13
	ds_write2_b32 v23, v14, v9 offset1:2
	ds_write2_b32 v23, v17, v15 offset0:33 offset1:35
	ds_write2_b32 v7, v8, v21 offset0:64 offset1:66
	ds_write2_b32 v20, v16, v19 offset1:2
	ds_write2_b32 v20, v10, v11 offset0:33 offset1:35
	ds_write2_b32 v7, v12, v13 offset0:97 offset1:99
.LBB11_4:
	s_or_b64 exec, exec, s[4:5]
	v_cmp_gt_u32_e64 s[4:5], 4, v0
	v_lshlrev_b32_e32 v8, 5, v0
	s_waitcnt lgkmcnt(0)
	; wave barrier
	s_and_saveexec_b64 s[6:7], s[4:5]
	s_cbranch_execz .LBB11_6
; %bb.5:
	ds_read2_b32 v[9:10], v8 offset0:64 offset1:68
	ds_read2_b32 v[11:12], v8 offset0:35 offset1:39
	s_waitcnt lgkmcnt(0)
	v_fma_f32 v21, -v10, v11, 1.0
	v_div_scale_f32 v13, s[8:9], v21, v21, 1.0
	v_div_scale_f32 v14, vcc, 1.0, v21, 1.0
	v_rcp_f32_e32 v15, v13
	v_fma_f32 v16, -v13, v15, 1.0
	v_fmac_f32_e32 v15, v16, v15
	v_mul_f32_e32 v16, v14, v15
	v_fma_f32 v17, -v13, v16, v14
	v_fmac_f32_e32 v16, v17, v15
	v_fma_f32 v13, -v13, v16, v14
	v_div_fmas_f32 v22, v13, v15, v16
	ds_read2_b32 v[13:14], v8 offset0:163 offset1:167
	ds_read2_b32 v[15:16], v8 offset0:128 offset1:132
	ds_read2_b32 v[17:18], v8 offset1:4
	ds_read2_b32 v[19:20], v8 offset0:99 offset1:103
	s_waitcnt lgkmcnt(2)
	v_fma_f32 v23, -v11, v16, v13
	v_fma_f32 v13, -v10, v13, v16
	s_waitcnt lgkmcnt(1)
	v_mul_f32_e32 v11, v11, v18
	s_waitcnt lgkmcnt(0)
	v_mul_f32_e32 v10, v10, v19
	v_div_fixup_f32 v16, v22, v21, 1.0
	v_mul_f32_e32 v13, v13, v16
	v_mul_f32_e32 v21, v16, v23
	v_mul_f32_e64 v11, v11, -v16
	v_mul_f32_e32 v18, v16, v18
	v_mul_f32_e64 v10, v10, -v16
	v_mul_f32_e32 v16, v16, v19
	v_fma_f32 v15, -v13, v17, v15
	v_fma_f32 v14, -v20, v21, v14
	;; [unrolled: 1-line block ×3, first 2 shown]
	v_mul_f32_e64 v17, v18, -v17
	v_fma_f32 v12, -v11, v20, v12
	v_mul_f32_e64 v19, v16, -v20
	ds_write2_b32 v8, v15, v13 offset0:128 offset1:132
	ds_write2_b32 v8, v21, v14 offset0:163 offset1:167
	;; [unrolled: 1-line block ×3, first 2 shown]
	ds_write2_b32 v8, v17, v18 offset1:4
	ds_write2_b32 v8, v11, v12 offset0:35 offset1:39
	ds_write2_b32 v8, v16, v19 offset0:99 offset1:103
.LBB11_6:
	s_or_b64 exec, exec, s[6:7]
	v_cmp_gt_u32_e64 s[6:7], 2, v0
	v_lshlrev_b32_e32 v9, 6, v0
	s_waitcnt lgkmcnt(0)
	; wave barrier
	s_and_saveexec_b64 s[8:9], s[6:7]
	s_cbranch_execz .LBB11_8
; %bb.7:
	ds_read2_b32 v[10:11], v9 offset0:64 offset1:72
	ds_read2_b32 v[12:13], v9 offset0:39 offset1:47
	s_waitcnt lgkmcnt(0)
	v_fma_f32 v22, -v11, v12, 1.0
	v_div_scale_f32 v14, s[10:11], v22, v22, 1.0
	v_div_scale_f32 v15, vcc, 1.0, v22, 1.0
	v_rcp_f32_e32 v16, v14
	v_fma_f32 v17, -v14, v16, 1.0
	v_fmac_f32_e32 v16, v17, v16
	v_mul_f32_e32 v17, v15, v16
	v_fma_f32 v18, -v14, v17, v15
	v_fmac_f32_e32 v17, v18, v16
	v_fma_f32 v14, -v14, v17, v15
	v_div_fmas_f32 v23, v14, v16, v17
	ds_read2_b32 v[14:15], v9 offset0:167 offset1:175
	ds_read2_b32 v[16:17], v9 offset0:128 offset1:136
	ds_read2_b32 v[18:19], v9 offset1:8
	ds_read2_b32 v[20:21], v9 offset0:103 offset1:111
	s_waitcnt lgkmcnt(2)
	v_fma_f32 v24, -v12, v17, v14
	v_fma_f32 v14, -v11, v14, v17
	s_waitcnt lgkmcnt(1)
	v_mul_f32_e32 v12, v12, v19
	s_waitcnt lgkmcnt(0)
	v_mul_f32_e32 v11, v11, v20
	v_div_fixup_f32 v17, v23, v22, 1.0
	v_mul_f32_e32 v14, v14, v17
	v_mul_f32_e32 v22, v17, v24
	v_mul_f32_e64 v12, v12, -v17
	v_mul_f32_e32 v19, v17, v19
	v_mul_f32_e64 v11, v11, -v17
	v_mul_f32_e32 v17, v17, v20
	v_fma_f32 v16, -v14, v18, v16
	v_fma_f32 v15, -v21, v22, v15
	;; [unrolled: 1-line block ×3, first 2 shown]
	v_mul_f32_e64 v18, v19, -v18
	v_fma_f32 v13, -v12, v21, v13
	v_mul_f32_e64 v20, v17, -v21
	ds_write2_b32 v9, v16, v14 offset0:128 offset1:136
	ds_write2_b32 v9, v22, v15 offset0:167 offset1:175
	;; [unrolled: 1-line block ×3, first 2 shown]
	ds_write2_b32 v9, v18, v19 offset1:8
	ds_write2_b32 v9, v12, v13 offset0:39 offset1:47
	ds_write2_b32 v9, v17, v20 offset0:103 offset1:111
.LBB11_8:
	s_or_b64 exec, exec, s[8:9]
	v_cmp_eq_u32_e32 vcc, 0, v0
	s_waitcnt lgkmcnt(0)
	; wave barrier
	s_and_saveexec_b64 s[8:9], vcc
	s_cbranch_execz .LBB11_10
; %bb.9:
	v_mov_b32_e32 v22, 0
	ds_read2_b32 v[10:11], v22 offset0:47 offset1:80
	s_waitcnt lgkmcnt(0)
	v_fma_f32 v23, -v11, v10, 1.0
	v_div_scale_f32 v12, s[10:11], v23, v23, 1.0
	v_div_scale_f32 v13, vcc, 1.0, v23, 1.0
	v_rcp_f32_e32 v14, v12
	v_fma_f32 v15, -v12, v14, 1.0
	v_fmac_f32_e32 v14, v15, v14
	v_mul_f32_e32 v15, v13, v14
	v_fma_f32 v16, -v12, v15, v13
	v_fmac_f32_e32 v15, v16, v14
	v_fma_f32 v12, -v12, v15, v13
	v_div_fmas_f32 v24, v12, v14, v15
	ds_read2_b32 v[12:13], v22 offset0:175 offset1:191
	ds_read2_b32 v[14:15], v22 offset0:111 offset1:144
	ds_read2_b32 v[16:17], v22 offset1:16
	ds_read2_b32 v[18:19], v22 offset0:127 offset1:128
	ds_read2_b32 v[20:21], v22 offset0:63 offset1:64
	s_waitcnt lgkmcnt(3)
	v_fma_f32 v25, -v10, v15, v12
	v_fma_f32 v12, -v11, v12, v15
	s_waitcnt lgkmcnt(2)
	v_mul_f32_e32 v10, v10, v17
	v_mul_f32_e32 v11, v11, v14
	v_div_fixup_f32 v15, v24, v23, 1.0
	v_mul_f32_e32 v23, v15, v25
	v_mul_f32_e32 v12, v12, v15
	v_mul_f32_e64 v10, v10, -v15
	v_mul_f32_e32 v17, v15, v17
	v_mul_f32_e64 v11, v11, -v15
	v_mul_f32_e32 v14, v15, v14
	s_waitcnt lgkmcnt(1)
	v_fma_f32 v13, -v18, v23, v13
	v_fma_f32 v15, -v12, v16, v19
	ds_write2_b32 v22, v10, v11 offset0:47 offset1:80
	ds_write2_b32 v22, v14, v12 offset0:111 offset1:144
	s_waitcnt lgkmcnt(2)
	v_fma_f32 v11, -v11, v16, v21
	v_mul_f32_e64 v12, v17, -v16
	v_fma_f32 v10, -v10, v18, v20
	v_mul_f32_e64 v14, v14, -v18
	ds_write2_b32 v22, v23, v13 offset0:175 offset1:191
	ds_write2_b32 v22, v12, v17 offset1:16
	ds_write2_b32 v22, v10, v11 offset0:63 offset1:64
	ds_write2_b32 v22, v14, v15 offset0:127 offset1:128
.LBB11_10:
	s_or_b64 exec, exec, s[8:9]
	s_waitcnt lgkmcnt(0)
	; wave barrier
	s_and_saveexec_b64 s[8:9], s[6:7]
	s_cbranch_execz .LBB11_12
; %bb.11:
	v_max_u32_e32 v14, 1, v7
	v_min_u32_e32 v16, 15, v7
	ds_read2_b32 v[10:11], v9 offset0:136 offset1:167
	ds_read2_b32 v[12:13], v9 offset0:72 offset1:103
	v_lshlrev_b32_e32 v17, 2, v14
	ds_read2_b32 v[14:15], v9 offset0:8 offset1:39
	v_lshlrev_b32_e32 v16, 2, v16
	ds_read_b32 v18, v17 offset:636
	ds_read_b32 v19, v16 offset:576
	s_waitcnt lgkmcnt(1)
	v_fma_f32 v11, -v13, v18, v11
	s_waitcnt lgkmcnt(0)
	v_fma_f32 v11, -v15, v19, v11
	ds_write_b32 v9, v11 offset:668
	ds_read_b32 v11, v17 offset:636
	s_waitcnt lgkmcnt(0)
	v_fma_f32 v10, -v12, v11, v10
	ds_write_b32 v9, v10 offset:544
	ds_read_b32 v11, v16 offset:576
	s_waitcnt lgkmcnt(0)
	v_fma_f32 v10, -v14, v11, v10
	ds_write_b32 v9, v10 offset:544
.LBB11_12:
	s_or_b64 exec, exec, s[8:9]
	v_lshlrev_b32_e32 v9, 3, v0
	s_waitcnt lgkmcnt(0)
	; wave barrier
	s_and_saveexec_b64 s[6:7], s[4:5]
	s_cbranch_execz .LBB11_14
; %bb.13:
	v_max_u32_e32 v14, 1, v9
	v_min_u32_e32 v16, 23, v9
	ds_read2_b32 v[10:11], v8 offset0:132 offset1:163
	ds_read2_b32 v[12:13], v8 offset0:68 offset1:99
	v_lshlrev_b32_e32 v17, 2, v14
	ds_read2_b32 v[14:15], v8 offset0:4 offset1:35
	v_lshlrev_b32_e32 v16, 2, v16
	ds_read_b32 v18, v17 offset:636
	ds_read_b32 v19, v16 offset:544
	s_waitcnt lgkmcnt(1)
	v_fma_f32 v11, -v13, v18, v11
	s_waitcnt lgkmcnt(0)
	v_fma_f32 v11, -v15, v19, v11
	ds_write_b32 v8, v11 offset:652
	ds_read_b32 v11, v17 offset:636
	s_waitcnt lgkmcnt(0)
	v_fma_f32 v10, -v12, v11, v10
	ds_write_b32 v8, v10 offset:528
	ds_read_b32 v11, v16 offset:544
	s_waitcnt lgkmcnt(0)
	v_fma_f32 v10, -v14, v11, v10
	ds_write_b32 v8, v10 offset:528
.LBB11_14:
	s_or_b64 exec, exec, s[6:7]
	s_waitcnt lgkmcnt(0)
	; wave barrier
	s_and_saveexec_b64 s[4:5], s[2:3]
	s_cbranch_execz .LBB11_16
; %bb.15:
	v_max_u32_e32 v8, 1, v6
	v_min_u32_e32 v6, 27, v6
	ds_read2_b32 v[10:11], v7 offset0:130 offset1:161
	ds_read2_b32 v[12:13], v7 offset0:66 offset1:97
	v_lshlrev_b32_e32 v8, 2, v8
	ds_read2_b32 v[14:15], v7 offset0:2 offset1:33
	v_lshlrev_b32_e32 v6, 2, v6
	ds_read_b32 v16, v8 offset:636
	ds_read_b32 v17, v6 offset:528
	s_waitcnt lgkmcnt(1)
	v_fma_f32 v11, -v13, v16, v11
	s_waitcnt lgkmcnt(0)
	v_fma_f32 v11, -v15, v17, v11
	ds_write_b32 v7, v11 offset:644
	ds_read_b32 v8, v8 offset:636
	s_waitcnt lgkmcnt(0)
	v_fma_f32 v8, -v12, v8, v10
	ds_write_b32 v7, v8 offset:520
	ds_read_b32 v6, v6 offset:528
	s_waitcnt lgkmcnt(0)
	v_fma_f32 v6, -v14, v6, v8
	ds_write_b32 v7, v6 offset:520
.LBB11_16:
	s_or_b64 exec, exec, s[4:5]
	s_waitcnt lgkmcnt(0)
	; wave barrier
	s_and_saveexec_b64 s[2:3], s[0:1]
	s_cbranch_execz .LBB11_18
; %bb.17:
	v_lshlrev_b32_e32 v0, 1, v0
	v_max_u32_e32 v8, 1, v0
	v_min_u32_e32 v0, 29, v0
	ds_read2_b32 v[6:7], v9 offset0:129 offset1:160
	ds_read2_b32 v[10:11], v9 offset0:65 offset1:96
	v_lshlrev_b32_e32 v8, 2, v8
	ds_read2_b32 v[12:13], v9 offset0:1 offset1:32
	v_lshlrev_b32_e32 v0, 2, v0
	ds_read_b32 v14, v8 offset:636
	ds_read_b32 v15, v0 offset:520
	s_waitcnt lgkmcnt(1)
	v_fma_f32 v7, -v11, v14, v7
	s_waitcnt lgkmcnt(0)
	v_fma_f32 v7, -v13, v15, v7
	ds_write_b32 v9, v7 offset:640
	ds_read_b32 v7, v8 offset:636
	s_waitcnt lgkmcnt(0)
	v_fma_f32 v6, -v10, v7, v6
	ds_write_b32 v9, v6 offset:516
	ds_read_b32 v0, v0 offset:520
	s_waitcnt lgkmcnt(0)
	v_fma_f32 v0, -v12, v0, v6
	ds_write_b32 v9, v0 offset:516
.LBB11_18:
	s_or_b64 exec, exec, s[2:3]
	s_waitcnt lgkmcnt(0)
	; wave barrier
	ds_read2_b32 v[5:6], v5 offset1:32
	s_waitcnt lgkmcnt(0)
	global_store_dword v[1:2], v5, off
	global_store_dword v[3:4], v6, off
	s_endpgm
	.section	.rodata,"a",@progbits
	.p2align	6, 0x0
	.amdhsa_kernel _ZN9rocsparseL34gtsv_solve_spike_grid_level_kernelILj32EfEEviiiPT0_PKS1_S4_
		.amdhsa_group_segment_fixed_size 768
		.amdhsa_private_segment_fixed_size 0
		.amdhsa_kernarg_size 40
		.amdhsa_user_sgpr_count 6
		.amdhsa_user_sgpr_private_segment_buffer 1
		.amdhsa_user_sgpr_dispatch_ptr 0
		.amdhsa_user_sgpr_queue_ptr 0
		.amdhsa_user_sgpr_kernarg_segment_ptr 1
		.amdhsa_user_sgpr_dispatch_id 0
		.amdhsa_user_sgpr_flat_scratch_init 0
		.amdhsa_user_sgpr_private_segment_size 0
		.amdhsa_uses_dynamic_stack 0
		.amdhsa_system_sgpr_private_segment_wavefront_offset 0
		.amdhsa_system_sgpr_workgroup_id_x 1
		.amdhsa_system_sgpr_workgroup_id_y 1
		.amdhsa_system_sgpr_workgroup_id_z 0
		.amdhsa_system_sgpr_workgroup_info 0
		.amdhsa_system_vgpr_workitem_id 0
		.amdhsa_next_free_vgpr 27
		.amdhsa_next_free_sgpr 12
		.amdhsa_reserve_vcc 1
		.amdhsa_reserve_flat_scratch 0
		.amdhsa_float_round_mode_32 0
		.amdhsa_float_round_mode_16_64 0
		.amdhsa_float_denorm_mode_32 3
		.amdhsa_float_denorm_mode_16_64 3
		.amdhsa_dx10_clamp 1
		.amdhsa_ieee_mode 1
		.amdhsa_fp16_overflow 0
		.amdhsa_exception_fp_ieee_invalid_op 0
		.amdhsa_exception_fp_denorm_src 0
		.amdhsa_exception_fp_ieee_div_zero 0
		.amdhsa_exception_fp_ieee_overflow 0
		.amdhsa_exception_fp_ieee_underflow 0
		.amdhsa_exception_fp_ieee_inexact 0
		.amdhsa_exception_int_div_zero 0
	.end_amdhsa_kernel
	.section	.text._ZN9rocsparseL34gtsv_solve_spike_grid_level_kernelILj32EfEEviiiPT0_PKS1_S4_,"axG",@progbits,_ZN9rocsparseL34gtsv_solve_spike_grid_level_kernelILj32EfEEviiiPT0_PKS1_S4_,comdat
.Lfunc_end11:
	.size	_ZN9rocsparseL34gtsv_solve_spike_grid_level_kernelILj32EfEEviiiPT0_PKS1_S4_, .Lfunc_end11-_ZN9rocsparseL34gtsv_solve_spike_grid_level_kernelILj32EfEEviiiPT0_PKS1_S4_
                                        ; -- End function
	.set _ZN9rocsparseL34gtsv_solve_spike_grid_level_kernelILj32EfEEviiiPT0_PKS1_S4_.num_vgpr, 27
	.set _ZN9rocsparseL34gtsv_solve_spike_grid_level_kernelILj32EfEEviiiPT0_PKS1_S4_.num_agpr, 0
	.set _ZN9rocsparseL34gtsv_solve_spike_grid_level_kernelILj32EfEEviiiPT0_PKS1_S4_.numbered_sgpr, 12
	.set _ZN9rocsparseL34gtsv_solve_spike_grid_level_kernelILj32EfEEviiiPT0_PKS1_S4_.num_named_barrier, 0
	.set _ZN9rocsparseL34gtsv_solve_spike_grid_level_kernelILj32EfEEviiiPT0_PKS1_S4_.private_seg_size, 0
	.set _ZN9rocsparseL34gtsv_solve_spike_grid_level_kernelILj32EfEEviiiPT0_PKS1_S4_.uses_vcc, 1
	.set _ZN9rocsparseL34gtsv_solve_spike_grid_level_kernelILj32EfEEviiiPT0_PKS1_S4_.uses_flat_scratch, 0
	.set _ZN9rocsparseL34gtsv_solve_spike_grid_level_kernelILj32EfEEviiiPT0_PKS1_S4_.has_dyn_sized_stack, 0
	.set _ZN9rocsparseL34gtsv_solve_spike_grid_level_kernelILj32EfEEviiiPT0_PKS1_S4_.has_recursion, 0
	.set _ZN9rocsparseL34gtsv_solve_spike_grid_level_kernelILj32EfEEviiiPT0_PKS1_S4_.has_indirect_call, 0
	.section	.AMDGPU.csdata,"",@progbits
; Kernel info:
; codeLenInByte = 2452
; TotalNumSgprs: 16
; NumVgprs: 27
; ScratchSize: 0
; MemoryBound: 0
; FloatMode: 240
; IeeeMode: 1
; LDSByteSize: 768 bytes/workgroup (compile time only)
; SGPRBlocks: 1
; VGPRBlocks: 6
; NumSGPRsForWavesPerEU: 16
; NumVGPRsForWavesPerEU: 27
; Occupancy: 9
; WaveLimiterHint : 1
; COMPUTE_PGM_RSRC2:SCRATCH_EN: 0
; COMPUTE_PGM_RSRC2:USER_SGPR: 6
; COMPUTE_PGM_RSRC2:TRAP_HANDLER: 0
; COMPUTE_PGM_RSRC2:TGID_X_EN: 1
; COMPUTE_PGM_RSRC2:TGID_Y_EN: 1
; COMPUTE_PGM_RSRC2:TGID_Z_EN: 0
; COMPUTE_PGM_RSRC2:TIDIG_COMP_CNT: 0
	.section	.text._ZN9rocsparseL34gtsv_solve_spike_grid_level_kernelILj64EfEEviiiPT0_PKS1_S4_,"axG",@progbits,_ZN9rocsparseL34gtsv_solve_spike_grid_level_kernelILj64EfEEviiiPT0_PKS1_S4_,comdat
	.globl	_ZN9rocsparseL34gtsv_solve_spike_grid_level_kernelILj64EfEEviiiPT0_PKS1_S4_ ; -- Begin function _ZN9rocsparseL34gtsv_solve_spike_grid_level_kernelILj64EfEEviiiPT0_PKS1_S4_
	.p2align	8
	.type	_ZN9rocsparseL34gtsv_solve_spike_grid_level_kernelILj64EfEEviiiPT0_PKS1_S4_,@function
_ZN9rocsparseL34gtsv_solve_spike_grid_level_kernelILj64EfEEviiiPT0_PKS1_S4_: ; @_ZN9rocsparseL34gtsv_solve_spike_grid_level_kernelILj64EfEEviiiPT0_PKS1_S4_
; %bb.0:
	s_load_dwordx4 s[0:3], s[4:5], 0x10
	s_load_dwordx2 s[8:9], s[4:5], 0x20
	v_lshl_or_b32 v3, s7, 7, v0
	v_mov_b32_e32 v4, 0
	v_lshlrev_b64 v[1:2], 2, v[3:4]
	v_or_b32_e32 v3, 64, v3
	s_waitcnt lgkmcnt(0)
	v_mov_b32_e32 v5, s1
	v_add_co_u32_e32 v1, vcc, s0, v1
	v_lshlrev_b64 v[3:4], 2, v[3:4]
	v_addc_co_u32_e32 v2, vcc, v5, v2, vcc
	v_lshlrev_b32_e32 v6, 2, v0
	v_add_co_u32_e32 v3, vcc, s0, v3
	global_load_dword v7, v6, s[2:3]
	global_load_dword v8, v6, s[2:3] offset:256
	global_load_dword v9, v6, s[8:9]
	global_load_dword v10, v6, s[8:9] offset:256
	v_addc_co_u32_e32 v4, vcc, v5, v4, vcc
	global_load_dword v11, v[1:2], off
	global_load_dword v12, v[3:4], off
	v_or_b32_e32 v5, 0x400, v6
	v_cmp_gt_u32_e64 s[0:1], 32, v0
	s_waitcnt vmcnt(4)
	ds_write2st64_b32 v6, v7, v8 offset0:2 offset1:3
	s_waitcnt vmcnt(2)
	ds_write2st64_b32 v6, v9, v10 offset1:1
	s_waitcnt vmcnt(0)
	ds_write2st64_b32 v6, v11, v12 offset0:4 offset1:5
	s_waitcnt lgkmcnt(0)
	; wave barrier
	s_and_saveexec_b64 s[2:3], s[0:1]
	s_cbranch_execz .LBB12_2
; %bb.1:
	v_or_b32_e32 v7, 0x200, v6
	v_add_u32_e32 v22, v6, v6
	v_add_u32_e32 v21, v7, v6
	ds_read2_b64 v[7:10], v22 offset1:32
	ds_read2_b64 v[11:14], v21 offset1:32
	v_add_u32_e32 v23, v5, v6
	s_waitcnt lgkmcnt(1)
	v_mul_f32_e32 v25, v9, v8
	s_waitcnt lgkmcnt(0)
	v_fma_f32 v19, -v12, v9, 1.0
	v_div_scale_f32 v15, s[4:5], v19, v19, 1.0
	v_div_scale_f32 v16, vcc, 1.0, v19, 1.0
	v_rcp_f32_e32 v17, v15
	v_fma_f32 v18, -v15, v17, 1.0
	v_fmac_f32_e32 v17, v18, v17
	v_mul_f32_e32 v18, v16, v17
	v_fma_f32 v20, -v15, v18, v16
	v_fmac_f32_e32 v18, v20, v17
	v_fma_f32 v15, -v15, v18, v16
	v_div_fmas_f32 v20, v15, v17, v18
	ds_read2_b64 v[15:18], v23 offset1:32
	s_waitcnt lgkmcnt(0)
	v_fma_f32 v24, -v9, v16, v17
	v_fma_f32 v9, -v12, v17, v16
	v_mul_f32_e32 v12, v12, v13
	v_div_fixup_f32 v26, v20, v19, 1.0
	v_mul_f32_e32 v16, v9, v26
	v_mul_f32_e32 v17, v26, v24
	v_fma_f32 v15, -v16, v7, v15
	v_fma_f32 v18, -v14, v17, v18
	v_mul_f32_e64 v9, v12, -v26
	v_mul_f32_e32 v12, v26, v8
	v_mul_f32_e64 v19, v25, -v26
	v_mul_f32_e32 v13, v26, v13
	v_fma_f32 v8, -v9, v7, v11
	v_mul_f32_e64 v11, v12, -v7
	v_fma_f32 v20, -v19, v14, v10
	v_mul_f32_e64 v14, v13, -v14
	ds_write2_b64 v23, v[15:16], v[17:18] offset1:32
	ds_write2_b64 v22, v[11:12], v[19:20] offset1:32
	;; [unrolled: 1-line block ×3, first 2 shown]
.LBB12_2:
	s_or_b64 exec, exec, s[2:3]
	v_cmp_gt_u32_e64 s[2:3], 16, v0
	v_lshlrev_b32_e32 v7, 4, v0
	s_waitcnt lgkmcnt(0)
	; wave barrier
	s_and_saveexec_b64 s[4:5], s[2:3]
	s_cbranch_execz .LBB12_4
; %bb.3:
	v_mad_u32_u24 v20, v0, 12, v6
	ds_read2_b32 v[8:9], v7 offset0:128 offset1:130
	ds_read2_b32 v[10:11], v20 offset0:65 offset1:67
	v_mad_u32_u24 v23, v0, 12, v5
	s_waitcnt lgkmcnt(0)
	v_fma_f32 v21, -v9, v10, 1.0
	v_div_scale_f32 v12, s[6:7], v21, v21, 1.0
	v_div_scale_f32 v13, vcc, 1.0, v21, 1.0
	v_rcp_f32_e32 v14, v12
	v_fma_f32 v15, -v12, v14, 1.0
	v_fmac_f32_e32 v14, v15, v14
	v_mul_f32_e32 v15, v13, v14
	v_fma_f32 v16, -v12, v15, v13
	v_fmac_f32_e32 v15, v16, v14
	v_fma_f32 v12, -v12, v15, v13
	v_div_fmas_f32 v22, v12, v14, v15
	ds_read2_b32 v[12:13], v7 offset0:193 offset1:195
	ds_read2_b32 v[14:15], v23 offset0:65 offset1:67
	ds_read2_b32 v[16:17], v23 offset1:2
	ds_read2_b32 v[18:19], v20 offset1:2
	s_waitcnt lgkmcnt(3)
	v_mul_f32_e32 v24, v9, v12
	s_waitcnt lgkmcnt(1)
	v_fma_f32 v25, -v10, v17, v14
	v_fma_f32 v9, -v9, v14, v17
	s_waitcnt lgkmcnt(0)
	v_mul_f32_e32 v10, v10, v19
	v_div_fixup_f32 v14, v22, v21, 1.0
	v_mul_f32_e32 v9, v9, v14
	v_mul_f32_e32 v17, v14, v25
	v_mul_f32_e64 v10, v10, -v14
	v_mul_f32_e32 v19, v14, v19
	v_mul_f32_e64 v21, v24, -v14
	v_mul_f32_e32 v12, v14, v12
	v_fma_f32 v14, -v9, v18, v16
	v_fma_f32 v15, -v13, v17, v15
	;; [unrolled: 1-line block ×3, first 2 shown]
	v_mul_f32_e64 v16, v19, -v18
	v_fma_f32 v11, -v10, v13, v11
	v_mul_f32_e64 v13, v12, -v13
	ds_write2_b32 v23, v14, v9 offset1:2
	ds_write2_b32 v23, v17, v15 offset0:65 offset1:67
	ds_write2_b32 v7, v8, v21 offset0:128 offset1:130
	ds_write2_b32 v20, v16, v19 offset1:2
	ds_write2_b32 v20, v10, v11 offset0:65 offset1:67
	ds_write2_b32 v7, v12, v13 offset0:193 offset1:195
.LBB12_4:
	s_or_b64 exec, exec, s[4:5]
	v_cmp_gt_u32_e64 s[4:5], 8, v0
	v_lshlrev_b32_e32 v8, 5, v0
	s_waitcnt lgkmcnt(0)
	; wave barrier
	s_and_saveexec_b64 s[6:7], s[4:5]
	s_cbranch_execz .LBB12_6
; %bb.5:
	ds_read2_b32 v[9:10], v8 offset0:128 offset1:132
	ds_read2_b32 v[11:12], v8 offset0:67 offset1:71
	v_add_u32_e32 v23, 0x400, v8
	s_waitcnt lgkmcnt(0)
	v_fma_f32 v21, -v10, v11, 1.0
	v_div_scale_f32 v13, s[8:9], v21, v21, 1.0
	v_div_scale_f32 v14, vcc, 1.0, v21, 1.0
	v_rcp_f32_e32 v15, v13
	v_fma_f32 v16, -v13, v15, 1.0
	v_fmac_f32_e32 v15, v16, v15
	v_mul_f32_e32 v16, v14, v15
	v_fma_f32 v17, -v13, v16, v14
	v_fmac_f32_e32 v16, v17, v15
	v_fma_f32 v13, -v13, v16, v14
	v_div_fmas_f32 v22, v13, v15, v16
	ds_read2_b32 v[13:14], v8 offset1:4
	ds_read2_b32 v[15:16], v8 offset0:195 offset1:199
	ds_read2_b32 v[17:18], v23 offset0:67 offset1:71
	ds_read2_b32 v[19:20], v23 offset1:4
	s_waitcnt lgkmcnt(3)
	v_mul_f32_e32 v24, v11, v14
	s_waitcnt lgkmcnt(2)
	v_mul_f32_e32 v25, v10, v15
	s_waitcnt lgkmcnt(0)
	v_fma_f32 v11, -v11, v20, v17
	v_fma_f32 v10, -v10, v17, v20
	v_div_fixup_f32 v17, v22, v21, 1.0
	v_mul_f32_e32 v10, v10, v17
	v_mul_f32_e32 v11, v17, v11
	v_mul_f32_e64 v20, v24, -v17
	v_mul_f32_e32 v14, v17, v14
	v_mul_f32_e64 v21, v25, -v17
	v_mul_f32_e32 v15, v17, v15
	v_fma_f32 v17, -v10, v13, v19
	v_fma_f32 v18, -v16, v11, v18
	;; [unrolled: 1-line block ×3, first 2 shown]
	v_mul_f32_e64 v13, v14, -v13
	v_fma_f32 v12, -v20, v16, v12
	v_mul_f32_e64 v16, v15, -v16
	ds_write2_b32 v23, v17, v10 offset1:4
	ds_write2_b32 v23, v11, v18 offset0:67 offset1:71
	ds_write2_b32 v8, v9, v21 offset0:128 offset1:132
	ds_write2_b32 v8, v13, v14 offset1:4
	ds_write2_b32 v8, v20, v12 offset0:67 offset1:71
	ds_write2_b32 v8, v15, v16 offset0:195 offset1:199
.LBB12_6:
	s_or_b64 exec, exec, s[6:7]
	v_cmp_gt_u32_e64 s[6:7], 4, v0
	v_lshlrev_b32_e32 v9, 6, v0
	s_waitcnt lgkmcnt(0)
	; wave barrier
	s_and_saveexec_b64 s[8:9], s[6:7]
	s_cbranch_execz .LBB12_8
; %bb.7:
	ds_read2_b32 v[10:11], v9 offset0:128 offset1:136
	ds_read2_b32 v[12:13], v9 offset0:71 offset1:79
	v_add_u32_e32 v24, 0x400, v9
	s_waitcnt lgkmcnt(0)
	v_fma_f32 v22, -v11, v12, 1.0
	v_div_scale_f32 v14, s[10:11], v22, v22, 1.0
	v_div_scale_f32 v15, vcc, 1.0, v22, 1.0
	v_rcp_f32_e32 v16, v14
	v_fma_f32 v17, -v14, v16, 1.0
	v_fmac_f32_e32 v16, v17, v16
	v_mul_f32_e32 v17, v15, v16
	v_fma_f32 v18, -v14, v17, v15
	v_fmac_f32_e32 v17, v18, v16
	v_fma_f32 v14, -v14, v17, v15
	v_div_fmas_f32 v23, v14, v16, v17
	ds_read2_b32 v[14:15], v9 offset1:8
	ds_read2_b32 v[16:17], v9 offset0:199 offset1:207
	ds_read2_b32 v[18:19], v24 offset0:71 offset1:79
	ds_read2_b32 v[20:21], v24 offset1:8
	s_waitcnt lgkmcnt(3)
	v_mul_f32_e32 v25, v12, v15
	s_waitcnt lgkmcnt(2)
	v_mul_f32_e32 v26, v11, v16
	s_waitcnt lgkmcnt(0)
	v_fma_f32 v12, -v12, v21, v18
	v_fma_f32 v11, -v11, v18, v21
	v_div_fixup_f32 v18, v23, v22, 1.0
	v_mul_f32_e32 v11, v11, v18
	v_mul_f32_e32 v12, v18, v12
	v_mul_f32_e64 v21, v25, -v18
	v_mul_f32_e32 v15, v18, v15
	v_mul_f32_e64 v22, v26, -v18
	v_mul_f32_e32 v16, v18, v16
	v_fma_f32 v18, -v11, v14, v20
	v_fma_f32 v19, -v17, v12, v19
	;; [unrolled: 1-line block ×3, first 2 shown]
	v_mul_f32_e64 v14, v15, -v14
	v_fma_f32 v13, -v21, v17, v13
	v_mul_f32_e64 v17, v16, -v17
	ds_write2_b32 v24, v18, v11 offset1:8
	ds_write2_b32 v24, v12, v19 offset0:71 offset1:79
	ds_write2_b32 v9, v10, v22 offset0:128 offset1:136
	ds_write2_b32 v9, v14, v15 offset1:8
	ds_write2_b32 v9, v21, v13 offset0:71 offset1:79
	ds_write2_b32 v9, v16, v17 offset0:199 offset1:207
.LBB12_8:
	s_or_b64 exec, exec, s[8:9]
	v_cmp_gt_u32_e64 s[8:9], 2, v0
	v_lshlrev_b32_e32 v10, 7, v0
	s_waitcnt lgkmcnt(0)
	; wave barrier
	s_and_saveexec_b64 s[10:11], s[8:9]
	s_cbranch_execz .LBB12_10
; %bb.9:
	ds_read2_b32 v[11:12], v10 offset0:128 offset1:144
	ds_read2_b32 v[13:14], v10 offset0:79 offset1:95
	v_add_u32_e32 v25, 0x400, v10
	s_waitcnt lgkmcnt(0)
	v_fma_f32 v23, -v12, v13, 1.0
	v_div_scale_f32 v15, s[12:13], v23, v23, 1.0
	v_div_scale_f32 v16, vcc, 1.0, v23, 1.0
	v_rcp_f32_e32 v17, v15
	v_fma_f32 v18, -v15, v17, 1.0
	v_fmac_f32_e32 v17, v18, v17
	v_mul_f32_e32 v18, v16, v17
	v_fma_f32 v19, -v15, v18, v16
	v_fmac_f32_e32 v18, v19, v17
	v_fma_f32 v15, -v15, v18, v16
	v_div_fmas_f32 v24, v15, v17, v18
	ds_read2_b32 v[15:16], v10 offset1:16
	ds_read2_b32 v[17:18], v10 offset0:207 offset1:223
	ds_read2_b32 v[19:20], v25 offset0:79 offset1:95
	ds_read2_b32 v[21:22], v25 offset1:16
	s_waitcnt lgkmcnt(3)
	v_mul_f32_e32 v26, v13, v16
	s_waitcnt lgkmcnt(2)
	v_mul_f32_e32 v27, v12, v17
	s_waitcnt lgkmcnt(0)
	v_fma_f32 v13, -v13, v22, v19
	v_fma_f32 v12, -v12, v19, v22
	v_div_fixup_f32 v19, v24, v23, 1.0
	v_mul_f32_e32 v12, v12, v19
	v_mul_f32_e32 v13, v19, v13
	v_mul_f32_e64 v22, v26, -v19
	v_mul_f32_e64 v23, v27, -v19
	v_mul_f32_e32 v16, v19, v16
	v_mul_f32_e32 v17, v19, v17
	v_fma_f32 v19, -v12, v15, v21
	v_fma_f32 v20, -v18, v13, v20
	;; [unrolled: 1-line block ×3, first 2 shown]
	v_mul_f32_e64 v15, v16, -v15
	v_fma_f32 v14, -v22, v18, v14
	v_mul_f32_e64 v18, v17, -v18
	ds_write2_b32 v25, v19, v12 offset1:16
	ds_write2_b32 v25, v13, v20 offset0:79 offset1:95
	ds_write2_b32 v10, v11, v23 offset0:128 offset1:144
	ds_write2_b32 v10, v15, v16 offset1:16
	ds_write2_b32 v10, v22, v14 offset0:79 offset1:95
	ds_write2_b32 v10, v17, v18 offset0:207 offset1:223
.LBB12_10:
	s_or_b64 exec, exec, s[10:11]
	v_cmp_eq_u32_e32 vcc, 0, v0
	s_waitcnt lgkmcnt(0)
	; wave barrier
	s_and_saveexec_b64 s[10:11], vcc
	s_cbranch_execz .LBB12_12
; %bb.11:
	v_mov_b32_e32 v23, 0
	ds_read2_b32 v[11:12], v23 offset0:95 offset1:160
	v_mov_b32_e32 v28, 0x3fc
	s_waitcnt lgkmcnt(0)
	v_fma_f32 v24, -v12, v11, 1.0
	v_div_scale_f32 v13, s[12:13], v24, v24, 1.0
	v_div_scale_f32 v14, vcc, 1.0, v24, 1.0
	s_movk_i32 s12, 0x400
	s_movk_i32 s13, 0x200
	v_add_u32_e64 v26, s12, 0
	v_add_u32_e64 v27, s13, 0
	v_rcp_f32_e32 v15, v13
	v_fma_f32 v16, -v13, v15, 1.0
	v_fmac_f32_e32 v15, v16, v15
	v_mul_f32_e32 v16, v14, v15
	v_fma_f32 v17, -v13, v16, v14
	v_fmac_f32_e32 v16, v17, v15
	v_fma_f32 v13, -v13, v16, v14
	v_div_fmas_f32 v25, v13, v15, v16
	ds_read2_b32 v[13:14], v23 offset1:32
	ds_read2_b32 v[15:16], v26 offset0:95 offset1:127
	ds_read2_b32 v[17:18], v27 offset0:95 offset1:160
	ds_read2_b32 v[19:20], v28 offset1:1
	ds_read2_b32 v[21:22], v23 offset0:127 offset1:128
	s_waitcnt lgkmcnt(4)
	v_mul_f32_e32 v29, v11, v14
	s_waitcnt lgkmcnt(2)
	v_fma_f32 v11, -v11, v18, v15
	v_fma_f32 v15, -v12, v15, v18
	v_mul_f32_e32 v12, v12, v17
	v_div_fixup_f32 v18, v25, v24, 1.0
	v_mul_f32_e32 v11, v18, v11
	v_mul_f32_e32 v15, v15, v18
	;; [unrolled: 1-line block ×3, first 2 shown]
	v_mul_f32_e64 v24, v29, -v18
	v_mul_f32_e64 v12, v12, -v18
	v_mul_f32_e32 v14, v18, v14
	s_waitcnt lgkmcnt(1)
	v_fma_f32 v16, -v19, v11, v16
	ds_write2_b32 v27, v17, v15 offset0:95 offset1:160
	v_fma_f32 v15, -v15, v13, v20
	ds_write2_b32 v23, v24, v12 offset0:95 offset1:160
	s_waitcnt lgkmcnt(2)
	v_fma_f32 v12, -v12, v13, v22
	v_mul_f32_e64 v13, v14, -v13
	v_fma_f32 v18, -v24, v19, v21
	v_mul_f32_e64 v17, v17, -v19
	ds_write2_b32 v26, v11, v16 offset0:95 offset1:127
	ds_write2_b32 v23, v13, v14 offset1:32
	ds_write2_b32 v23, v18, v12 offset0:127 offset1:128
	ds_write2_b32 v28, v17, v15 offset1:1
.LBB12_12:
	s_or_b64 exec, exec, s[10:11]
	s_waitcnt lgkmcnt(0)
	; wave barrier
	s_and_saveexec_b64 s[10:11], s[8:9]
	s_cbranch_execz .LBB12_14
; %bb.13:
	v_max_u32_e32 v15, 1, v8
	v_add_u32_e32 v11, 0x400, v10
	v_min_u32_e32 v17, 31, v8
	ds_read2_b32 v[11:12], v11 offset0:16 offset1:79
	ds_read2_b32 v[13:14], v10 offset0:144 offset1:207
	v_lshlrev_b32_e32 v18, 2, v15
	ds_read2_b32 v[15:16], v10 offset0:16 offset1:79
	v_lshlrev_b32_e32 v17, 2, v17
	ds_read_b32 v19, v18 offset:1276
	ds_read_b32 v20, v17 offset:1152
	s_waitcnt lgkmcnt(1)
	v_fma_f32 v12, -v14, v19, v12
	s_waitcnt lgkmcnt(0)
	v_fma_f32 v12, -v16, v20, v12
	ds_write_b32 v10, v12 offset:1340
	ds_read_b32 v12, v18 offset:1276
	s_waitcnt lgkmcnt(0)
	v_fma_f32 v11, -v13, v12, v11
	ds_write_b32 v10, v11 offset:1088
	ds_read_b32 v12, v17 offset:1152
	s_waitcnt lgkmcnt(0)
	v_fma_f32 v11, -v15, v12, v11
	ds_write_b32 v10, v11 offset:1088
.LBB12_14:
	s_or_b64 exec, exec, s[10:11]
	s_waitcnt lgkmcnt(0)
	; wave barrier
	s_and_saveexec_b64 s[8:9], s[6:7]
	s_cbranch_execz .LBB12_16
; %bb.15:
	v_max_u32_e32 v14, 1, v7
	v_add_u32_e32 v10, 0x400, v9
	v_min_u32_e32 v16, 47, v7
	ds_read2_b32 v[10:11], v10 offset0:8 offset1:71
	ds_read2_b32 v[12:13], v9 offset0:136 offset1:199
	v_lshlrev_b32_e32 v17, 2, v14
	ds_read2_b32 v[14:15], v9 offset0:8 offset1:71
	v_lshlrev_b32_e32 v16, 2, v16
	ds_read_b32 v18, v17 offset:1276
	ds_read_b32 v19, v16 offset:1088
	s_waitcnt lgkmcnt(1)
	v_fma_f32 v11, -v13, v18, v11
	s_waitcnt lgkmcnt(0)
	v_fma_f32 v11, -v15, v19, v11
	ds_write_b32 v9, v11 offset:1308
	ds_read_b32 v11, v17 offset:1276
	s_waitcnt lgkmcnt(0)
	v_fma_f32 v10, -v12, v11, v10
	ds_write_b32 v9, v10 offset:1056
	ds_read_b32 v11, v16 offset:1088
	s_waitcnt lgkmcnt(0)
	v_fma_f32 v10, -v14, v11, v10
	ds_write_b32 v9, v10 offset:1056
.LBB12_16:
	s_or_b64 exec, exec, s[8:9]
	v_lshlrev_b32_e32 v9, 3, v0
	s_waitcnt lgkmcnt(0)
	; wave barrier
	s_and_saveexec_b64 s[6:7], s[4:5]
	s_cbranch_execz .LBB12_18
; %bb.17:
	v_max_u32_e32 v14, 1, v9
	v_add_u32_e32 v10, 0x400, v8
	v_min_u32_e32 v16, 55, v9
	ds_read2_b32 v[10:11], v10 offset0:4 offset1:67
	ds_read2_b32 v[12:13], v8 offset0:132 offset1:195
	v_lshlrev_b32_e32 v17, 2, v14
	ds_read2_b32 v[14:15], v8 offset0:4 offset1:67
	v_lshlrev_b32_e32 v16, 2, v16
	ds_read_b32 v18, v17 offset:1276
	ds_read_b32 v19, v16 offset:1056
	s_waitcnt lgkmcnt(1)
	v_fma_f32 v11, -v13, v18, v11
	s_waitcnt lgkmcnt(0)
	v_fma_f32 v11, -v15, v19, v11
	ds_write_b32 v8, v11 offset:1292
	ds_read_b32 v11, v17 offset:1276
	s_waitcnt lgkmcnt(0)
	v_fma_f32 v10, -v12, v11, v10
	ds_write_b32 v8, v10 offset:1040
	ds_read_b32 v11, v16 offset:1056
	s_waitcnt lgkmcnt(0)
	v_fma_f32 v10, -v14, v11, v10
	ds_write_b32 v8, v10 offset:1040
.LBB12_18:
	s_or_b64 exec, exec, s[6:7]
	s_waitcnt lgkmcnt(0)
	; wave barrier
	s_and_saveexec_b64 s[4:5], s[2:3]
	s_cbranch_execz .LBB12_20
; %bb.19:
	v_max_u32_e32 v8, 1, v6
	v_add_u32_e32 v10, 0x400, v7
	v_min_u32_e32 v6, 59, v6
	ds_read2_b32 v[10:11], v10 offset0:2 offset1:65
	ds_read2_b32 v[12:13], v7 offset0:130 offset1:193
	v_lshlrev_b32_e32 v8, 2, v8
	ds_read2_b32 v[14:15], v7 offset0:2 offset1:65
	v_lshlrev_b32_e32 v6, 2, v6
	ds_read_b32 v16, v8 offset:1276
	ds_read_b32 v17, v6 offset:1040
	s_waitcnt lgkmcnt(1)
	v_fma_f32 v11, -v13, v16, v11
	s_waitcnt lgkmcnt(0)
	v_fma_f32 v11, -v15, v17, v11
	ds_write_b32 v7, v11 offset:1284
	ds_read_b32 v8, v8 offset:1276
	s_waitcnt lgkmcnt(0)
	v_fma_f32 v8, -v12, v8, v10
	ds_write_b32 v7, v8 offset:1032
	ds_read_b32 v6, v6 offset:1040
	s_waitcnt lgkmcnt(0)
	v_fma_f32 v6, -v14, v6, v8
	ds_write_b32 v7, v6 offset:1032
.LBB12_20:
	s_or_b64 exec, exec, s[4:5]
	s_waitcnt lgkmcnt(0)
	; wave barrier
	s_and_saveexec_b64 s[2:3], s[0:1]
	s_cbranch_execz .LBB12_22
; %bb.21:
	v_lshlrev_b32_e32 v0, 1, v0
	v_max_u32_e32 v8, 1, v0
	v_add_u32_e32 v6, 0x400, v9
	v_min_u32_e32 v0, 61, v0
	ds_read2_b32 v[6:7], v6 offset0:1 offset1:64
	ds_read2_b32 v[10:11], v9 offset0:129 offset1:192
	v_lshlrev_b32_e32 v8, 2, v8
	ds_read2_b32 v[12:13], v9 offset0:1 offset1:64
	v_lshlrev_b32_e32 v0, 2, v0
	ds_read_b32 v14, v8 offset:1276
	ds_read_b32 v15, v0 offset:1032
	s_waitcnt lgkmcnt(1)
	v_fma_f32 v7, -v11, v14, v7
	s_waitcnt lgkmcnt(0)
	v_fma_f32 v7, -v13, v15, v7
	ds_write_b32 v9, v7 offset:1280
	ds_read_b32 v7, v8 offset:1276
	s_waitcnt lgkmcnt(0)
	v_fma_f32 v6, -v10, v7, v6
	ds_write_b32 v9, v6 offset:1028
	ds_read_b32 v0, v0 offset:1032
	s_waitcnt lgkmcnt(0)
	v_fma_f32 v0, -v12, v0, v6
	ds_write_b32 v9, v0 offset:1028
.LBB12_22:
	s_or_b64 exec, exec, s[2:3]
	s_waitcnt lgkmcnt(0)
	; wave barrier
	ds_read2st64_b32 v[5:6], v5 offset1:1
	s_waitcnt lgkmcnt(0)
	global_store_dword v[1:2], v5, off
	global_store_dword v[3:4], v6, off
	s_endpgm
	.section	.rodata,"a",@progbits
	.p2align	6, 0x0
	.amdhsa_kernel _ZN9rocsparseL34gtsv_solve_spike_grid_level_kernelILj64EfEEviiiPT0_PKS1_S4_
		.amdhsa_group_segment_fixed_size 1536
		.amdhsa_private_segment_fixed_size 0
		.amdhsa_kernarg_size 40
		.amdhsa_user_sgpr_count 6
		.amdhsa_user_sgpr_private_segment_buffer 1
		.amdhsa_user_sgpr_dispatch_ptr 0
		.amdhsa_user_sgpr_queue_ptr 0
		.amdhsa_user_sgpr_kernarg_segment_ptr 1
		.amdhsa_user_sgpr_dispatch_id 0
		.amdhsa_user_sgpr_flat_scratch_init 0
		.amdhsa_user_sgpr_private_segment_size 0
		.amdhsa_uses_dynamic_stack 0
		.amdhsa_system_sgpr_private_segment_wavefront_offset 0
		.amdhsa_system_sgpr_workgroup_id_x 1
		.amdhsa_system_sgpr_workgroup_id_y 1
		.amdhsa_system_sgpr_workgroup_id_z 0
		.amdhsa_system_sgpr_workgroup_info 0
		.amdhsa_system_vgpr_workitem_id 0
		.amdhsa_next_free_vgpr 30
		.amdhsa_next_free_sgpr 14
		.amdhsa_reserve_vcc 1
		.amdhsa_reserve_flat_scratch 0
		.amdhsa_float_round_mode_32 0
		.amdhsa_float_round_mode_16_64 0
		.amdhsa_float_denorm_mode_32 3
		.amdhsa_float_denorm_mode_16_64 3
		.amdhsa_dx10_clamp 1
		.amdhsa_ieee_mode 1
		.amdhsa_fp16_overflow 0
		.amdhsa_exception_fp_ieee_invalid_op 0
		.amdhsa_exception_fp_denorm_src 0
		.amdhsa_exception_fp_ieee_div_zero 0
		.amdhsa_exception_fp_ieee_overflow 0
		.amdhsa_exception_fp_ieee_underflow 0
		.amdhsa_exception_fp_ieee_inexact 0
		.amdhsa_exception_int_div_zero 0
	.end_amdhsa_kernel
	.section	.text._ZN9rocsparseL34gtsv_solve_spike_grid_level_kernelILj64EfEEviiiPT0_PKS1_S4_,"axG",@progbits,_ZN9rocsparseL34gtsv_solve_spike_grid_level_kernelILj64EfEEviiiPT0_PKS1_S4_,comdat
.Lfunc_end12:
	.size	_ZN9rocsparseL34gtsv_solve_spike_grid_level_kernelILj64EfEEviiiPT0_PKS1_S4_, .Lfunc_end12-_ZN9rocsparseL34gtsv_solve_spike_grid_level_kernelILj64EfEEviiiPT0_PKS1_S4_
                                        ; -- End function
	.set _ZN9rocsparseL34gtsv_solve_spike_grid_level_kernelILj64EfEEviiiPT0_PKS1_S4_.num_vgpr, 30
	.set _ZN9rocsparseL34gtsv_solve_spike_grid_level_kernelILj64EfEEviiiPT0_PKS1_S4_.num_agpr, 0
	.set _ZN9rocsparseL34gtsv_solve_spike_grid_level_kernelILj64EfEEviiiPT0_PKS1_S4_.numbered_sgpr, 14
	.set _ZN9rocsparseL34gtsv_solve_spike_grid_level_kernelILj64EfEEviiiPT0_PKS1_S4_.num_named_barrier, 0
	.set _ZN9rocsparseL34gtsv_solve_spike_grid_level_kernelILj64EfEEviiiPT0_PKS1_S4_.private_seg_size, 0
	.set _ZN9rocsparseL34gtsv_solve_spike_grid_level_kernelILj64EfEEviiiPT0_PKS1_S4_.uses_vcc, 1
	.set _ZN9rocsparseL34gtsv_solve_spike_grid_level_kernelILj64EfEEviiiPT0_PKS1_S4_.uses_flat_scratch, 0
	.set _ZN9rocsparseL34gtsv_solve_spike_grid_level_kernelILj64EfEEviiiPT0_PKS1_S4_.has_dyn_sized_stack, 0
	.set _ZN9rocsparseL34gtsv_solve_spike_grid_level_kernelILj64EfEEviiiPT0_PKS1_S4_.has_recursion, 0
	.set _ZN9rocsparseL34gtsv_solve_spike_grid_level_kernelILj64EfEEviiiPT0_PKS1_S4_.has_indirect_call, 0
	.section	.AMDGPU.csdata,"",@progbits
; Kernel info:
; codeLenInByte = 3032
; TotalNumSgprs: 18
; NumVgprs: 30
; ScratchSize: 0
; MemoryBound: 0
; FloatMode: 240
; IeeeMode: 1
; LDSByteSize: 1536 bytes/workgroup (compile time only)
; SGPRBlocks: 2
; VGPRBlocks: 7
; NumSGPRsForWavesPerEU: 18
; NumVGPRsForWavesPerEU: 30
; Occupancy: 8
; WaveLimiterHint : 1
; COMPUTE_PGM_RSRC2:SCRATCH_EN: 0
; COMPUTE_PGM_RSRC2:USER_SGPR: 6
; COMPUTE_PGM_RSRC2:TRAP_HANDLER: 0
; COMPUTE_PGM_RSRC2:TGID_X_EN: 1
; COMPUTE_PGM_RSRC2:TGID_Y_EN: 1
; COMPUTE_PGM_RSRC2:TGID_Z_EN: 0
; COMPUTE_PGM_RSRC2:TIDIG_COMP_CNT: 0
	.section	.text._ZN9rocsparseL34gtsv_solve_spike_grid_level_kernelILj128EfEEviiiPT0_PKS1_S4_,"axG",@progbits,_ZN9rocsparseL34gtsv_solve_spike_grid_level_kernelILj128EfEEviiiPT0_PKS1_S4_,comdat
	.globl	_ZN9rocsparseL34gtsv_solve_spike_grid_level_kernelILj128EfEEviiiPT0_PKS1_S4_ ; -- Begin function _ZN9rocsparseL34gtsv_solve_spike_grid_level_kernelILj128EfEEviiiPT0_PKS1_S4_
	.p2align	8
	.type	_ZN9rocsparseL34gtsv_solve_spike_grid_level_kernelILj128EfEEviiiPT0_PKS1_S4_,@function
_ZN9rocsparseL34gtsv_solve_spike_grid_level_kernelILj128EfEEviiiPT0_PKS1_S4_: ; @_ZN9rocsparseL34gtsv_solve_spike_grid_level_kernelILj128EfEEviiiPT0_PKS1_S4_
; %bb.0:
	s_load_dwordx4 s[0:3], s[4:5], 0x10
	s_load_dwordx2 s[8:9], s[4:5], 0x20
	v_lshl_or_b32 v3, s7, 8, v0
	v_mov_b32_e32 v4, 0
	v_lshlrev_b64 v[1:2], 2, v[3:4]
	v_or_b32_e32 v3, 0x80, v3
	s_waitcnt lgkmcnt(0)
	v_mov_b32_e32 v5, s1
	v_add_co_u32_e32 v1, vcc, s0, v1
	v_lshlrev_b64 v[3:4], 2, v[3:4]
	v_addc_co_u32_e32 v2, vcc, v5, v2, vcc
	v_lshlrev_b32_e32 v6, 2, v0
	v_add_co_u32_e32 v3, vcc, s0, v3
	global_load_dword v7, v6, s[2:3]
	global_load_dword v8, v6, s[2:3] offset:512
	global_load_dword v9, v6, s[8:9]
	global_load_dword v10, v6, s[8:9] offset:512
	v_addc_co_u32_e32 v4, vcc, v5, v4, vcc
	global_load_dword v11, v[1:2], off
	global_load_dword v12, v[3:4], off
	v_or_b32_e32 v5, 0x800, v6
	v_cmp_gt_u32_e64 s[0:1], 64, v0
	s_waitcnt vmcnt(4)
	ds_write2st64_b32 v6, v7, v8 offset0:4 offset1:6
	s_waitcnt vmcnt(2)
	ds_write2st64_b32 v6, v9, v10 offset1:2
	s_waitcnt vmcnt(0)
	ds_write2st64_b32 v6, v11, v12 offset0:8 offset1:10
	s_waitcnt lgkmcnt(0)
	s_barrier
	s_and_saveexec_b64 s[2:3], s[0:1]
	s_cbranch_execz .LBB13_2
; %bb.1:
	v_or_b32_e32 v7, 0x400, v6
	v_add_u32_e32 v25, v6, v6
	v_add_u32_e32 v24, v7, v6
	ds_read2st64_b64 v[7:10], v25 offset1:1
	ds_read2st64_b64 v[11:14], v24 offset1:1
	v_add_u32_e32 v26, v5, v6
	s_waitcnt lgkmcnt(1)
	v_mul_f32_e32 v22, v9, v8
	s_waitcnt lgkmcnt(0)
	v_fma_f32 v19, -v12, v9, 1.0
	v_div_scale_f32 v15, s[4:5], v19, v19, 1.0
	v_div_scale_f32 v16, vcc, 1.0, v19, 1.0
	v_rcp_f32_e32 v17, v15
	v_fma_f32 v18, -v15, v17, 1.0
	v_fmac_f32_e32 v17, v18, v17
	v_mul_f32_e32 v18, v16, v17
	v_fma_f32 v20, -v15, v18, v16
	v_fmac_f32_e32 v18, v20, v17
	v_fma_f32 v15, -v15, v18, v16
	v_div_fmas_f32 v20, v15, v17, v18
	ds_read2st64_b64 v[15:18], v26 offset1:1
	s_waitcnt lgkmcnt(0)
	v_fma_f32 v21, -v9, v16, v17
	v_fma_f32 v9, -v12, v17, v16
	v_mul_f32_e32 v17, v12, v13
	v_div_fixup_f32 v20, v20, v19, 1.0
	v_mul_f32_e32 v16, v20, v21
	v_mul_f32_e32 v9, v9, v20
	v_mul_f32_e64 v12, v22, -v20
	v_mul_f32_e32 v19, v20, v8
	v_mul_f32_e64 v21, v17, -v20
	v_fma_f32 v8, -v9, v7, v15
	v_fma_f32 v17, -v14, v16, v18
	v_mul_f32_e32 v22, v20, v13
	v_fma_f32 v20, -v21, v7, v11
	v_mul_f32_e64 v18, v19, -v7
	v_fma_f32 v13, -v12, v14, v10
	v_mul_f32_e64 v23, v22, -v14
	ds_write2st64_b64 v26, v[8:9], v[16:17] offset1:1
	ds_write2st64_b64 v25, v[18:19], v[12:13] offset1:1
	ds_write2st64_b64 v24, v[20:21], v[22:23] offset1:1
.LBB13_2:
	s_or_b64 exec, exec, s[2:3]
	v_cmp_gt_u32_e64 s[2:3], 32, v0
	v_lshlrev_b32_e32 v7, 4, v0
	s_waitcnt lgkmcnt(0)
	s_barrier
	s_and_saveexec_b64 s[4:5], s[2:3]
	s_cbranch_execz .LBB13_4
; %bb.3:
	v_add_u32_e32 v20, 0x400, v7
	v_mad_u32_u24 v21, v0, 12, v6
	ds_read2_b32 v[8:9], v20 offset1:2
	ds_read2_b32 v[10:11], v21 offset0:129 offset1:131
	v_mad_u32_u24 v24, v0, 12, v5
	s_waitcnt lgkmcnt(0)
	v_fma_f32 v22, -v9, v10, 1.0
	v_div_scale_f32 v12, s[6:7], v22, v22, 1.0
	v_div_scale_f32 v13, vcc, 1.0, v22, 1.0
	v_rcp_f32_e32 v14, v12
	v_fma_f32 v15, -v12, v14, 1.0
	v_fmac_f32_e32 v14, v15, v14
	v_mul_f32_e32 v15, v13, v14
	v_fma_f32 v16, -v12, v15, v13
	v_fmac_f32_e32 v15, v16, v14
	v_fma_f32 v12, -v12, v15, v13
	v_div_fmas_f32 v23, v12, v14, v15
	ds_read2_b32 v[12:13], v24 offset0:129 offset1:131
	ds_read2_b32 v[14:15], v24 offset1:2
	ds_read2_b32 v[16:17], v21 offset1:2
	ds_read2_b32 v[18:19], v20 offset0:129 offset1:131
	s_waitcnt lgkmcnt(2)
	v_fma_f32 v25, -v10, v15, v12
	v_fma_f32 v12, -v9, v12, v15
	s_waitcnt lgkmcnt(1)
	v_mul_f32_e32 v10, v10, v17
	s_waitcnt lgkmcnt(0)
	v_mul_f32_e32 v9, v9, v18
	v_div_fixup_f32 v15, v23, v22, 1.0
	v_mul_f32_e32 v12, v12, v15
	v_mul_f32_e32 v22, v15, v25
	v_mul_f32_e64 v10, v10, -v15
	v_mul_f32_e32 v17, v15, v17
	v_mul_f32_e64 v9, v9, -v15
	v_mul_f32_e32 v15, v15, v18
	v_fma_f32 v14, -v12, v16, v14
	v_fma_f32 v13, -v19, v22, v13
	;; [unrolled: 1-line block ×3, first 2 shown]
	v_mul_f32_e64 v16, v17, -v16
	v_fma_f32 v11, -v10, v19, v11
	v_mul_f32_e64 v18, v15, -v19
	ds_write2_b32 v24, v14, v12 offset1:2
	ds_write2_b32 v24, v22, v13 offset0:129 offset1:131
	ds_write2_b32 v20, v8, v9 offset1:2
	ds_write2_b32 v21, v16, v17 offset1:2
	ds_write2_b32 v21, v10, v11 offset0:129 offset1:131
	ds_write2_b32 v20, v15, v18 offset0:129 offset1:131
.LBB13_4:
	s_or_b64 exec, exec, s[4:5]
	v_cmp_gt_u32_e64 s[4:5], 16, v0
	v_lshlrev_b32_e32 v8, 5, v0
	s_waitcnt lgkmcnt(0)
	s_barrier
	s_and_saveexec_b64 s[6:7], s[4:5]
	s_cbranch_execz .LBB13_6
; %bb.5:
	v_add_u32_e32 v21, 0x400, v8
	ds_read2_b32 v[9:10], v8 offset0:131 offset1:135
	ds_read2_b32 v[11:12], v21 offset1:4
	v_add_u32_e32 v24, 0x800, v8
	s_waitcnt lgkmcnt(0)
	v_fma_f32 v22, -v12, v9, 1.0
	v_div_scale_f32 v13, s[8:9], v22, v22, 1.0
	v_div_scale_f32 v14, vcc, 1.0, v22, 1.0
	v_rcp_f32_e32 v15, v13
	v_fma_f32 v16, -v13, v15, 1.0
	v_fmac_f32_e32 v15, v16, v15
	v_mul_f32_e32 v16, v14, v15
	v_fma_f32 v17, -v13, v16, v14
	v_fmac_f32_e32 v16, v17, v15
	v_fma_f32 v13, -v13, v16, v14
	v_div_fmas_f32 v23, v13, v15, v16
	ds_read2_b32 v[13:14], v8 offset1:4
	ds_read2_b32 v[15:16], v24 offset0:131 offset1:135
	ds_read2_b32 v[17:18], v24 offset1:4
	ds_read2_b32 v[19:20], v21 offset0:131 offset1:135
	s_waitcnt lgkmcnt(3)
	v_mul_f32_e32 v25, v9, v14
	s_waitcnt lgkmcnt(1)
	v_fma_f32 v9, -v9, v18, v15
	v_fma_f32 v15, -v12, v15, v18
	s_waitcnt lgkmcnt(0)
	v_mul_f32_e32 v12, v12, v19
	v_div_fixup_f32 v18, v23, v22, 1.0
	v_mul_f32_e32 v15, v15, v18
	v_mul_f32_e32 v9, v18, v9
	v_mul_f32_e64 v22, v25, -v18
	v_mul_f32_e32 v14, v18, v14
	v_mul_f32_e64 v12, v12, -v18
	v_mul_f32_e32 v18, v18, v19
	v_fma_f32 v17, -v15, v13, v17
	v_fma_f32 v16, -v20, v9, v16
	v_fma_f32 v11, -v12, v13, v11
	v_mul_f32_e64 v13, v14, -v13
	v_fma_f32 v10, -v22, v20, v10
	v_mul_f32_e64 v19, v18, -v20
	ds_write2_b32 v24, v17, v15 offset1:4
	ds_write2_b32 v24, v9, v16 offset0:131 offset1:135
	ds_write2_b32 v21, v11, v12 offset1:4
	ds_write2_b32 v8, v13, v14 offset1:4
	ds_write2_b32 v8, v22, v10 offset0:131 offset1:135
	ds_write2_b32 v21, v18, v19 offset0:131 offset1:135
.LBB13_6:
	s_or_b64 exec, exec, s[6:7]
	v_cmp_gt_u32_e64 s[6:7], 8, v0
	v_lshlrev_b32_e32 v9, 6, v0
	s_waitcnt lgkmcnt(0)
	s_barrier
	s_and_saveexec_b64 s[8:9], s[6:7]
	s_cbranch_execz .LBB13_8
; %bb.7:
	v_add_u32_e32 v22, 0x400, v9
	ds_read2_b32 v[10:11], v9 offset0:135 offset1:143
	ds_read2_b32 v[12:13], v22 offset1:8
	v_add_u32_e32 v25, 0x800, v9
	s_waitcnt lgkmcnt(0)
	v_fma_f32 v23, -v13, v10, 1.0
	v_div_scale_f32 v14, s[10:11], v23, v23, 1.0
	v_div_scale_f32 v15, vcc, 1.0, v23, 1.0
	v_rcp_f32_e32 v16, v14
	v_fma_f32 v17, -v14, v16, 1.0
	v_fmac_f32_e32 v16, v17, v16
	v_mul_f32_e32 v17, v15, v16
	v_fma_f32 v18, -v14, v17, v15
	v_fmac_f32_e32 v17, v18, v16
	v_fma_f32 v14, -v14, v17, v15
	v_div_fmas_f32 v24, v14, v16, v17
	ds_read2_b32 v[14:15], v9 offset1:8
	ds_read2_b32 v[16:17], v25 offset0:135 offset1:143
	ds_read2_b32 v[18:19], v25 offset1:8
	ds_read2_b32 v[20:21], v22 offset0:135 offset1:143
	s_waitcnt lgkmcnt(3)
	v_mul_f32_e32 v26, v10, v15
	s_waitcnt lgkmcnt(1)
	v_fma_f32 v10, -v10, v19, v16
	v_fma_f32 v16, -v13, v16, v19
	s_waitcnt lgkmcnt(0)
	v_mul_f32_e32 v13, v13, v20
	v_div_fixup_f32 v19, v24, v23, 1.0
	v_mul_f32_e32 v16, v16, v19
	v_mul_f32_e32 v10, v19, v10
	v_mul_f32_e64 v23, v26, -v19
	v_mul_f32_e32 v15, v19, v15
	v_mul_f32_e64 v13, v13, -v19
	v_mul_f32_e32 v19, v19, v20
	v_fma_f32 v18, -v16, v14, v18
	v_fma_f32 v17, -v21, v10, v17
	v_fma_f32 v12, -v13, v14, v12
	v_mul_f32_e64 v14, v15, -v14
	v_fma_f32 v11, -v23, v21, v11
	v_mul_f32_e64 v20, v19, -v21
	ds_write2_b32 v25, v18, v16 offset1:8
	ds_write2_b32 v25, v10, v17 offset0:135 offset1:143
	ds_write2_b32 v22, v12, v13 offset1:8
	ds_write2_b32 v9, v14, v15 offset1:8
	ds_write2_b32 v9, v23, v11 offset0:135 offset1:143
	ds_write2_b32 v22, v19, v20 offset0:135 offset1:143
.LBB13_8:
	;; [unrolled: 55-line block ×4, first 2 shown]
	s_or_b64 exec, exec, s[12:13]
	v_cmp_eq_u32_e32 vcc, 0, v0
	s_waitcnt lgkmcnt(0)
	s_barrier
	s_and_saveexec_b64 s[12:13], vcc
	s_cbranch_execz .LBB13_14
; %bb.13:
	s_movk_i32 s14, 0x200
	v_add_u32_e64 v22, s14, 0
	ds_read2_b32 v[12:13], v22 offset0:63 offset1:192
	v_mov_b32_e32 v25, 0
	v_mov_b32_e32 v28, 0x7fc
	;; [unrolled: 1-line block ×3, first 2 shown]
	s_waitcnt lgkmcnt(0)
	v_fma_f32 v23, -v13, v12, 1.0
	v_div_scale_f32 v14, s[14:15], v23, v23, 1.0
	v_div_scale_f32 v15, vcc, 1.0, v23, 1.0
	s_movk_i32 s14, 0xfc
	s_movk_i32 s15, 0x600
	v_add_u32_e64 v26, s14, 0
	v_add_u32_e64 v27, s15, 0
	v_rcp_f32_e32 v16, v14
	v_fma_f32 v17, -v14, v16, 1.0
	v_fmac_f32_e32 v16, v17, v16
	v_mul_f32_e32 v17, v15, v16
	v_fma_f32 v18, -v14, v17, v15
	v_fmac_f32_e32 v17, v18, v16
	v_fma_f32 v14, -v14, v17, v15
	v_div_fmas_f32 v24, v14, v16, v17
	ds_read2st64_b32 v[14:15], v26 offset0:10 offset1:11
	ds_read2_b32 v[16:17], v27 offset0:63 offset1:192
	ds_read2st64_b32 v[18:19], v25 offset1:1
	ds_read2_b32 v[20:21], v28 offset1:1
	s_waitcnt lgkmcnt(2)
	v_fma_f32 v30, -v12, v17, v14
	v_fma_f32 v14, -v13, v14, v17
	s_waitcnt lgkmcnt(1)
	v_mul_f32_e32 v17, v12, v19
	v_mul_f32_e32 v31, v13, v16
	ds_read2_b32 v[12:13], v29 offset1:1
	v_div_fixup_f32 v23, v24, v23, 1.0
	v_mul_f32_e32 v24, v23, v30
	v_mul_f32_e32 v14, v14, v23
	v_mul_f32_e64 v17, v17, -v23
	v_mul_f32_e32 v16, v23, v16
	v_mul_f32_e32 v19, v23, v19
	v_mul_f32_e64 v23, v31, -v23
	s_waitcnt lgkmcnt(1)
	v_fma_f32 v15, -v20, v24, v15
	v_fma_f32 v21, -v14, v18, v21
	ds_write2_b32 v22, v17, v23 offset0:63 offset1:192
	ds_write2_b32 v27, v16, v14 offset0:63 offset1:192
	s_waitcnt lgkmcnt(2)
	v_fma_f32 v13, -v23, v18, v13
	v_mul_f32_e64 v14, v19, -v18
	v_fma_f32 v12, -v17, v20, v12
	v_mul_f32_e64 v16, v16, -v20
	ds_write2st64_b32 v26, v24, v15 offset0:10 offset1:11
	ds_write2st64_b32 v25, v14, v19 offset1:1
	ds_write2_b32 v29, v12, v13 offset1:1
	ds_write2_b32 v28, v16, v21 offset1:1
.LBB13_14:
	s_or_b64 exec, exec, s[12:13]
	s_waitcnt lgkmcnt(0)
	s_barrier
	s_and_saveexec_b64 s[12:13], s[10:11]
	s_cbranch_execz .LBB13_16
; %bb.15:
	v_max_u32_e32 v16, 1, v9
	v_add_u32_e32 v12, 0x800, v11
	v_add_u32_e32 v14, 0x400, v11
	v_min_u32_e32 v18, 63, v9
	ds_read2_b32 v[12:13], v12 offset0:32 offset1:159
	ds_read2_b32 v[14:15], v14 offset0:32 offset1:159
	v_lshlrev_b32_e32 v19, 2, v16
	ds_read2_b32 v[16:17], v11 offset0:32 offset1:159
	v_lshlrev_b32_e32 v18, 2, v18
	ds_read_b32 v20, v19 offset:2556
	ds_read_b32 v21, v18 offset:2304
	s_waitcnt lgkmcnt(1)
	v_fma_f32 v13, -v15, v20, v13
	s_waitcnt lgkmcnt(0)
	v_fma_f32 v13, -v17, v21, v13
	ds_write_b32 v11, v13 offset:2684
	ds_read_b32 v13, v19 offset:2556
	s_waitcnt lgkmcnt(0)
	v_fma_f32 v12, -v14, v13, v12
	ds_write_b32 v11, v12 offset:2176
	ds_read_b32 v13, v18 offset:2304
	s_waitcnt lgkmcnt(0)
	v_fma_f32 v12, -v16, v13, v12
	ds_write_b32 v11, v12 offset:2176
.LBB13_16:
	s_or_b64 exec, exec, s[12:13]
	s_waitcnt lgkmcnt(0)
	s_barrier
	s_and_saveexec_b64 s[10:11], s[8:9]
	s_cbranch_execz .LBB13_18
; %bb.17:
	v_max_u32_e32 v15, 1, v8
	v_add_u32_e32 v11, 0x800, v10
	v_add_u32_e32 v13, 0x400, v10
	v_min_u32_e32 v17, 0x5f, v8
	ds_read2_b32 v[11:12], v11 offset0:16 offset1:143
	ds_read2_b32 v[13:14], v13 offset0:16 offset1:143
	v_lshlrev_b32_e32 v18, 2, v15
	ds_read2_b32 v[15:16], v10 offset0:16 offset1:143
	v_lshlrev_b32_e32 v17, 2, v17
	ds_read_b32 v19, v18 offset:2556
	ds_read_b32 v20, v17 offset:2176
	s_waitcnt lgkmcnt(1)
	v_fma_f32 v12, -v14, v19, v12
	s_waitcnt lgkmcnt(0)
	v_fma_f32 v12, -v16, v20, v12
	ds_write_b32 v10, v12 offset:2620
	ds_read_b32 v12, v18 offset:2556
	s_waitcnt lgkmcnt(0)
	v_fma_f32 v11, -v13, v12, v11
	ds_write_b32 v10, v11 offset:2112
	ds_read_b32 v12, v17 offset:2176
	s_waitcnt lgkmcnt(0)
	v_fma_f32 v11, -v15, v12, v11
	ds_write_b32 v10, v11 offset:2112
.LBB13_18:
	;; [unrolled: 31-line block ×3, first 2 shown]
	s_or_b64 exec, exec, s[8:9]
	v_lshlrev_b32_e32 v9, 3, v0
	s_waitcnt lgkmcnt(0)
	s_barrier
	s_and_saveexec_b64 s[6:7], s[4:5]
	s_cbranch_execz .LBB13_22
; %bb.21:
	v_max_u32_e32 v14, 1, v9
	v_add_u32_e32 v10, 0x800, v8
	v_add_u32_e32 v12, 0x400, v8
	v_min_u32_e32 v16, 0x77, v9
	ds_read2_b32 v[10:11], v10 offset0:4 offset1:131
	ds_read2_b32 v[12:13], v12 offset0:4 offset1:131
	v_lshlrev_b32_e32 v17, 2, v14
	ds_read2_b32 v[14:15], v8 offset0:4 offset1:131
	v_lshlrev_b32_e32 v16, 2, v16
	ds_read_b32 v18, v17 offset:2556
	ds_read_b32 v19, v16 offset:2080
	s_waitcnt lgkmcnt(1)
	v_fma_f32 v11, -v13, v18, v11
	s_waitcnt lgkmcnt(0)
	v_fma_f32 v11, -v15, v19, v11
	ds_write_b32 v8, v11 offset:2572
	ds_read_b32 v11, v17 offset:2556
	s_waitcnt lgkmcnt(0)
	v_fma_f32 v10, -v12, v11, v10
	ds_write_b32 v8, v10 offset:2064
	ds_read_b32 v11, v16 offset:2080
	s_waitcnt lgkmcnt(0)
	v_fma_f32 v10, -v14, v11, v10
	ds_write_b32 v8, v10 offset:2064
.LBB13_22:
	s_or_b64 exec, exec, s[6:7]
	s_waitcnt lgkmcnt(0)
	s_barrier
	s_and_saveexec_b64 s[4:5], s[2:3]
	s_cbranch_execz .LBB13_24
; %bb.23:
	v_max_u32_e32 v8, 1, v6
	v_add_u32_e32 v10, 0x800, v7
	v_add_u32_e32 v12, 0x400, v7
	v_min_u32_e32 v6, 0x7b, v6
	ds_read2_b32 v[10:11], v10 offset0:2 offset1:129
	ds_read2_b32 v[12:13], v12 offset0:2 offset1:129
	v_lshlrev_b32_e32 v8, 2, v8
	ds_read2_b32 v[14:15], v7 offset0:2 offset1:129
	v_lshlrev_b32_e32 v6, 2, v6
	ds_read_b32 v16, v8 offset:2556
	ds_read_b32 v17, v6 offset:2064
	s_waitcnt lgkmcnt(1)
	v_fma_f32 v11, -v13, v16, v11
	s_waitcnt lgkmcnt(0)
	v_fma_f32 v11, -v15, v17, v11
	ds_write_b32 v7, v11 offset:2564
	ds_read_b32 v8, v8 offset:2556
	s_waitcnt lgkmcnt(0)
	v_fma_f32 v8, -v12, v8, v10
	ds_write_b32 v7, v8 offset:2056
	ds_read_b32 v6, v6 offset:2064
	s_waitcnt lgkmcnt(0)
	v_fma_f32 v6, -v14, v6, v8
	ds_write_b32 v7, v6 offset:2056
.LBB13_24:
	s_or_b64 exec, exec, s[4:5]
	s_waitcnt lgkmcnt(0)
	s_barrier
	s_and_saveexec_b64 s[2:3], s[0:1]
	s_cbranch_execz .LBB13_26
; %bb.25:
	v_lshlrev_b32_e32 v0, 1, v0
	v_max_u32_e32 v8, 1, v0
	v_add_u32_e32 v6, 0x800, v9
	v_add_u32_e32 v10, 0x400, v9
	v_min_u32_e32 v0, 0x7d, v0
	ds_read2_b32 v[6:7], v6 offset0:1 offset1:128
	ds_read2_b32 v[10:11], v10 offset0:1 offset1:128
	v_lshlrev_b32_e32 v8, 2, v8
	ds_read2_b32 v[12:13], v9 offset0:1 offset1:128
	v_lshlrev_b32_e32 v0, 2, v0
	ds_read_b32 v14, v8 offset:2556
	ds_read_b32 v15, v0 offset:2056
	s_waitcnt lgkmcnt(1)
	v_fma_f32 v7, -v11, v14, v7
	s_waitcnt lgkmcnt(0)
	v_fma_f32 v7, -v13, v15, v7
	ds_write_b32 v9, v7 offset:2560
	ds_read_b32 v7, v8 offset:2556
	s_waitcnt lgkmcnt(0)
	v_fma_f32 v6, -v10, v7, v6
	ds_write_b32 v9, v6 offset:2052
	ds_read_b32 v0, v0 offset:2056
	s_waitcnt lgkmcnt(0)
	v_fma_f32 v0, -v12, v0, v6
	ds_write_b32 v9, v0 offset:2052
.LBB13_26:
	s_or_b64 exec, exec, s[2:3]
	s_waitcnt lgkmcnt(0)
	s_barrier
	ds_read2st64_b32 v[5:6], v5 offset1:2
	s_waitcnt lgkmcnt(0)
	global_store_dword v[1:2], v5, off
	global_store_dword v[3:4], v6, off
	s_endpgm
	.section	.rodata,"a",@progbits
	.p2align	6, 0x0
	.amdhsa_kernel _ZN9rocsparseL34gtsv_solve_spike_grid_level_kernelILj128EfEEviiiPT0_PKS1_S4_
		.amdhsa_group_segment_fixed_size 3072
		.amdhsa_private_segment_fixed_size 0
		.amdhsa_kernarg_size 40
		.amdhsa_user_sgpr_count 6
		.amdhsa_user_sgpr_private_segment_buffer 1
		.amdhsa_user_sgpr_dispatch_ptr 0
		.amdhsa_user_sgpr_queue_ptr 0
		.amdhsa_user_sgpr_kernarg_segment_ptr 1
		.amdhsa_user_sgpr_dispatch_id 0
		.amdhsa_user_sgpr_flat_scratch_init 0
		.amdhsa_user_sgpr_private_segment_size 0
		.amdhsa_uses_dynamic_stack 0
		.amdhsa_system_sgpr_private_segment_wavefront_offset 0
		.amdhsa_system_sgpr_workgroup_id_x 1
		.amdhsa_system_sgpr_workgroup_id_y 1
		.amdhsa_system_sgpr_workgroup_id_z 0
		.amdhsa_system_sgpr_workgroup_info 0
		.amdhsa_system_vgpr_workitem_id 0
		.amdhsa_next_free_vgpr 32
		.amdhsa_next_free_sgpr 61
		.amdhsa_reserve_vcc 1
		.amdhsa_reserve_flat_scratch 0
		.amdhsa_float_round_mode_32 0
		.amdhsa_float_round_mode_16_64 0
		.amdhsa_float_denorm_mode_32 3
		.amdhsa_float_denorm_mode_16_64 3
		.amdhsa_dx10_clamp 1
		.amdhsa_ieee_mode 1
		.amdhsa_fp16_overflow 0
		.amdhsa_exception_fp_ieee_invalid_op 0
		.amdhsa_exception_fp_denorm_src 0
		.amdhsa_exception_fp_ieee_div_zero 0
		.amdhsa_exception_fp_ieee_overflow 0
		.amdhsa_exception_fp_ieee_underflow 0
		.amdhsa_exception_fp_ieee_inexact 0
		.amdhsa_exception_int_div_zero 0
	.end_amdhsa_kernel
	.section	.text._ZN9rocsparseL34gtsv_solve_spike_grid_level_kernelILj128EfEEviiiPT0_PKS1_S4_,"axG",@progbits,_ZN9rocsparseL34gtsv_solve_spike_grid_level_kernelILj128EfEEviiiPT0_PKS1_S4_,comdat
.Lfunc_end13:
	.size	_ZN9rocsparseL34gtsv_solve_spike_grid_level_kernelILj128EfEEviiiPT0_PKS1_S4_, .Lfunc_end13-_ZN9rocsparseL34gtsv_solve_spike_grid_level_kernelILj128EfEEviiiPT0_PKS1_S4_
                                        ; -- End function
	.set _ZN9rocsparseL34gtsv_solve_spike_grid_level_kernelILj128EfEEviiiPT0_PKS1_S4_.num_vgpr, 32
	.set _ZN9rocsparseL34gtsv_solve_spike_grid_level_kernelILj128EfEEviiiPT0_PKS1_S4_.num_agpr, 0
	.set _ZN9rocsparseL34gtsv_solve_spike_grid_level_kernelILj128EfEEviiiPT0_PKS1_S4_.numbered_sgpr, 16
	.set _ZN9rocsparseL34gtsv_solve_spike_grid_level_kernelILj128EfEEviiiPT0_PKS1_S4_.num_named_barrier, 0
	.set _ZN9rocsparseL34gtsv_solve_spike_grid_level_kernelILj128EfEEviiiPT0_PKS1_S4_.private_seg_size, 0
	.set _ZN9rocsparseL34gtsv_solve_spike_grid_level_kernelILj128EfEEviiiPT0_PKS1_S4_.uses_vcc, 1
	.set _ZN9rocsparseL34gtsv_solve_spike_grid_level_kernelILj128EfEEviiiPT0_PKS1_S4_.uses_flat_scratch, 0
	.set _ZN9rocsparseL34gtsv_solve_spike_grid_level_kernelILj128EfEEviiiPT0_PKS1_S4_.has_dyn_sized_stack, 0
	.set _ZN9rocsparseL34gtsv_solve_spike_grid_level_kernelILj128EfEEviiiPT0_PKS1_S4_.has_recursion, 0
	.set _ZN9rocsparseL34gtsv_solve_spike_grid_level_kernelILj128EfEEviiiPT0_PKS1_S4_.has_indirect_call, 0
	.section	.AMDGPU.csdata,"",@progbits
; Kernel info:
; codeLenInByte = 3720
; TotalNumSgprs: 20
; NumVgprs: 32
; ScratchSize: 0
; MemoryBound: 0
; FloatMode: 240
; IeeeMode: 1
; LDSByteSize: 3072 bytes/workgroup (compile time only)
; SGPRBlocks: 8
; VGPRBlocks: 7
; NumSGPRsForWavesPerEU: 65
; NumVGPRsForWavesPerEU: 32
; Occupancy: 8
; WaveLimiterHint : 1
; COMPUTE_PGM_RSRC2:SCRATCH_EN: 0
; COMPUTE_PGM_RSRC2:USER_SGPR: 6
; COMPUTE_PGM_RSRC2:TRAP_HANDLER: 0
; COMPUTE_PGM_RSRC2:TGID_X_EN: 1
; COMPUTE_PGM_RSRC2:TGID_Y_EN: 1
; COMPUTE_PGM_RSRC2:TGID_Z_EN: 0
; COMPUTE_PGM_RSRC2:TIDIG_COMP_CNT: 0
	.section	.text._ZN9rocsparseL34gtsv_solve_spike_grid_level_kernelILj256EfEEviiiPT0_PKS1_S4_,"axG",@progbits,_ZN9rocsparseL34gtsv_solve_spike_grid_level_kernelILj256EfEEviiiPT0_PKS1_S4_,comdat
	.globl	_ZN9rocsparseL34gtsv_solve_spike_grid_level_kernelILj256EfEEviiiPT0_PKS1_S4_ ; -- Begin function _ZN9rocsparseL34gtsv_solve_spike_grid_level_kernelILj256EfEEviiiPT0_PKS1_S4_
	.p2align	8
	.type	_ZN9rocsparseL34gtsv_solve_spike_grid_level_kernelILj256EfEEviiiPT0_PKS1_S4_,@function
_ZN9rocsparseL34gtsv_solve_spike_grid_level_kernelILj256EfEEviiiPT0_PKS1_S4_: ; @_ZN9rocsparseL34gtsv_solve_spike_grid_level_kernelILj256EfEEviiiPT0_PKS1_S4_
; %bb.0:
	s_load_dwordx4 s[0:3], s[4:5], 0x10
	s_load_dwordx2 s[8:9], s[4:5], 0x20
	v_lshl_or_b32 v3, s7, 9, v0
	v_mov_b32_e32 v4, 0
	v_lshlrev_b64 v[1:2], 2, v[3:4]
	v_or_b32_e32 v3, 0x100, v3
	s_waitcnt lgkmcnt(0)
	v_mov_b32_e32 v5, s1
	v_add_co_u32_e32 v1, vcc, s0, v1
	v_lshlrev_b64 v[3:4], 2, v[3:4]
	v_addc_co_u32_e32 v2, vcc, v5, v2, vcc
	v_lshlrev_b32_e32 v6, 2, v0
	v_add_co_u32_e32 v3, vcc, s0, v3
	global_load_dword v7, v6, s[2:3]
	global_load_dword v8, v6, s[2:3] offset:1024
	global_load_dword v9, v6, s[8:9]
	global_load_dword v10, v6, s[8:9] offset:1024
	v_addc_co_u32_e32 v4, vcc, v5, v4, vcc
	global_load_dword v11, v[1:2], off
	global_load_dword v12, v[3:4], off
	s_movk_i32 s0, 0x80
	v_or_b32_e32 v5, 0x1000, v6
	v_cmp_gt_u32_e64 s[0:1], s0, v0
	s_waitcnt vmcnt(4)
	ds_write2st64_b32 v6, v7, v8 offset0:8 offset1:12
	s_waitcnt vmcnt(2)
	ds_write2st64_b32 v6, v9, v10 offset1:4
	s_waitcnt vmcnt(0)
	ds_write2st64_b32 v6, v11, v12 offset0:16 offset1:20
	s_waitcnt lgkmcnt(0)
	s_barrier
	s_and_saveexec_b64 s[2:3], s[0:1]
	s_cbranch_execz .LBB14_2
; %bb.1:
	v_or_b32_e32 v7, 0x800, v6
	v_add_u32_e32 v25, v6, v6
	v_add_u32_e32 v24, v7, v6
	ds_read2st64_b64 v[7:10], v25 offset1:2
	ds_read2st64_b64 v[11:14], v24 offset1:2
	v_add_u32_e32 v26, v5, v6
	s_waitcnt lgkmcnt(1)
	v_mul_f32_e32 v22, v9, v8
	s_waitcnt lgkmcnt(0)
	v_fma_f32 v19, -v12, v9, 1.0
	v_div_scale_f32 v15, s[4:5], v19, v19, 1.0
	v_div_scale_f32 v16, vcc, 1.0, v19, 1.0
	v_rcp_f32_e32 v17, v15
	v_fma_f32 v18, -v15, v17, 1.0
	v_fmac_f32_e32 v17, v18, v17
	v_mul_f32_e32 v18, v16, v17
	v_fma_f32 v20, -v15, v18, v16
	v_fmac_f32_e32 v18, v20, v17
	v_fma_f32 v15, -v15, v18, v16
	v_div_fmas_f32 v20, v15, v17, v18
	ds_read2st64_b64 v[15:18], v26 offset1:2
	s_waitcnt lgkmcnt(0)
	v_fma_f32 v21, -v9, v16, v17
	v_fma_f32 v9, -v12, v17, v16
	v_mul_f32_e32 v16, v12, v13
	v_div_fixup_f32 v17, v20, v19, 1.0
	v_mul_f32_e32 v9, v9, v17
	v_mul_f32_e32 v12, v17, v21
	v_mul_f32_e64 v16, v16, -v17
	v_mul_f32_e32 v19, v17, v8
	v_mul_f32_e64 v20, v22, -v17
	v_mul_f32_e32 v22, v17, v13
	v_fma_f32 v8, -v9, v7, v15
	v_fma_f32 v13, -v14, v12, v18
	;; [unrolled: 1-line block ×3, first 2 shown]
	v_mul_f32_e64 v18, v19, -v7
	v_fma_f32 v21, -v20, v14, v10
	v_mul_f32_e64 v23, v22, -v14
	ds_write2st64_b64 v26, v[8:9], v[12:13] offset1:2
	ds_write2st64_b64 v25, v[18:19], v[20:21] offset1:2
	;; [unrolled: 1-line block ×3, first 2 shown]
.LBB14_2:
	s_or_b64 exec, exec, s[2:3]
	v_cmp_gt_u32_e64 s[2:3], 64, v0
	v_lshlrev_b32_e32 v7, 4, v0
	s_waitcnt lgkmcnt(0)
	s_barrier
	s_and_saveexec_b64 s[4:5], s[2:3]
	s_cbranch_execz .LBB14_4
; %bb.3:
	v_mad_u32_u24 v21, v0, 12, v6
	v_add_u32_e32 v20, 0x800, v7
	v_add_u32_e32 v22, 0x400, v21
	ds_read2_b32 v[8:9], v20 offset1:2
	ds_read2_b32 v[10:11], v22 offset0:1 offset1:3
	v_mad_u32_u24 v25, v0, 12, v5
	v_add_u32_e32 v26, 0xc00, v7
	v_add_u32_e32 v27, 0x400, v25
	s_waitcnt lgkmcnt(0)
	v_fma_f32 v23, -v9, v10, 1.0
	v_div_scale_f32 v12, s[6:7], v23, v23, 1.0
	v_div_scale_f32 v13, vcc, 1.0, v23, 1.0
	v_rcp_f32_e32 v14, v12
	v_fma_f32 v15, -v12, v14, 1.0
	v_fmac_f32_e32 v14, v15, v14
	v_mul_f32_e32 v15, v13, v14
	v_fma_f32 v16, -v12, v15, v13
	v_fmac_f32_e32 v15, v16, v14
	v_fma_f32 v12, -v12, v15, v13
	v_div_fmas_f32 v24, v12, v14, v15
	ds_read2_b32 v[12:13], v25 offset1:2
	ds_read2_b32 v[14:15], v26 offset0:1 offset1:3
	ds_read2_b32 v[16:17], v27 offset0:1 offset1:3
	ds_read2_b32 v[18:19], v21 offset1:2
	s_waitcnt lgkmcnt(2)
	v_mul_f32_e32 v28, v9, v14
	s_waitcnt lgkmcnt(1)
	v_fma_f32 v29, -v10, v13, v16
	v_fma_f32 v9, -v9, v16, v13
	s_waitcnt lgkmcnt(0)
	v_mul_f32_e32 v10, v10, v19
	v_div_fixup_f32 v13, v24, v23, 1.0
	v_mul_f32_e32 v9, v9, v13
	v_mul_f32_e32 v16, v13, v29
	v_mul_f32_e64 v23, v28, -v13
	v_mul_f32_e32 v19, v13, v19
	v_mul_f32_e64 v10, v10, -v13
	v_mul_f32_e32 v13, v13, v14
	v_fma_f32 v12, -v9, v18, v12
	v_fma_f32 v14, -v15, v16, v17
	;; [unrolled: 1-line block ×3, first 2 shown]
	v_mul_f32_e64 v17, v19, -v18
	v_fma_f32 v11, -v10, v15, v11
	v_mul_f32_e64 v15, v13, -v15
	ds_write2_b32 v25, v12, v9 offset1:2
	ds_write2_b32 v27, v16, v14 offset0:1 offset1:3
	ds_write2_b32 v20, v8, v23 offset1:2
	ds_write2_b32 v21, v17, v19 offset1:2
	ds_write2_b32 v22, v10, v11 offset0:1 offset1:3
	ds_write2_b32 v26, v13, v15 offset0:1 offset1:3
.LBB14_4:
	s_or_b64 exec, exec, s[4:5]
	v_cmp_gt_u32_e64 s[4:5], 32, v0
	v_lshlrev_b32_e32 v8, 5, v0
	s_waitcnt lgkmcnt(0)
	s_barrier
	s_and_saveexec_b64 s[6:7], s[4:5]
	s_cbranch_execz .LBB14_6
; %bb.5:
	v_add_u32_e32 v21, 0x800, v8
	v_add_u32_e32 v22, 0x400, v8
	ds_read2_b32 v[9:10], v21 offset1:4
	ds_read2_b32 v[11:12], v22 offset0:3 offset1:7
	v_add_u32_e32 v25, 0x1400, v8
	v_add_u32_e32 v27, 0xc00, v8
	v_add_u32_e32 v26, 0x1000, v8
	s_waitcnt lgkmcnt(0)
	v_fma_f32 v23, -v10, v11, 1.0
	v_div_scale_f32 v13, s[8:9], v23, v23, 1.0
	v_div_scale_f32 v14, vcc, 1.0, v23, 1.0
	v_rcp_f32_e32 v15, v13
	v_fma_f32 v16, -v13, v15, 1.0
	v_fmac_f32_e32 v15, v16, v15
	v_mul_f32_e32 v16, v14, v15
	v_fma_f32 v17, -v13, v16, v14
	v_fmac_f32_e32 v16, v17, v15
	v_fma_f32 v13, -v13, v16, v14
	v_div_fmas_f32 v24, v13, v15, v16
	ds_read2_b32 v[13:14], v25 offset0:3 offset1:7
	ds_read2_b32 v[15:16], v26 offset1:4
	ds_read2_b32 v[17:18], v8 offset1:4
	ds_read2_b32 v[19:20], v27 offset0:3 offset1:7
	s_waitcnt lgkmcnt(2)
	v_fma_f32 v28, -v11, v16, v13
	v_fma_f32 v13, -v10, v13, v16
	s_waitcnt lgkmcnt(1)
	v_mul_f32_e32 v11, v11, v18
	s_waitcnt lgkmcnt(0)
	v_mul_f32_e32 v10, v10, v19
	v_div_fixup_f32 v16, v24, v23, 1.0
	v_mul_f32_e32 v13, v13, v16
	v_mul_f32_e32 v23, v16, v28
	v_mul_f32_e64 v11, v11, -v16
	v_mul_f32_e32 v18, v16, v18
	v_mul_f32_e64 v10, v10, -v16
	v_mul_f32_e32 v16, v16, v19
	v_fma_f32 v15, -v13, v17, v15
	v_fma_f32 v14, -v20, v23, v14
	v_fma_f32 v9, -v10, v17, v9
	v_mul_f32_e64 v17, v18, -v17
	v_fma_f32 v12, -v11, v20, v12
	v_mul_f32_e64 v19, v16, -v20
	ds_write2_b32 v26, v15, v13 offset1:4
	ds_write2_b32 v25, v23, v14 offset0:3 offset1:7
	ds_write2_b32 v21, v9, v10 offset1:4
	ds_write2_b32 v8, v17, v18 offset1:4
	ds_write2_b32 v22, v11, v12 offset0:3 offset1:7
	ds_write2_b32 v27, v16, v19 offset0:3 offset1:7
.LBB14_6:
	s_or_b64 exec, exec, s[6:7]
	v_cmp_gt_u32_e64 s[6:7], 16, v0
	v_lshlrev_b32_e32 v9, 6, v0
	s_waitcnt lgkmcnt(0)
	s_barrier
	s_and_saveexec_b64 s[8:9], s[6:7]
	s_cbranch_execz .LBB14_8
; %bb.7:
	v_add_u32_e32 v22, 0x800, v9
	v_add_u32_e32 v23, 0x400, v9
	ds_read2_b32 v[10:11], v22 offset1:8
	ds_read2_b32 v[12:13], v23 offset0:7 offset1:15
	v_add_u32_e32 v26, 0x1400, v9
	v_add_u32_e32 v28, 0xc00, v9
	v_add_u32_e32 v27, 0x1000, v9
	s_waitcnt lgkmcnt(0)
	v_fma_f32 v24, -v11, v12, 1.0
	v_div_scale_f32 v14, s[10:11], v24, v24, 1.0
	v_div_scale_f32 v15, vcc, 1.0, v24, 1.0
	v_rcp_f32_e32 v16, v14
	v_fma_f32 v17, -v14, v16, 1.0
	v_fmac_f32_e32 v16, v17, v16
	v_mul_f32_e32 v17, v15, v16
	v_fma_f32 v18, -v14, v17, v15
	v_fmac_f32_e32 v17, v18, v16
	v_fma_f32 v14, -v14, v17, v15
	v_div_fmas_f32 v25, v14, v16, v17
	ds_read2_b32 v[14:15], v26 offset0:7 offset1:15
	ds_read2_b32 v[16:17], v27 offset1:8
	ds_read2_b32 v[18:19], v9 offset1:8
	ds_read2_b32 v[20:21], v28 offset0:7 offset1:15
	s_waitcnt lgkmcnt(2)
	v_fma_f32 v29, -v12, v17, v14
	v_fma_f32 v14, -v11, v14, v17
	s_waitcnt lgkmcnt(1)
	v_mul_f32_e32 v12, v12, v19
	s_waitcnt lgkmcnt(0)
	v_mul_f32_e32 v11, v11, v20
	v_div_fixup_f32 v17, v25, v24, 1.0
	v_mul_f32_e32 v14, v14, v17
	v_mul_f32_e32 v24, v17, v29
	v_mul_f32_e64 v12, v12, -v17
	v_mul_f32_e32 v19, v17, v19
	v_mul_f32_e64 v11, v11, -v17
	v_mul_f32_e32 v17, v17, v20
	v_fma_f32 v16, -v14, v18, v16
	v_fma_f32 v15, -v21, v24, v15
	v_fma_f32 v10, -v11, v18, v10
	v_mul_f32_e64 v18, v19, -v18
	v_fma_f32 v13, -v12, v21, v13
	v_mul_f32_e64 v20, v17, -v21
	ds_write2_b32 v27, v16, v14 offset1:8
	ds_write2_b32 v26, v24, v15 offset0:7 offset1:15
	ds_write2_b32 v22, v10, v11 offset1:8
	ds_write2_b32 v9, v18, v19 offset1:8
	ds_write2_b32 v23, v12, v13 offset0:7 offset1:15
	ds_write2_b32 v28, v17, v20 offset0:7 offset1:15
.LBB14_8:
	;; [unrolled: 58-line block ×3, first 2 shown]
	s_or_b64 exec, exec, s[10:11]
	v_cmp_gt_u32_e64 s[10:11], 4, v0
	v_lshlrev_b32_e32 v11, 8, v0
	s_waitcnt lgkmcnt(0)
	s_barrier
	s_and_saveexec_b64 s[12:13], s[10:11]
	s_cbranch_execz .LBB14_12
; %bb.11:
	v_add_u32_e32 v24, 0x800, v11
	v_add_u32_e32 v25, 0x400, v11
	ds_read2_b32 v[12:13], v24 offset1:32
	ds_read2_b32 v[14:15], v25 offset0:31 offset1:63
	v_add_u32_e32 v28, 0x1400, v11
	v_add_u32_e32 v30, 0xc00, v11
	;; [unrolled: 1-line block ×3, first 2 shown]
	s_waitcnt lgkmcnt(0)
	v_fma_f32 v26, -v13, v14, 1.0
	v_div_scale_f32 v16, s[14:15], v26, v26, 1.0
	v_div_scale_f32 v17, vcc, 1.0, v26, 1.0
	v_rcp_f32_e32 v18, v16
	v_fma_f32 v19, -v16, v18, 1.0
	v_fmac_f32_e32 v18, v19, v18
	v_mul_f32_e32 v19, v17, v18
	v_fma_f32 v20, -v16, v19, v17
	v_fmac_f32_e32 v19, v20, v18
	v_fma_f32 v16, -v16, v19, v17
	v_div_fmas_f32 v27, v16, v18, v19
	ds_read2_b32 v[16:17], v28 offset0:31 offset1:63
	ds_read2_b32 v[18:19], v29 offset1:32
	ds_read2_b32 v[20:21], v11 offset1:32
	ds_read2_b32 v[22:23], v30 offset0:31 offset1:63
	s_waitcnt lgkmcnt(2)
	v_fma_f32 v31, -v14, v19, v16
	v_fma_f32 v16, -v13, v16, v19
	s_waitcnt lgkmcnt(1)
	v_mul_f32_e32 v14, v14, v21
	s_waitcnt lgkmcnt(0)
	v_mul_f32_e32 v13, v13, v22
	v_div_fixup_f32 v19, v27, v26, 1.0
	v_mul_f32_e32 v16, v16, v19
	v_mul_f32_e32 v26, v19, v31
	v_mul_f32_e64 v14, v14, -v19
	v_mul_f32_e64 v13, v13, -v19
	v_mul_f32_e32 v21, v19, v21
	v_mul_f32_e32 v19, v19, v22
	v_fma_f32 v18, -v16, v20, v18
	v_fma_f32 v17, -v23, v26, v17
	;; [unrolled: 1-line block ×3, first 2 shown]
	v_mul_f32_e64 v20, v21, -v20
	v_fma_f32 v15, -v14, v23, v15
	v_mul_f32_e64 v22, v19, -v23
	ds_write2_b32 v29, v18, v16 offset1:32
	ds_write2_b32 v28, v26, v17 offset0:31 offset1:63
	ds_write2_b32 v24, v12, v13 offset1:32
	ds_write2_b32 v11, v20, v21 offset1:32
	ds_write2_b32 v25, v14, v15 offset0:31 offset1:63
	ds_write2_b32 v30, v19, v22 offset0:31 offset1:63
.LBB14_12:
	s_or_b64 exec, exec, s[12:13]
	v_cmp_gt_u32_e64 s[12:13], 2, v0
	v_lshlrev_b32_e32 v12, 9, v0
	s_waitcnt lgkmcnt(0)
	s_barrier
	s_and_saveexec_b64 s[14:15], s[12:13]
	s_cbranch_execz .LBB14_14
; %bb.13:
	v_add_u32_e32 v25, 0xfc, v12
	ds_read2st64_b32 v[13:14], v25 offset0:4 offset1:5
	ds_read2st64_b32 v[15:16], v12 offset0:8 offset1:9
	;; [unrolled: 1-line block ×3, first 2 shown]
	ds_read2st64_b32 v[19:20], v12 offset1:1
	ds_read2st64_b32 v[21:22], v25 offset0:12 offset1:13
	s_waitcnt lgkmcnt(3)
	v_fma_f32 v26, -v16, v13, 1.0
	v_div_scale_f32 v23, s[16:17], v26, v26, 1.0
	v_div_scale_f32 v24, vcc, 1.0, v26, 1.0
	v_rcp_f32_e32 v27, v23
	v_fma_f32 v28, -v23, v27, 1.0
	v_fmac_f32_e32 v27, v28, v27
	v_mul_f32_e32 v28, v24, v27
	v_fma_f32 v29, -v23, v28, v24
	v_fmac_f32_e32 v28, v29, v27
	v_fma_f32 v23, -v23, v28, v24
	v_div_fmas_f32 v27, v23, v27, v28
	ds_read2st64_b32 v[23:24], v25 offset0:20 offset1:21
	s_waitcnt lgkmcnt(0)
	v_fma_f32 v28, -v13, v18, v23
	v_fma_f32 v18, -v16, v23, v18
	v_mul_f32_e32 v13, v13, v20
	v_mul_f32_e32 v16, v16, v21
	v_div_fixup_f32 v23, v27, v26, 1.0
	v_mul_f32_e32 v18, v18, v23
	v_mul_f32_e32 v26, v23, v28
	v_mul_f32_e64 v13, v13, -v23
	v_mul_f32_e32 v20, v23, v20
	v_mul_f32_e64 v16, v16, -v23
	v_mul_f32_e32 v21, v23, v21
	v_fma_f32 v17, -v18, v19, v17
	v_fma_f32 v23, -v22, v26, v24
	;; [unrolled: 1-line block ×3, first 2 shown]
	v_mul_f32_e64 v19, v20, -v19
	v_fma_f32 v14, -v13, v22, v14
	v_mul_f32_e64 v22, v21, -v22
	ds_write2st64_b32 v12, v17, v18 offset0:16 offset1:17
	ds_write2st64_b32 v25, v26, v23 offset0:20 offset1:21
	;; [unrolled: 1-line block ×3, first 2 shown]
	ds_write2st64_b32 v12, v19, v20 offset1:1
	ds_write2st64_b32 v25, v13, v14 offset0:4 offset1:5
	ds_write2st64_b32 v25, v21, v22 offset0:12 offset1:13
.LBB14_14:
	s_or_b64 exec, exec, s[14:15]
	v_cmp_eq_u32_e32 vcc, 0, v0
	s_waitcnt lgkmcnt(0)
	s_barrier
	s_and_saveexec_b64 s[14:15], vcc
	s_cbranch_execz .LBB14_16
; %bb.15:
	s_movk_i32 s16, 0xa00
	v_add_u32_e64 v24, s16, 0
	v_mov_b32_e32 v23, 0
	ds_read2_b32 v[13:14], v24 offset1:255
	ds_read_b32 v25, v23 offset:1532
	v_mov_b32_e32 v26, 0x7fc
	ds_read2_b32 v[15:16], v26 offset1:1
	ds_read_b32 v27, v23 offset:6140
	v_mov_b32_e32 v31, 0xffc
	s_waitcnt lgkmcnt(2)
	v_fma_f32 v28, -v13, v25, 1.0
	v_div_scale_f32 v17, s[16:17], v28, v28, 1.0
	v_div_scale_f32 v18, vcc, 1.0, v28, 1.0
	s_movk_i32 s16, 0x1200
	v_add_u32_e64 v30, s16, 0
	v_rcp_f32_e32 v19, v17
	v_fma_f32 v20, -v17, v19, 1.0
	v_fmac_f32_e32 v19, v20, v19
	v_mul_f32_e32 v20, v18, v19
	v_fma_f32 v21, -v17, v20, v18
	v_fmac_f32_e32 v20, v21, v19
	v_fma_f32 v17, -v17, v20, v18
	v_div_fmas_f32 v29, v17, v19, v20
	ds_read2st64_b32 v[17:18], v23 offset1:2
	ds_read2_b32 v[19:20], v30 offset1:255
	ds_read2_b32 v[21:22], v31 offset1:1
	s_waitcnt lgkmcnt(2)
	v_mul_f32_e32 v32, v25, v18
	s_waitcnt lgkmcnt(1)
	v_fma_f32 v25, -v25, v19, v20
	v_fma_f32 v19, -v13, v20, v19
	v_mul_f32_e32 v13, v13, v14
	v_div_fixup_f32 v20, v29, v28, 1.0
	v_mul_f32_e32 v25, v20, v25
	v_mul_f32_e32 v19, v19, v20
	v_mul_f32_e64 v28, v32, -v20
	v_mul_f32_e32 v18, v20, v18
	v_mul_f32_e64 v13, v13, -v20
	v_mul_f32_e32 v14, v20, v14
	s_waitcnt lgkmcnt(0)
	v_fma_f32 v20, -v21, v25, v27
	ds_write2_b32 v30, v19, v25 offset1:255
	v_fma_f32 v19, -v19, v17, v22
	ds_write_b32 v23, v28 offset:1532
	ds_write2_b32 v24, v13, v14 offset1:255
	v_fma_f32 v13, -v13, v17, v16
	v_mul_f32_e64 v16, v18, -v17
	v_fma_f32 v15, -v28, v21, v15
	v_mul_f32_e64 v14, v14, -v21
	ds_write_b32 v23, v20 offset:6140
	ds_write2st64_b32 v23, v16, v18 offset1:2
	ds_write2_b32 v26, v15, v13 offset1:1
	ds_write2_b32 v31, v14, v19 offset1:1
.LBB14_16:
	s_or_b64 exec, exec, s[14:15]
	s_waitcnt lgkmcnt(0)
	s_barrier
	s_and_saveexec_b64 s[14:15], s[12:13]
	s_cbranch_execz .LBB14_18
; %bb.17:
	v_max_u32_e32 v17, 1, v10
	v_add_u32_e32 v13, 0x1100, v12
	v_add_u32_e32 v15, 0x900, v12
	v_min_u32_e32 v19, 0x7f, v10
	ds_read2_b32 v[13:14], v13 offset1:255
	ds_read2_b32 v[15:16], v15 offset1:255
	v_lshlrev_b32_e32 v20, 2, v17
	v_add_u32_e32 v17, 0x100, v12
	ds_read2_b32 v[17:18], v17 offset1:255
	v_lshlrev_b32_e32 v19, 2, v19
	ds_read_b32 v21, v20 offset:5116
	ds_read_b32 v22, v19 offset:4608
	s_waitcnt lgkmcnt(1)
	v_fma_f32 v14, -v16, v21, v14
	s_waitcnt lgkmcnt(0)
	v_fma_f32 v14, -v18, v22, v14
	ds_write_b32 v12, v14 offset:5372
	ds_read_b32 v14, v20 offset:5116
	s_waitcnt lgkmcnt(0)
	v_fma_f32 v13, -v15, v14, v13
	ds_write_b32 v12, v13 offset:4352
	ds_read_b32 v14, v19 offset:4608
	s_waitcnt lgkmcnt(0)
	v_fma_f32 v13, -v17, v14, v13
	ds_write_b32 v12, v13 offset:4352
.LBB14_18:
	s_or_b64 exec, exec, s[14:15]
	s_waitcnt lgkmcnt(0)
	s_barrier
	s_and_saveexec_b64 s[12:13], s[10:11]
	s_cbranch_execz .LBB14_20
; %bb.19:
	v_max_u32_e32 v16, 1, v9
	v_add_u32_e32 v12, 0x1080, v11
	v_add_u32_e32 v14, 0x880, v11
	v_min_u32_e32 v18, 0xbf, v9
	ds_read2_b32 v[12:13], v12 offset1:255
	ds_read2_b32 v[14:15], v14 offset1:255
	v_lshlrev_b32_e32 v19, 2, v16
	v_add_u32_e32 v16, 0x80, v11
	ds_read2_b32 v[16:17], v16 offset1:255
	v_lshlrev_b32_e32 v18, 2, v18
	ds_read_b32 v20, v19 offset:5116
	ds_read_b32 v21, v18 offset:4352
	s_waitcnt lgkmcnt(1)
	v_fma_f32 v13, -v15, v20, v13
	s_waitcnt lgkmcnt(0)
	v_fma_f32 v13, -v17, v21, v13
	ds_write_b32 v11, v13 offset:5244
	ds_read_b32 v13, v19 offset:5116
	s_waitcnt lgkmcnt(0)
	v_fma_f32 v12, -v14, v13, v12
	ds_write_b32 v11, v12 offset:4224
	ds_read_b32 v13, v18 offset:4352
	s_waitcnt lgkmcnt(0)
	v_fma_f32 v12, -v16, v13, v12
	ds_write_b32 v11, v12 offset:4224
.LBB14_20:
	;; [unrolled: 32-line block ×4, first 2 shown]
	s_or_b64 exec, exec, s[8:9]
	v_lshlrev_b32_e32 v9, 3, v0
	s_waitcnt lgkmcnt(0)
	s_barrier
	s_and_saveexec_b64 s[6:7], s[4:5]
	s_cbranch_execz .LBB14_26
; %bb.25:
	v_max_u32_e32 v14, 1, v9
	v_add_u32_e32 v10, 0x1010, v8
	v_add_u32_e32 v12, 0x810, v8
	v_min_u32_e32 v16, 0xf7, v9
	ds_read2_b32 v[10:11], v10 offset1:255
	ds_read2_b32 v[12:13], v12 offset1:255
	v_lshlrev_b32_e32 v17, 2, v14
	v_add_u32_e32 v14, 16, v8
	ds_read2_b32 v[14:15], v14 offset1:255
	v_lshlrev_b32_e32 v16, 2, v16
	ds_read_b32 v18, v17 offset:5116
	ds_read_b32 v19, v16 offset:4128
	s_waitcnt lgkmcnt(1)
	v_fma_f32 v11, -v13, v18, v11
	s_waitcnt lgkmcnt(0)
	v_fma_f32 v11, -v15, v19, v11
	ds_write_b32 v8, v11 offset:5132
	ds_read_b32 v11, v17 offset:5116
	s_waitcnt lgkmcnt(0)
	v_fma_f32 v10, -v12, v11, v10
	ds_write_b32 v8, v10 offset:4112
	ds_read_b32 v11, v16 offset:4128
	s_waitcnt lgkmcnt(0)
	v_fma_f32 v10, -v14, v11, v10
	ds_write_b32 v8, v10 offset:4112
.LBB14_26:
	s_or_b64 exec, exec, s[6:7]
	s_waitcnt lgkmcnt(0)
	s_barrier
	s_and_saveexec_b64 s[4:5], s[2:3]
	s_cbranch_execz .LBB14_28
; %bb.27:
	v_max_u32_e32 v8, 1, v6
	v_add_u32_e32 v10, 0x1008, v7
	v_add_u32_e32 v12, 0x808, v7
	v_min_u32_e32 v6, 0xfb, v6
	ds_read2_b32 v[10:11], v10 offset1:255
	ds_read2_b32 v[12:13], v12 offset1:255
	v_lshlrev_b32_e32 v8, 2, v8
	v_add_u32_e32 v14, 8, v7
	ds_read2_b32 v[14:15], v14 offset1:255
	v_lshlrev_b32_e32 v6, 2, v6
	ds_read_b32 v16, v8 offset:5116
	ds_read_b32 v17, v6 offset:4112
	s_waitcnt lgkmcnt(1)
	v_fma_f32 v11, -v13, v16, v11
	s_waitcnt lgkmcnt(0)
	v_fma_f32 v11, -v15, v17, v11
	ds_write_b32 v7, v11 offset:5124
	ds_read_b32 v8, v8 offset:5116
	s_waitcnt lgkmcnt(0)
	v_fma_f32 v8, -v12, v8, v10
	ds_write_b32 v7, v8 offset:4104
	ds_read_b32 v6, v6 offset:4112
	s_waitcnt lgkmcnt(0)
	v_fma_f32 v6, -v14, v6, v8
	ds_write_b32 v7, v6 offset:4104
.LBB14_28:
	s_or_b64 exec, exec, s[4:5]
	s_waitcnt lgkmcnt(0)
	s_barrier
	s_and_saveexec_b64 s[2:3], s[0:1]
	s_cbranch_execz .LBB14_30
; %bb.29:
	v_lshlrev_b32_e32 v0, 1, v0
	v_max_u32_e32 v8, 1, v0
	v_add_u32_e32 v6, 0x1004, v9
	v_add_u32_e32 v10, 0x804, v9
	v_min_u32_e32 v0, 0xfd, v0
	ds_read2_b32 v[6:7], v6 offset1:255
	ds_read2_b32 v[10:11], v10 offset1:255
	v_lshlrev_b32_e32 v8, 2, v8
	v_add_u32_e32 v12, 4, v9
	ds_read2_b32 v[12:13], v12 offset1:255
	v_lshlrev_b32_e32 v0, 2, v0
	ds_read_b32 v14, v8 offset:5116
	ds_read_b32 v15, v0 offset:4104
	s_waitcnt lgkmcnt(1)
	v_fma_f32 v7, -v11, v14, v7
	s_waitcnt lgkmcnt(0)
	v_fma_f32 v7, -v13, v15, v7
	ds_write_b32 v9, v7 offset:5120
	ds_read_b32 v7, v8 offset:5116
	s_waitcnt lgkmcnt(0)
	v_fma_f32 v6, -v10, v7, v6
	ds_write_b32 v9, v6 offset:4100
	ds_read_b32 v0, v0 offset:4104
	s_waitcnt lgkmcnt(0)
	v_fma_f32 v0, -v12, v0, v6
	ds_write_b32 v9, v0 offset:4100
.LBB14_30:
	s_or_b64 exec, exec, s[2:3]
	s_waitcnt lgkmcnt(0)
	s_barrier
	ds_read2st64_b32 v[5:6], v5 offset1:4
	s_waitcnt lgkmcnt(0)
	global_store_dword v[1:2], v5, off
	global_store_dword v[3:4], v6, off
	s_endpgm
	.section	.rodata,"a",@progbits
	.p2align	6, 0x0
	.amdhsa_kernel _ZN9rocsparseL34gtsv_solve_spike_grid_level_kernelILj256EfEEviiiPT0_PKS1_S4_
		.amdhsa_group_segment_fixed_size 6144
		.amdhsa_private_segment_fixed_size 0
		.amdhsa_kernarg_size 40
		.amdhsa_user_sgpr_count 6
		.amdhsa_user_sgpr_private_segment_buffer 1
		.amdhsa_user_sgpr_dispatch_ptr 0
		.amdhsa_user_sgpr_queue_ptr 0
		.amdhsa_user_sgpr_kernarg_segment_ptr 1
		.amdhsa_user_sgpr_dispatch_id 0
		.amdhsa_user_sgpr_flat_scratch_init 0
		.amdhsa_user_sgpr_private_segment_size 0
		.amdhsa_uses_dynamic_stack 0
		.amdhsa_system_sgpr_private_segment_wavefront_offset 0
		.amdhsa_system_sgpr_workgroup_id_x 1
		.amdhsa_system_sgpr_workgroup_id_y 1
		.amdhsa_system_sgpr_workgroup_id_z 0
		.amdhsa_system_sgpr_workgroup_info 0
		.amdhsa_system_vgpr_workitem_id 0
		.amdhsa_next_free_vgpr 33
		.amdhsa_next_free_sgpr 18
		.amdhsa_reserve_vcc 1
		.amdhsa_reserve_flat_scratch 0
		.amdhsa_float_round_mode_32 0
		.amdhsa_float_round_mode_16_64 0
		.amdhsa_float_denorm_mode_32 3
		.amdhsa_float_denorm_mode_16_64 3
		.amdhsa_dx10_clamp 1
		.amdhsa_ieee_mode 1
		.amdhsa_fp16_overflow 0
		.amdhsa_exception_fp_ieee_invalid_op 0
		.amdhsa_exception_fp_denorm_src 0
		.amdhsa_exception_fp_ieee_div_zero 0
		.amdhsa_exception_fp_ieee_overflow 0
		.amdhsa_exception_fp_ieee_underflow 0
		.amdhsa_exception_fp_ieee_inexact 0
		.amdhsa_exception_int_div_zero 0
	.end_amdhsa_kernel
	.section	.text._ZN9rocsparseL34gtsv_solve_spike_grid_level_kernelILj256EfEEviiiPT0_PKS1_S4_,"axG",@progbits,_ZN9rocsparseL34gtsv_solve_spike_grid_level_kernelILj256EfEEviiiPT0_PKS1_S4_,comdat
.Lfunc_end14:
	.size	_ZN9rocsparseL34gtsv_solve_spike_grid_level_kernelILj256EfEEviiiPT0_PKS1_S4_, .Lfunc_end14-_ZN9rocsparseL34gtsv_solve_spike_grid_level_kernelILj256EfEEviiiPT0_PKS1_S4_
                                        ; -- End function
	.set _ZN9rocsparseL34gtsv_solve_spike_grid_level_kernelILj256EfEEviiiPT0_PKS1_S4_.num_vgpr, 33
	.set _ZN9rocsparseL34gtsv_solve_spike_grid_level_kernelILj256EfEEviiiPT0_PKS1_S4_.num_agpr, 0
	.set _ZN9rocsparseL34gtsv_solve_spike_grid_level_kernelILj256EfEEviiiPT0_PKS1_S4_.numbered_sgpr, 18
	.set _ZN9rocsparseL34gtsv_solve_spike_grid_level_kernelILj256EfEEviiiPT0_PKS1_S4_.num_named_barrier, 0
	.set _ZN9rocsparseL34gtsv_solve_spike_grid_level_kernelILj256EfEEviiiPT0_PKS1_S4_.private_seg_size, 0
	.set _ZN9rocsparseL34gtsv_solve_spike_grid_level_kernelILj256EfEEviiiPT0_PKS1_S4_.uses_vcc, 1
	.set _ZN9rocsparseL34gtsv_solve_spike_grid_level_kernelILj256EfEEviiiPT0_PKS1_S4_.uses_flat_scratch, 0
	.set _ZN9rocsparseL34gtsv_solve_spike_grid_level_kernelILj256EfEEviiiPT0_PKS1_S4_.has_dyn_sized_stack, 0
	.set _ZN9rocsparseL34gtsv_solve_spike_grid_level_kernelILj256EfEEviiiPT0_PKS1_S4_.has_recursion, 0
	.set _ZN9rocsparseL34gtsv_solve_spike_grid_level_kernelILj256EfEEviiiPT0_PKS1_S4_.has_indirect_call, 0
	.section	.AMDGPU.csdata,"",@progbits
; Kernel info:
; codeLenInByte = 4396
; TotalNumSgprs: 22
; NumVgprs: 33
; ScratchSize: 0
; MemoryBound: 0
; FloatMode: 240
; IeeeMode: 1
; LDSByteSize: 6144 bytes/workgroup (compile time only)
; SGPRBlocks: 2
; VGPRBlocks: 8
; NumSGPRsForWavesPerEU: 22
; NumVGPRsForWavesPerEU: 33
; Occupancy: 7
; WaveLimiterHint : 1
; COMPUTE_PGM_RSRC2:SCRATCH_EN: 0
; COMPUTE_PGM_RSRC2:USER_SGPR: 6
; COMPUTE_PGM_RSRC2:TRAP_HANDLER: 0
; COMPUTE_PGM_RSRC2:TGID_X_EN: 1
; COMPUTE_PGM_RSRC2:TGID_Y_EN: 1
; COMPUTE_PGM_RSRC2:TGID_Z_EN: 0
; COMPUTE_PGM_RSRC2:TIDIG_COMP_CNT: 0
	.section	.text._ZN9rocsparseL34gtsv_solve_spike_grid_level_kernelILj512EfEEviiiPT0_PKS1_S4_,"axG",@progbits,_ZN9rocsparseL34gtsv_solve_spike_grid_level_kernelILj512EfEEviiiPT0_PKS1_S4_,comdat
	.globl	_ZN9rocsparseL34gtsv_solve_spike_grid_level_kernelILj512EfEEviiiPT0_PKS1_S4_ ; -- Begin function _ZN9rocsparseL34gtsv_solve_spike_grid_level_kernelILj512EfEEviiiPT0_PKS1_S4_
	.p2align	8
	.type	_ZN9rocsparseL34gtsv_solve_spike_grid_level_kernelILj512EfEEviiiPT0_PKS1_S4_,@function
_ZN9rocsparseL34gtsv_solve_spike_grid_level_kernelILj512EfEEviiiPT0_PKS1_S4_: ; @_ZN9rocsparseL34gtsv_solve_spike_grid_level_kernelILj512EfEEviiiPT0_PKS1_S4_
; %bb.0:
	s_load_dwordx4 s[0:3], s[4:5], 0x10
	s_load_dwordx2 s[8:9], s[4:5], 0x20
	v_lshl_or_b32 v3, s7, 10, v0
	v_mov_b32_e32 v4, 0
	v_lshlrev_b64 v[1:2], 2, v[3:4]
	v_or_b32_e32 v3, 0x200, v3
	s_waitcnt lgkmcnt(0)
	v_mov_b32_e32 v5, s1
	v_add_co_u32_e32 v1, vcc, s0, v1
	v_lshlrev_b64 v[3:4], 2, v[3:4]
	v_addc_co_u32_e32 v2, vcc, v5, v2, vcc
	v_lshlrev_b32_e32 v6, 2, v0
	v_add_co_u32_e32 v3, vcc, s0, v3
	global_load_dword v8, v6, s[2:3]
	global_load_dword v9, v6, s[2:3] offset:2048
	global_load_dword v10, v6, s[8:9]
	global_load_dword v11, v6, s[8:9] offset:2048
	v_addc_co_u32_e32 v4, vcc, v5, v4, vcc
	global_load_dword v12, v[1:2], off
	global_load_dword v13, v[3:4], off
	s_movk_i32 s0, 0x100
	v_or_b32_e32 v7, 0x1000, v6
	v_or_b32_e32 v5, 0x2000, v6
	v_cmp_gt_u32_e64 s[0:1], s0, v0
	s_waitcnt vmcnt(4)
	ds_write2st64_b32 v6, v8, v9 offset0:16 offset1:24
	s_waitcnt vmcnt(2)
	ds_write2st64_b32 v6, v10, v11 offset1:8
	s_waitcnt vmcnt(0)
	ds_write2st64_b32 v6, v12, v13 offset0:32 offset1:40
	s_waitcnt lgkmcnt(0)
	s_barrier
	s_and_saveexec_b64 s[2:3], s[0:1]
	s_cbranch_execz .LBB15_2
; %bb.1:
	v_add_u32_e32 v25, v7, v6
	v_add_u32_e32 v26, v6, v6
	ds_read2st64_b64 v[8:11], v25 offset1:4
	ds_read2st64_b64 v[12:15], v26 offset1:4
	v_add_u32_e32 v27, v5, v6
	s_waitcnt lgkmcnt(0)
	v_fma_f32 v20, -v9, v14, 1.0
	v_div_scale_f32 v16, s[4:5], v20, v20, 1.0
	v_div_scale_f32 v17, vcc, 1.0, v20, 1.0
	v_mul_f32_e32 v23, v14, v13
	v_rcp_f32_e32 v18, v16
	v_fma_f32 v19, -v16, v18, 1.0
	v_fmac_f32_e32 v18, v19, v18
	v_mul_f32_e32 v19, v17, v18
	v_fma_f32 v21, -v16, v19, v17
	v_fmac_f32_e32 v19, v21, v18
	v_fma_f32 v16, -v16, v19, v17
	v_div_fmas_f32 v21, v16, v18, v19
	ds_read2st64_b64 v[16:19], v27 offset1:4
	s_waitcnt lgkmcnt(0)
	v_fma_f32 v22, -v9, v18, v17
	v_fma_f32 v17, -v14, v17, v18
	v_mul_f32_e32 v18, v9, v10
	v_div_fixup_f32 v24, v21, v20, 1.0
	v_mul_f32_e32 v14, v22, v24
	v_mul_f32_e32 v9, v24, v17
	v_mul_f32_e64 v17, v18, -v24
	v_mul_f32_e32 v20, v24, v13
	v_mul_f32_e64 v21, v23, -v24
	v_mul_f32_e32 v23, v24, v10
	v_fma_f32 v13, -v14, v12, v16
	v_fma_f32 v10, -v11, v9, v19
	v_fma_f32 v16, -v17, v12, v8
	v_mul_f32_e64 v19, v20, -v12
	v_fma_f32 v22, -v21, v11, v15
	v_mul_f32_e64 v24, v23, -v11
	ds_write2st64_b64 v27, v[13:14], v[9:10] offset1:4
	ds_write2st64_b64 v26, v[19:20], v[21:22] offset1:4
	;; [unrolled: 1-line block ×3, first 2 shown]
.LBB15_2:
	s_or_b64 exec, exec, s[2:3]
	s_movk_i32 s2, 0x80
	v_cmp_gt_u32_e64 s[2:3], s2, v0
	s_waitcnt lgkmcnt(0)
	s_barrier
	s_and_saveexec_b64 s[4:5], s[2:3]
	s_cbranch_execz .LBB15_4
; %bb.3:
	v_mad_u32_u24 v20, v0, 12, v6
	v_mad_u32_u24 v19, v0, 12, v7
	v_add_u32_e32 v21, 0x800, v20
	ds_read2_b32 v[7:8], v19 offset1:2
	ds_read2_b32 v[9:10], v21 offset0:1 offset1:3
	v_mad_u32_u24 v24, v0, 12, v5
	v_add_u32_e32 v26, 0x800, v19
	v_add_u32_e32 v25, 0x800, v24
	s_waitcnt lgkmcnt(0)
	v_fma_f32 v22, -v8, v9, 1.0
	v_div_scale_f32 v11, s[6:7], v22, v22, 1.0
	v_div_scale_f32 v12, vcc, 1.0, v22, 1.0
	v_rcp_f32_e32 v13, v11
	v_fma_f32 v14, -v11, v13, 1.0
	v_fmac_f32_e32 v13, v14, v13
	v_mul_f32_e32 v14, v12, v13
	v_fma_f32 v15, -v11, v14, v12
	v_fmac_f32_e32 v14, v15, v13
	v_fma_f32 v11, -v11, v14, v12
	v_div_fmas_f32 v23, v11, v13, v14
	ds_read2_b32 v[11:12], v24 offset1:2
	ds_read2_b32 v[13:14], v25 offset0:1 offset1:3
	ds_read2_b32 v[15:16], v20 offset1:2
	ds_read2_b32 v[17:18], v26 offset0:1 offset1:3
	s_waitcnt lgkmcnt(2)
	v_fma_f32 v27, -v9, v12, v13
	v_fma_f32 v12, -v8, v13, v12
	s_waitcnt lgkmcnt(1)
	v_mul_f32_e32 v9, v9, v16
	s_waitcnt lgkmcnt(0)
	v_mul_f32_e32 v8, v8, v17
	v_div_fixup_f32 v13, v23, v22, 1.0
	v_mul_f32_e32 v12, v12, v13
	v_mul_f32_e32 v22, v13, v27
	v_mul_f32_e64 v9, v9, -v13
	v_mul_f32_e64 v8, v8, -v13
	v_mul_f32_e32 v16, v13, v16
	v_mul_f32_e32 v13, v13, v17
	v_fma_f32 v11, -v12, v15, v11
	v_fma_f32 v14, -v18, v22, v14
	v_fma_f32 v7, -v8, v15, v7
	v_mul_f32_e64 v15, v16, -v15
	v_fma_f32 v10, -v9, v18, v10
	v_mul_f32_e64 v17, v13, -v18
	ds_write2_b32 v24, v11, v12 offset1:2
	ds_write2_b32 v25, v22, v14 offset0:1 offset1:3
	ds_write2_b32 v19, v7, v8 offset1:2
	ds_write2_b32 v20, v15, v16 offset1:2
	ds_write2_b32 v21, v9, v10 offset0:1 offset1:3
	ds_write2_b32 v26, v13, v17 offset0:1 offset1:3
.LBB15_4:
	s_or_b64 exec, exec, s[4:5]
	v_cmp_gt_u32_e64 s[4:5], 64, v0
	v_lshlrev_b32_e32 v7, 5, v0
	s_waitcnt lgkmcnt(0)
	s_barrier
	s_and_saveexec_b64 s[6:7], s[4:5]
	s_cbranch_execz .LBB15_6
; %bb.5:
	v_add_u32_e32 v20, 0x1000, v7
	v_add_u32_e32 v21, 0x800, v7
	ds_read2_b32 v[8:9], v20 offset1:4
	ds_read2_b32 v[10:11], v21 offset0:3 offset1:7
	v_add_u32_e32 v24, 0x2800, v7
	v_add_u32_e32 v26, 0x1800, v7
	v_add_u32_e32 v25, 0x2000, v7
	s_waitcnt lgkmcnt(0)
	v_fma_f32 v22, -v9, v10, 1.0
	v_div_scale_f32 v12, s[8:9], v22, v22, 1.0
	v_div_scale_f32 v13, vcc, 1.0, v22, 1.0
	v_rcp_f32_e32 v14, v12
	v_fma_f32 v15, -v12, v14, 1.0
	v_fmac_f32_e32 v14, v15, v14
	v_mul_f32_e32 v15, v13, v14
	v_fma_f32 v16, -v12, v15, v13
	v_fmac_f32_e32 v15, v16, v14
	v_fma_f32 v12, -v12, v15, v13
	v_div_fmas_f32 v23, v12, v14, v15
	ds_read2_b32 v[12:13], v24 offset0:3 offset1:7
	ds_read2_b32 v[14:15], v25 offset1:4
	ds_read2_b32 v[16:17], v7 offset1:4
	ds_read2_b32 v[18:19], v26 offset0:3 offset1:7
	s_waitcnt lgkmcnt(2)
	v_fma_f32 v27, -v10, v15, v12
	v_fma_f32 v12, -v9, v12, v15
	s_waitcnt lgkmcnt(1)
	v_mul_f32_e32 v10, v10, v17
	s_waitcnt lgkmcnt(0)
	v_mul_f32_e32 v9, v9, v18
	v_div_fixup_f32 v15, v23, v22, 1.0
	v_mul_f32_e32 v12, v12, v15
	v_mul_f32_e32 v22, v15, v27
	v_mul_f32_e64 v10, v10, -v15
	v_mul_f32_e32 v17, v15, v17
	v_mul_f32_e64 v9, v9, -v15
	v_mul_f32_e32 v15, v15, v18
	v_fma_f32 v14, -v12, v16, v14
	v_fma_f32 v13, -v19, v22, v13
	v_fma_f32 v8, -v9, v16, v8
	v_mul_f32_e64 v16, v17, -v16
	v_fma_f32 v11, -v10, v19, v11
	v_mul_f32_e64 v18, v15, -v19
	ds_write2_b32 v25, v14, v12 offset1:4
	ds_write2_b32 v24, v22, v13 offset0:3 offset1:7
	ds_write2_b32 v20, v8, v9 offset1:4
	ds_write2_b32 v7, v16, v17 offset1:4
	ds_write2_b32 v21, v10, v11 offset0:3 offset1:7
	ds_write2_b32 v26, v15, v18 offset0:3 offset1:7
.LBB15_6:
	s_or_b64 exec, exec, s[6:7]
	v_cmp_gt_u32_e64 s[6:7], 32, v0
	v_lshlrev_b32_e32 v8, 6, v0
	s_waitcnt lgkmcnt(0)
	s_barrier
	s_and_saveexec_b64 s[8:9], s[6:7]
	s_cbranch_execz .LBB15_8
; %bb.7:
	v_add_u32_e32 v21, 0x1000, v8
	v_add_u32_e32 v22, 0x800, v8
	ds_read2_b32 v[9:10], v21 offset1:8
	ds_read2_b32 v[11:12], v22 offset0:7 offset1:15
	v_add_u32_e32 v25, 0x2800, v8
	v_add_u32_e32 v27, 0x1800, v8
	v_add_u32_e32 v26, 0x2000, v8
	s_waitcnt lgkmcnt(0)
	v_fma_f32 v23, -v10, v11, 1.0
	v_div_scale_f32 v13, s[10:11], v23, v23, 1.0
	v_div_scale_f32 v14, vcc, 1.0, v23, 1.0
	v_rcp_f32_e32 v15, v13
	v_fma_f32 v16, -v13, v15, 1.0
	v_fmac_f32_e32 v15, v16, v15
	v_mul_f32_e32 v16, v14, v15
	v_fma_f32 v17, -v13, v16, v14
	v_fmac_f32_e32 v16, v17, v15
	v_fma_f32 v13, -v13, v16, v14
	v_div_fmas_f32 v24, v13, v15, v16
	ds_read2_b32 v[13:14], v25 offset0:7 offset1:15
	ds_read2_b32 v[15:16], v26 offset1:8
	ds_read2_b32 v[17:18], v8 offset1:8
	ds_read2_b32 v[19:20], v27 offset0:7 offset1:15
	s_waitcnt lgkmcnt(2)
	v_fma_f32 v28, -v11, v16, v13
	v_fma_f32 v13, -v10, v13, v16
	s_waitcnt lgkmcnt(1)
	v_mul_f32_e32 v11, v11, v18
	s_waitcnt lgkmcnt(0)
	v_mul_f32_e32 v10, v10, v19
	v_div_fixup_f32 v16, v24, v23, 1.0
	v_mul_f32_e32 v13, v13, v16
	v_mul_f32_e32 v23, v16, v28
	v_mul_f32_e64 v11, v11, -v16
	v_mul_f32_e32 v18, v16, v18
	v_mul_f32_e64 v10, v10, -v16
	v_mul_f32_e32 v16, v16, v19
	v_fma_f32 v15, -v13, v17, v15
	v_fma_f32 v14, -v20, v23, v14
	v_fma_f32 v9, -v10, v17, v9
	v_mul_f32_e64 v17, v18, -v17
	v_fma_f32 v12, -v11, v20, v12
	v_mul_f32_e64 v19, v16, -v20
	ds_write2_b32 v26, v15, v13 offset1:8
	ds_write2_b32 v25, v23, v14 offset0:7 offset1:15
	ds_write2_b32 v21, v9, v10 offset1:8
	ds_write2_b32 v8, v17, v18 offset1:8
	ds_write2_b32 v22, v11, v12 offset0:7 offset1:15
	ds_write2_b32 v27, v16, v19 offset0:7 offset1:15
.LBB15_8:
	;; [unrolled: 58-line block ×4, first 2 shown]
	s_or_b64 exec, exec, s[12:13]
	v_cmp_gt_u32_e64 s[12:13], 4, v0
	v_lshlrev_b32_e32 v11, 9, v0
	s_waitcnt lgkmcnt(0)
	s_barrier
	s_and_saveexec_b64 s[14:15], s[12:13]
	s_cbranch_execz .LBB15_14
; %bb.13:
	v_add_u32_e32 v24, 0xfc, v11
	ds_read2st64_b32 v[12:13], v24 offset0:8 offset1:9
	ds_read2st64_b32 v[14:15], v11 offset0:16 offset1:17
	ds_read2st64_b32 v[16:17], v11 offset0:32 offset1:33
	ds_read2st64_b32 v[18:19], v11 offset1:1
	ds_read2st64_b32 v[20:21], v24 offset0:24 offset1:25
	s_waitcnt lgkmcnt(3)
	v_fma_f32 v25, -v15, v12, 1.0
	v_div_scale_f32 v22, s[16:17], v25, v25, 1.0
	v_div_scale_f32 v23, vcc, 1.0, v25, 1.0
	v_rcp_f32_e32 v26, v22
	v_fma_f32 v27, -v22, v26, 1.0
	v_fmac_f32_e32 v26, v27, v26
	v_mul_f32_e32 v27, v23, v26
	v_fma_f32 v28, -v22, v27, v23
	v_fmac_f32_e32 v27, v28, v26
	v_fma_f32 v22, -v22, v27, v23
	v_div_fmas_f32 v26, v22, v26, v27
	ds_read2st64_b32 v[22:23], v24 offset0:40 offset1:41
	s_waitcnt lgkmcnt(0)
	v_fma_f32 v27, -v12, v17, v22
	v_fma_f32 v17, -v15, v22, v17
	v_mul_f32_e32 v12, v12, v19
	v_mul_f32_e32 v15, v15, v20
	v_div_fixup_f32 v22, v26, v25, 1.0
	v_mul_f32_e32 v17, v17, v22
	v_mul_f32_e32 v25, v22, v27
	v_mul_f32_e64 v12, v12, -v22
	v_mul_f32_e32 v19, v22, v19
	v_mul_f32_e64 v15, v15, -v22
	v_mul_f32_e32 v20, v22, v20
	v_fma_f32 v16, -v17, v18, v16
	v_fma_f32 v22, -v21, v25, v23
	;; [unrolled: 1-line block ×3, first 2 shown]
	v_mul_f32_e64 v18, v19, -v18
	v_fma_f32 v13, -v12, v21, v13
	v_mul_f32_e64 v21, v20, -v21
	ds_write2st64_b32 v11, v16, v17 offset0:32 offset1:33
	ds_write2st64_b32 v24, v25, v22 offset0:40 offset1:41
	;; [unrolled: 1-line block ×3, first 2 shown]
	ds_write2st64_b32 v11, v18, v19 offset1:1
	ds_write2st64_b32 v24, v12, v13 offset0:8 offset1:9
	ds_write2st64_b32 v24, v20, v21 offset0:24 offset1:25
.LBB15_14:
	s_or_b64 exec, exec, s[14:15]
	v_cmp_gt_u32_e64 s[14:15], 2, v0
	v_lshlrev_b32_e32 v12, 10, v0
	s_waitcnt lgkmcnt(0)
	s_barrier
	s_and_saveexec_b64 s[16:17], s[14:15]
	s_cbranch_execz .LBB15_16
; %bb.15:
	v_add_u32_e32 v25, 0xfc, v12
	ds_read2st64_b32 v[13:14], v12 offset0:16 offset1:18
	ds_read2st64_b32 v[15:16], v25 offset0:9 offset1:11
	s_waitcnt lgkmcnt(0)
	v_fma_f32 v26, -v14, v15, 1.0
	v_div_scale_f32 v17, s[18:19], v26, v26, 1.0
	v_div_scale_f32 v18, vcc, 1.0, v26, 1.0
	v_rcp_f32_e32 v19, v17
	v_fma_f32 v20, -v17, v19, 1.0
	v_fmac_f32_e32 v19, v20, v19
	v_mul_f32_e32 v20, v18, v19
	v_fma_f32 v21, -v17, v20, v18
	v_fmac_f32_e32 v20, v21, v19
	v_fma_f32 v17, -v17, v20, v18
	v_div_fmas_f32 v27, v17, v19, v20
	ds_read2st64_b32 v[17:18], v12 offset0:32 offset1:34
	ds_read2st64_b32 v[19:20], v25 offset0:41 offset1:43
	ds_read2st64_b32 v[21:22], v12 offset1:2
	ds_read2st64_b32 v[23:24], v25 offset0:25 offset1:27
	s_waitcnt lgkmcnt(2)
	v_fma_f32 v28, -v15, v18, v19
	v_fma_f32 v18, -v14, v19, v18
	s_waitcnt lgkmcnt(1)
	v_mul_f32_e32 v15, v15, v22
	s_waitcnt lgkmcnt(0)
	v_mul_f32_e32 v14, v14, v23
	v_div_fixup_f32 v19, v27, v26, 1.0
	v_mul_f32_e32 v18, v18, v19
	v_mul_f32_e32 v26, v19, v28
	v_mul_f32_e64 v15, v15, -v19
	v_mul_f32_e32 v22, v19, v22
	v_mul_f32_e64 v14, v14, -v19
	v_mul_f32_e32 v19, v19, v23
	v_fma_f32 v17, -v18, v21, v17
	v_fma_f32 v20, -v24, v26, v20
	;; [unrolled: 1-line block ×3, first 2 shown]
	v_mul_f32_e64 v21, v22, -v21
	v_fma_f32 v16, -v15, v24, v16
	v_mul_f32_e64 v23, v19, -v24
	ds_write2st64_b32 v12, v17, v18 offset0:32 offset1:34
	ds_write2st64_b32 v25, v26, v20 offset0:41 offset1:43
	;; [unrolled: 1-line block ×3, first 2 shown]
	ds_write2st64_b32 v12, v21, v22 offset1:2
	ds_write2st64_b32 v25, v15, v16 offset0:9 offset1:11
	ds_write2st64_b32 v25, v19, v23 offset0:25 offset1:27
.LBB15_16:
	s_or_b64 exec, exec, s[16:17]
	v_cmp_eq_u32_e32 vcc, 0, v0
	s_waitcnt lgkmcnt(0)
	s_barrier
	s_and_saveexec_b64 s[16:17], vcc
	s_cbranch_execz .LBB15_18
; %bb.17:
	v_mov_b32_e32 v21, 0
	v_mov_b32_e32 v22, 0x1ffc
	ds_read_b32 v23, v21 offset:5120
	ds_read_b32 v24, v21 offset:7164
	;; [unrolled: 1-line block ×3, first 2 shown]
	ds_read2_b32 v[13:14], v22 offset1:1
	ds_read_b32 v26, v21 offset:3068
	v_mov_b32_e32 v30, 0xffc
	s_waitcnt lgkmcnt(3)
	v_mul_f32_e32 v32, v23, v24
	s_waitcnt lgkmcnt(0)
	v_fma_f32 v27, -v23, v26, 1.0
	v_div_scale_f32 v15, s[18:19], v27, v27, 1.0
	v_div_scale_f32 v16, vcc, 1.0, v27, 1.0
	s_movk_i32 s18, 0xfc
	v_add_u32_e64 v29, s18, 0
	v_rcp_f32_e32 v17, v15
	v_fma_f32 v18, -v15, v17, 1.0
	v_fmac_f32_e32 v17, v18, v17
	v_mul_f32_e32 v18, v16, v17
	v_fma_f32 v19, -v15, v18, v16
	v_fmac_f32_e32 v18, v19, v17
	v_fma_f32 v15, -v15, v18, v16
	v_div_fmas_f32 v28, v15, v17, v18
	ds_read2st64_b32 v[15:16], v21 offset1:4
	ds_read2st64_b32 v[17:18], v29 offset0:43 offset1:47
	ds_read2_b32 v[19:20], v30 offset1:1
	s_waitcnt lgkmcnt(2)
	v_mul_f32_e32 v31, v26, v16
	s_waitcnt lgkmcnt(1)
	v_fma_f32 v26, -v26, v25, v17
	v_fma_f32 v17, -v23, v17, v25
	v_div_fixup_f32 v23, v28, v27, 1.0
	v_mul_f32_e32 v25, v23, v26
	v_mul_f32_e32 v17, v17, v23
	v_mul_f32_e64 v26, v31, -v23
	v_mul_f32_e32 v16, v23, v16
	v_mul_f32_e64 v27, v32, -v23
	v_mul_f32_e32 v23, v23, v24
	ds_write_b32 v21, v17 offset:9216
	v_fma_f32 v14, -v17, v15, v14
	v_fma_f32 v17, -v13, v25, v18
	ds_write_b32 v21, v26 offset:3068
	ds_write_b32 v21, v27 offset:5120
	ds_write_b32 v21, v23 offset:7164
	s_waitcnt lgkmcnt(4)
	v_fma_f32 v18, -v27, v15, v20
	v_mul_f32_e64 v15, v16, -v15
	v_fma_f32 v19, -v26, v13, v19
	v_mul_f32_e64 v13, v23, -v13
	ds_write2st64_b32 v29, v25, v17 offset0:43 offset1:47
	ds_write2st64_b32 v21, v15, v16 offset1:4
	ds_write2_b32 v30, v19, v18 offset1:1
	ds_write2_b32 v22, v13, v14 offset1:1
.LBB15_18:
	s_or_b64 exec, exec, s[16:17]
	s_waitcnt lgkmcnt(0)
	s_barrier
	s_and_saveexec_b64 s[16:17], s[14:15]
	s_cbranch_execz .LBB15_20
; %bb.19:
	v_max_u32_e32 v13, 1, v10
	v_min_u32_e32 v14, 0xff, v10
	v_lshlrev_b32_e32 v13, 2, v13
	v_lshlrev_b32_e32 v14, 2, v14
	ds_read_b32 v15, v12 offset:10748
	ds_read_b32 v16, v12 offset:6652
	ds_read_b32 v17, v13 offset:10236
	ds_read_b32 v18, v12 offset:2556
	ds_read_b32 v19, v14 offset:9216
	s_waitcnt lgkmcnt(2)
	v_fma_f32 v15, -v16, v17, v15
	s_waitcnt lgkmcnt(0)
	v_fma_f32 v15, -v18, v19, v15
	ds_write_b32 v12, v15 offset:10748
	ds_read_b32 v15, v12 offset:8704
	ds_read_b32 v16, v12 offset:4608
	ds_read_b32 v13, v13 offset:10236
	ds_read_b32 v17, v12 offset:512
	s_waitcnt lgkmcnt(1)
	v_fma_f32 v13, -v16, v13, v15
	ds_write_b32 v12, v13 offset:8704
	ds_read_b32 v14, v14 offset:9216
	s_waitcnt lgkmcnt(0)
	v_fma_f32 v13, -v17, v14, v13
	ds_write_b32 v12, v13 offset:8704
.LBB15_20:
	s_or_b64 exec, exec, s[16:17]
	s_waitcnt lgkmcnt(0)
	s_barrier
	s_and_saveexec_b64 s[14:15], s[12:13]
	s_cbranch_execz .LBB15_22
; %bb.21:
	v_max_u32_e32 v12, 1, v9
	v_min_u32_e32 v13, 0x17f, v9
	v_lshlrev_b32_e32 v12, 2, v12
	v_lshlrev_b32_e32 v13, 2, v13
	ds_read_b32 v14, v11 offset:10492
	ds_read_b32 v15, v11 offset:6396
	ds_read_b32 v16, v12 offset:10236
	ds_read_b32 v17, v11 offset:2300
	ds_read_b32 v18, v13 offset:8704
	s_waitcnt lgkmcnt(2)
	v_fma_f32 v14, -v15, v16, v14
	s_waitcnt lgkmcnt(0)
	v_fma_f32 v14, -v17, v18, v14
	ds_write_b32 v11, v14 offset:10492
	ds_read_b32 v14, v11 offset:8448
	ds_read_b32 v15, v11 offset:4352
	ds_read_b32 v12, v12 offset:10236
	ds_read_b32 v16, v11 offset:256
	s_waitcnt lgkmcnt(1)
	v_fma_f32 v12, -v15, v12, v14
	ds_write_b32 v11, v12 offset:8448
	ds_read_b32 v13, v13 offset:8704
	s_waitcnt lgkmcnt(0)
	v_fma_f32 v12, -v16, v13, v12
	ds_write_b32 v11, v12 offset:8448
.LBB15_22:
	;; [unrolled: 32-line block ×4, first 2 shown]
	s_or_b64 exec, exec, s[10:11]
	v_lshlrev_b32_e32 v9, 4, v0
	s_waitcnt lgkmcnt(0)
	s_barrier
	s_and_saveexec_b64 s[8:9], s[6:7]
	s_cbranch_execz .LBB15_28
; %bb.27:
	v_max_u32_e32 v10, 1, v9
	v_min_u32_e32 v11, 0x1ef, v9
	v_lshlrev_b32_e32 v10, 2, v10
	v_lshlrev_b32_e32 v11, 2, v11
	ds_read_b32 v12, v8 offset:10268
	ds_read_b32 v13, v8 offset:6172
	;; [unrolled: 1-line block ×5, first 2 shown]
	s_waitcnt lgkmcnt(2)
	v_fma_f32 v12, -v13, v14, v12
	s_waitcnt lgkmcnt(0)
	v_fma_f32 v12, -v15, v16, v12
	ds_write_b32 v8, v12 offset:10268
	ds_read_b32 v12, v8 offset:8224
	ds_read_b32 v13, v8 offset:4128
	;; [unrolled: 1-line block ×4, first 2 shown]
	s_waitcnt lgkmcnt(1)
	v_fma_f32 v10, -v13, v10, v12
	ds_write_b32 v8, v10 offset:8224
	ds_read_b32 v11, v11 offset:8256
	s_waitcnt lgkmcnt(0)
	v_fma_f32 v10, -v14, v11, v10
	ds_write_b32 v8, v10 offset:8224
.LBB15_28:
	s_or_b64 exec, exec, s[8:9]
	v_lshlrev_b32_e32 v8, 3, v0
	s_waitcnt lgkmcnt(0)
	s_barrier
	s_and_saveexec_b64 s[6:7], s[4:5]
	s_cbranch_execz .LBB15_30
; %bb.29:
	v_max_u32_e32 v10, 1, v8
	v_min_u32_e32 v11, 0x1f7, v8
	v_lshlrev_b32_e32 v10, 2, v10
	v_lshlrev_b32_e32 v11, 2, v11
	ds_read_b32 v12, v7 offset:10252
	ds_read_b32 v13, v7 offset:6156
	;; [unrolled: 1-line block ×5, first 2 shown]
	s_waitcnt lgkmcnt(2)
	v_fma_f32 v12, -v13, v14, v12
	s_waitcnt lgkmcnt(0)
	v_fma_f32 v12, -v15, v16, v12
	ds_write_b32 v7, v12 offset:10252
	ds_read_b32 v12, v7 offset:8208
	ds_read_b32 v13, v7 offset:4112
	;; [unrolled: 1-line block ×4, first 2 shown]
	s_waitcnt lgkmcnt(1)
	v_fma_f32 v10, -v13, v10, v12
	ds_write_b32 v7, v10 offset:8208
	ds_read_b32 v11, v11 offset:8224
	s_waitcnt lgkmcnt(0)
	v_fma_f32 v10, -v14, v11, v10
	ds_write_b32 v7, v10 offset:8208
.LBB15_30:
	s_or_b64 exec, exec, s[6:7]
	s_waitcnt lgkmcnt(0)
	s_barrier
	s_and_saveexec_b64 s[4:5], s[2:3]
	s_cbranch_execz .LBB15_32
; %bb.31:
	v_max_u32_e32 v7, 1, v6
	v_min_u32_e32 v6, 0x1fb, v6
	v_lshlrev_b32_e32 v7, 2, v7
	v_lshlrev_b32_e32 v6, 2, v6
	ds_read_b32 v10, v9 offset:10244
	ds_read_b32 v11, v9 offset:6148
	;; [unrolled: 1-line block ×5, first 2 shown]
	s_waitcnt lgkmcnt(2)
	v_fma_f32 v10, -v11, v12, v10
	s_waitcnt lgkmcnt(0)
	v_fma_f32 v10, -v13, v14, v10
	ds_write_b32 v9, v10 offset:10244
	ds_read_b32 v10, v9 offset:8200
	ds_read_b32 v11, v9 offset:4104
	;; [unrolled: 1-line block ×4, first 2 shown]
	s_waitcnt lgkmcnt(1)
	v_fma_f32 v7, -v11, v7, v10
	ds_write_b32 v9, v7 offset:8200
	ds_read_b32 v6, v6 offset:8208
	s_waitcnt lgkmcnt(0)
	v_fma_f32 v6, -v12, v6, v7
	ds_write_b32 v9, v6 offset:8200
.LBB15_32:
	s_or_b64 exec, exec, s[4:5]
	s_waitcnt lgkmcnt(0)
	s_barrier
	s_and_saveexec_b64 s[2:3], s[0:1]
	s_cbranch_execz .LBB15_34
; %bb.33:
	v_lshlrev_b32_e32 v0, 1, v0
	v_max_u32_e32 v6, 1, v0
	v_min_u32_e32 v0, 0x1fd, v0
	v_lshlrev_b32_e32 v6, 2, v6
	v_lshlrev_b32_e32 v0, 2, v0
	ds_read_b32 v7, v8 offset:10240
	ds_read_b32 v9, v8 offset:6144
	;; [unrolled: 1-line block ×5, first 2 shown]
	s_waitcnt lgkmcnt(2)
	v_fma_f32 v7, -v9, v10, v7
	s_waitcnt lgkmcnt(0)
	v_fma_f32 v7, -v11, v12, v7
	ds_write_b32 v8, v7 offset:10240
	ds_read_b32 v7, v8 offset:8196
	ds_read_b32 v9, v8 offset:4100
	;; [unrolled: 1-line block ×4, first 2 shown]
	s_waitcnt lgkmcnt(1)
	v_fma_f32 v6, -v9, v6, v7
	ds_write_b32 v8, v6 offset:8196
	ds_read_b32 v0, v0 offset:8200
	s_waitcnt lgkmcnt(0)
	v_fma_f32 v0, -v10, v0, v6
	ds_write_b32 v8, v0 offset:8196
.LBB15_34:
	s_or_b64 exec, exec, s[2:3]
	s_waitcnt lgkmcnt(0)
	s_barrier
	ds_read2st64_b32 v[5:6], v5 offset1:8
	s_waitcnt lgkmcnt(0)
	global_store_dword v[1:2], v5, off
	global_store_dword v[3:4], v6, off
	s_endpgm
	.section	.rodata,"a",@progbits
	.p2align	6, 0x0
	.amdhsa_kernel _ZN9rocsparseL34gtsv_solve_spike_grid_level_kernelILj512EfEEviiiPT0_PKS1_S4_
		.amdhsa_group_segment_fixed_size 12288
		.amdhsa_private_segment_fixed_size 0
		.amdhsa_kernarg_size 40
		.amdhsa_user_sgpr_count 6
		.amdhsa_user_sgpr_private_segment_buffer 1
		.amdhsa_user_sgpr_dispatch_ptr 0
		.amdhsa_user_sgpr_queue_ptr 0
		.amdhsa_user_sgpr_kernarg_segment_ptr 1
		.amdhsa_user_sgpr_dispatch_id 0
		.amdhsa_user_sgpr_flat_scratch_init 0
		.amdhsa_user_sgpr_private_segment_size 0
		.amdhsa_uses_dynamic_stack 0
		.amdhsa_system_sgpr_private_segment_wavefront_offset 0
		.amdhsa_system_sgpr_workgroup_id_x 1
		.amdhsa_system_sgpr_workgroup_id_y 1
		.amdhsa_system_sgpr_workgroup_id_z 0
		.amdhsa_system_sgpr_workgroup_info 0
		.amdhsa_system_vgpr_workitem_id 0
		.amdhsa_next_free_vgpr 33
		.amdhsa_next_free_sgpr 20
		.amdhsa_reserve_vcc 1
		.amdhsa_reserve_flat_scratch 0
		.amdhsa_float_round_mode_32 0
		.amdhsa_float_round_mode_16_64 0
		.amdhsa_float_denorm_mode_32 3
		.amdhsa_float_denorm_mode_16_64 3
		.amdhsa_dx10_clamp 1
		.amdhsa_ieee_mode 1
		.amdhsa_fp16_overflow 0
		.amdhsa_exception_fp_ieee_invalid_op 0
		.amdhsa_exception_fp_denorm_src 0
		.amdhsa_exception_fp_ieee_div_zero 0
		.amdhsa_exception_fp_ieee_overflow 0
		.amdhsa_exception_fp_ieee_underflow 0
		.amdhsa_exception_fp_ieee_inexact 0
		.amdhsa_exception_int_div_zero 0
	.end_amdhsa_kernel
	.section	.text._ZN9rocsparseL34gtsv_solve_spike_grid_level_kernelILj512EfEEviiiPT0_PKS1_S4_,"axG",@progbits,_ZN9rocsparseL34gtsv_solve_spike_grid_level_kernelILj512EfEEviiiPT0_PKS1_S4_,comdat
.Lfunc_end15:
	.size	_ZN9rocsparseL34gtsv_solve_spike_grid_level_kernelILj512EfEEviiiPT0_PKS1_S4_, .Lfunc_end15-_ZN9rocsparseL34gtsv_solve_spike_grid_level_kernelILj512EfEEviiiPT0_PKS1_S4_
                                        ; -- End function
	.set _ZN9rocsparseL34gtsv_solve_spike_grid_level_kernelILj512EfEEviiiPT0_PKS1_S4_.num_vgpr, 33
	.set _ZN9rocsparseL34gtsv_solve_spike_grid_level_kernelILj512EfEEviiiPT0_PKS1_S4_.num_agpr, 0
	.set _ZN9rocsparseL34gtsv_solve_spike_grid_level_kernelILj512EfEEviiiPT0_PKS1_S4_.numbered_sgpr, 20
	.set _ZN9rocsparseL34gtsv_solve_spike_grid_level_kernelILj512EfEEviiiPT0_PKS1_S4_.num_named_barrier, 0
	.set _ZN9rocsparseL34gtsv_solve_spike_grid_level_kernelILj512EfEEviiiPT0_PKS1_S4_.private_seg_size, 0
	.set _ZN9rocsparseL34gtsv_solve_spike_grid_level_kernelILj512EfEEviiiPT0_PKS1_S4_.uses_vcc, 1
	.set _ZN9rocsparseL34gtsv_solve_spike_grid_level_kernelILj512EfEEviiiPT0_PKS1_S4_.uses_flat_scratch, 0
	.set _ZN9rocsparseL34gtsv_solve_spike_grid_level_kernelILj512EfEEviiiPT0_PKS1_S4_.has_dyn_sized_stack, 0
	.set _ZN9rocsparseL34gtsv_solve_spike_grid_level_kernelILj512EfEEviiiPT0_PKS1_S4_.has_recursion, 0
	.set _ZN9rocsparseL34gtsv_solve_spike_grid_level_kernelILj512EfEEviiiPT0_PKS1_S4_.has_indirect_call, 0
	.section	.AMDGPU.csdata,"",@progbits
; Kernel info:
; codeLenInByte = 4952
; TotalNumSgprs: 24
; NumVgprs: 33
; ScratchSize: 0
; MemoryBound: 0
; FloatMode: 240
; IeeeMode: 1
; LDSByteSize: 12288 bytes/workgroup (compile time only)
; SGPRBlocks: 2
; VGPRBlocks: 8
; NumSGPRsForWavesPerEU: 24
; NumVGPRsForWavesPerEU: 33
; Occupancy: 7
; WaveLimiterHint : 1
; COMPUTE_PGM_RSRC2:SCRATCH_EN: 0
; COMPUTE_PGM_RSRC2:USER_SGPR: 6
; COMPUTE_PGM_RSRC2:TRAP_HANDLER: 0
; COMPUTE_PGM_RSRC2:TGID_X_EN: 1
; COMPUTE_PGM_RSRC2:TGID_Y_EN: 1
; COMPUTE_PGM_RSRC2:TGID_Z_EN: 0
; COMPUTE_PGM_RSRC2:TIDIG_COMP_CNT: 0
	.section	.text._ZN9rocsparseL33gtsv_solve_spike_propagate_kernelILj256ELj2EfEEviiiPT1_PKS1_S4_S4_,"axG",@progbits,_ZN9rocsparseL33gtsv_solve_spike_propagate_kernelILj256ELj2EfEEviiiPT1_PKS1_S4_S4_,comdat
	.globl	_ZN9rocsparseL33gtsv_solve_spike_propagate_kernelILj256ELj2EfEEviiiPT1_PKS1_S4_S4_ ; -- Begin function _ZN9rocsparseL33gtsv_solve_spike_propagate_kernelILj256ELj2EfEEviiiPT1_PKS1_S4_S4_
	.p2align	8
	.type	_ZN9rocsparseL33gtsv_solve_spike_propagate_kernelILj256ELj2EfEEviiiPT1_PKS1_S4_S4_,@function
_ZN9rocsparseL33gtsv_solve_spike_propagate_kernelILj256ELj2EfEEviiiPT1_PKS1_S4_S4_: ; @_ZN9rocsparseL33gtsv_solve_spike_propagate_kernelILj256ELj2EfEEviiiPT1_PKS1_S4_S4_
; %bb.0:
	s_load_dword s10, s[4:5], 0x0
	v_lshl_or_b32 v1, s6, 8, v0
	v_mov_b32_e32 v4, 0
	v_ashrrev_i32_e32 v2, 31, v1
	v_mov_b32_e32 v6, 0
	s_waitcnt lgkmcnt(0)
	s_lshr_b32 s12, s10, 1
	v_cmp_le_i32_e64 s[0:1], s12, v1
	v_cmp_gt_i32_e32 vcc, s12, v1
	v_add_u32_e32 v3, s12, v1
	s_and_saveexec_b64 s[8:9], vcc
	s_cbranch_execz .LBB16_2
; %bb.1:
	s_load_dwordx2 s[14:15], s[4:5], 0x18
	v_lshlrev_b64 v[4:5], 2, v[1:2]
	s_waitcnt lgkmcnt(0)
	v_mov_b32_e32 v6, s15
	v_add_co_u32_e64 v7, s[2:3], s14, v4
	v_mov_b32_e32 v4, 0
	v_addc_co_u32_e64 v8, s[2:3], v6, v5, s[2:3]
	v_lshlrev_b64 v[4:5], 2, v[3:4]
	v_add_co_u32_e64 v9, s[2:3], s14, v4
	v_addc_co_u32_e64 v10, s[2:3], v6, v5, s[2:3]
	global_load_dword v4, v[7:8], off
	global_load_dword v6, v[9:10], off
.LBB16_2:
	s_or_b64 exec, exec, s[8:9]
	s_load_dwordx2 s[2:3], s[4:5], 0x10
	v_lshlrev_b32_e32 v5, 2, v0
	v_add_u32_e32 v7, 16, v5
	s_waitcnt vmcnt(0)
	ds_write2st64_b32 v7, v4, v6 offset0:16 offset1:20
	s_and_saveexec_b64 s[8:9], s[0:1]
	s_xor_b64 s[0:1], exec, s[8:9]
; %bb.3:
	v_mov_b32_e32 v2, 0
	ds_write2st64_b32 v7, v2, v2 offset0:8 offset1:12
                                        ; implicit-def: $vgpr3
; %bb.4:
	s_or_saveexec_b64 s[8:9], s[0:1]
	v_mov_b32_e32 v6, 0
	s_mul_i32 s10, s10, s7
	v_mov_b32_e32 v4, 0
	s_xor_b64 exec, exec, s[8:9]
	s_cbranch_execz .LBB16_6
; %bb.5:
	s_load_dwordx2 s[14:15], s[4:5], 0x20
	v_lshlrev_b64 v[7:8], 2, v[1:2]
	v_mov_b32_e32 v4, 0
	v_lshlrev_b64 v[9:10], 2, v[3:4]
	v_add_u32_e32 v3, s10, v3
	s_waitcnt lgkmcnt(0)
	v_mov_b32_e32 v2, s15
	v_add_co_u32_e64 v7, s[0:1], s14, v7
	v_addc_co_u32_e64 v8, s[0:1], v2, v8, s[0:1]
	v_add_co_u32_e64 v9, s[0:1], s14, v9
	v_addc_co_u32_e64 v10, s[0:1], v2, v10, s[0:1]
	v_lshlrev_b64 v[2:3], 2, v[3:4]
	v_mov_b32_e32 v4, s3
	v_add_co_u32_e64 v2, s[0:1], s2, v2
	v_addc_co_u32_e64 v3, s[0:1], v4, v3, s[0:1]
	global_load_dword v11, v[7:8], off
	global_load_dword v12, v[9:10], off
	;; [unrolled: 1-line block ×3, first 2 shown]
	v_add_u32_e32 v2, 16, v5
	s_waitcnt vmcnt(1)
	ds_write2st64_b32 v2, v11, v12 offset0:8 offset1:12
.LBB16_6:
	s_or_b64 exec, exec, s[8:9]
	v_add_u32_e32 v1, s10, v1
	s_waitcnt vmcnt(0)
	ds_write_b32 v5, v4 offset:4
	s_and_saveexec_b64 s[8:9], vcc
	s_cbranch_execz .LBB16_8
; %bb.7:
	v_ashrrev_i32_e32 v2, 31, v1
	v_lshlrev_b64 v[2:3], 2, v[1:2]
	s_waitcnt lgkmcnt(0)
	v_mov_b32_e32 v4, s3
	v_add_co_u32_e64 v2, s[0:1], s2, v2
	v_addc_co_u32_e64 v3, s[0:1], v4, v3, s[0:1]
	global_load_dword v6, v[2:3], off
.LBB16_8:
	s_or_b64 exec, exec, s[8:9]
	s_mov_b32 s14, 0
	v_cmp_eq_u32_e64 s[0:1], 0, v0
	s_waitcnt vmcnt(0)
	ds_write_b32 v5, v6 offset:1028
	s_waitcnt lgkmcnt(0)
	s_barrier
	s_and_saveexec_b64 s[8:9], s[0:1]
	s_cbranch_execz .LBB16_14
; %bb.9:
	s_load_dword s13, s[4:5], 0x30
	s_load_dwordx2 s[10:11], s[4:5], 0x28
	s_cmp_lt_i32 s6, 1
	s_waitcnt lgkmcnt(0)
	s_mul_i32 s7, s7, s13
	s_cbranch_scc1 .LBB16_11
; %bb.10:
	s_lshl_b32 s4, s7, 1
	s_add_i32 s5, s6, s13
	s_add_i32 s4, s5, s4
	s_add_i32 s4, s4, -1
	s_mov_b32 s5, 0
	s_lshl_b64 s[4:5], s[4:5], 2
	s_add_u32 s4, s10, s4
	s_addc_u32 s5, s11, s5
	s_load_dword s14, s[4:5], 0x0
.LBB16_11:
	s_add_i32 s4, s13, -1
	v_mov_b32_e32 v2, 0
	s_waitcnt lgkmcnt(0)
	v_mov_b32_e32 v3, s14
	s_mov_b32 s5, 0
	s_cmp_ge_u32 s6, s4
	s_mov_b32 s14, 0
	ds_write_b32 v2, v3
	s_cbranch_scc1 .LBB16_13
; %bb.12:
	s_lshl_b32 s4, s7, 1
	s_add_i32 s4, s6, s4
	s_add_i32 s14, s4, 1
	s_mov_b32 s15, 0
	s_lshl_b64 s[14:15], s[14:15], 2
	s_add_u32 s14, s10, s14
	s_addc_u32 s15, s11, s15
	s_load_dword s14, s[14:15], 0x0
.LBB16_13:
	s_lshl_b32 s4, s7, 1
	s_add_i32 s4, s4, s6
	s_lshl_b64 s[6:7], s[4:5], 2
	s_add_u32 s6, s10, s6
	s_addc_u32 s7, s11, s7
	s_add_i32 s4, s4, s13
	s_lshl_b64 s[4:5], s[4:5], 2
	s_add_u32 s4, s10, s4
	s_addc_u32 s5, s11, s5
	s_load_dword s10, s[4:5], 0x0
	s_load_dword s11, s[6:7], 0x0
	s_waitcnt lgkmcnt(0)
	v_mov_b32_e32 v3, s14
	ds_write_b32 v2, v3 offset:2052
	v_mov_b32_e32 v3, s10
	v_mov_b32_e32 v4, s11
	ds_write_b64 v2, v[3:4] offset:1024
.LBB16_14:
	s_or_b64 exec, exec, s[8:9]
	s_waitcnt lgkmcnt(0)
	s_barrier
	s_and_saveexec_b64 s[4:5], s[0:1]
	s_cbranch_execz .LBB16_16
; %bb.15:
	s_movk_i32 s0, 0xa10
	v_mov_b32_e32 v4, 0
	v_add_u32_e64 v6, s0, 0
	v_add_u32_e64 v8, 4, 0
	s_movk_i32 s0, 0x1210
	ds_read2st64_b32 v[2:3], v4 offset1:2
	ds_read2_b32 v[6:7], v6 offset1:255
	ds_read2st64_b32 v[8:9], v8 offset0:6 offset1:8
	v_add_u32_e64 v10, s0, 0
	ds_read2_b32 v[10:11], v10 offset1:255
	s_waitcnt lgkmcnt(1)
	v_fma_f32 v3, -v7, v9, v3
	s_waitcnt lgkmcnt(0)
	v_fma_f32 v3, -v11, v2, v3
	ds_write_b32 v4, v3 offset:512
	v_fma_f32 v3, -v6, v9, v8
	v_fma_f32 v2, -v10, v2, v3
	ds_write_b32 v4, v2 offset:1540
.LBB16_16:
	s_or_b64 exec, exec, s[4:5]
	v_cmp_gt_u32_e64 s[0:1], 2, v0
	s_waitcnt lgkmcnt(0)
	s_barrier
	s_and_saveexec_b64 s[4:5], s[0:1]
	s_cbranch_execz .LBB16_18
; %bb.17:
	s_movk_i32 s0, 0x1fc
	v_mad_u32_u24 v4, v0, s0, v5
	v_lshlrev_b32_e32 v10, 9, v0
	v_add_u32_e32 v6, 0x910, v10
	v_add_u32_e32 v8, 4, v4
	ds_read2st64_b32 v[2:3], v4 offset1:1
	ds_read2_b32 v[6:7], v6 offset1:255
	ds_read2st64_b32 v[8:9], v8 offset0:5 offset1:6
	v_add_u32_e32 v10, 0x1110, v10
	ds_read2_b32 v[10:11], v10 offset1:255
	s_waitcnt lgkmcnt(1)
	v_fma_f32 v3, -v7, v9, v3
	s_waitcnt lgkmcnt(0)
	v_fma_f32 v3, -v11, v2, v3
	ds_write_b32 v4, v3 offset:256
	v_fma_f32 v3, -v6, v9, v8
	v_fma_f32 v2, -v10, v2, v3
	ds_write_b32 v4, v2 offset:1284
.LBB16_18:
	s_or_b64 exec, exec, s[4:5]
	v_cmp_gt_u32_e64 s[0:1], 4, v0
	s_waitcnt lgkmcnt(0)
	s_barrier
	s_and_saveexec_b64 s[4:5], s[0:1]
	s_cbranch_execz .LBB16_20
; %bb.19:
	v_lshlrev_b32_e32 v4, 8, v0
	v_add_u32_e32 v6, 0x890, v4
	v_add_u32_e32 v8, 0x400, v4
	ds_read2_b32 v[2:3], v4 offset1:32
	ds_read2_b32 v[6:7], v6 offset1:255
	ds_read2_b32 v[8:9], v8 offset0:33 offset1:65
	v_add_u32_e32 v10, 0x1090, v4
	ds_read2_b32 v[10:11], v10 offset1:255
	s_waitcnt lgkmcnt(1)
	v_fma_f32 v3, -v7, v9, v3
	s_waitcnt lgkmcnt(0)
	v_fma_f32 v3, -v11, v2, v3
	ds_write_b32 v4, v3 offset:128
	v_fma_f32 v3, -v6, v9, v8
	v_fma_f32 v2, -v10, v2, v3
	ds_write_b32 v4, v2 offset:1156
.LBB16_20:
	s_or_b64 exec, exec, s[4:5]
	v_cmp_gt_u32_e64 s[0:1], 8, v0
	s_waitcnt lgkmcnt(0)
	s_barrier
	s_and_saveexec_b64 s[4:5], s[0:1]
	s_cbranch_execz .LBB16_22
; %bb.21:
	v_lshlrev_b32_e32 v4, 7, v0
	v_add_u32_e32 v6, 0x850, v4
	v_add_u32_e32 v8, 0x400, v4
	ds_read2_b32 v[2:3], v4 offset1:16
	ds_read2_b32 v[6:7], v6 offset1:255
	ds_read2_b32 v[8:9], v8 offset0:17 offset1:33
	v_add_u32_e32 v10, 0x1050, v4
	ds_read2_b32 v[10:11], v10 offset1:255
	s_waitcnt lgkmcnt(1)
	v_fma_f32 v3, -v7, v9, v3
	s_waitcnt lgkmcnt(0)
	v_fma_f32 v3, -v11, v2, v3
	ds_write_b32 v4, v3 offset:64
	v_fma_f32 v3, -v6, v9, v8
	v_fma_f32 v2, -v10, v2, v3
	ds_write_b32 v4, v2 offset:1092
.LBB16_22:
	;; [unrolled: 24-line block ×5, first 2 shown]
	s_or_b64 exec, exec, s[4:5]
	s_movk_i32 s0, 0x80
	v_cmp_gt_u32_e64 s[0:1], s0, v0
	s_waitcnt lgkmcnt(0)
	s_barrier
	s_and_saveexec_b64 s[4:5], s[0:1]
	s_cbranch_execz .LBB16_30
; %bb.29:
	v_lshlrev_b32_e32 v0, 3, v0
	v_add_u32_e32 v2, 0x814, v0
	ds_read2_b64 v[6:9], v0 offset1:129
	ds_read2_b32 v[2:3], v2 offset1:255
	v_add_u32_e32 v4, 0x1014, v0
	ds_read2_b32 v[10:11], v4 offset1:255
	s_waitcnt lgkmcnt(1)
	v_fma_f32 v3, -v3, v9, v7
	v_fma_f32 v2, -v2, v9, v8
	s_waitcnt lgkmcnt(0)
	v_fma_f32 v3, -v11, v6, v3
	v_fma_f32 v2, -v10, v6, v2
	ds_write_b32 v0, v3 offset:4
	ds_write_b32 v0, v2 offset:1032
.LBB16_30:
	s_or_b64 exec, exec, s[4:5]
	s_waitcnt lgkmcnt(0)
	s_barrier
	s_and_saveexec_b64 s[0:1], vcc
	s_cbranch_execz .LBB16_32
; %bb.31:
	v_ashrrev_i32_e32 v2, 31, v1
	v_add_u32_e32 v0, 4, v5
	v_lshlrev_b64 v[5:6], 2, v[1:2]
	ds_read2st64_b32 v[3:4], v0 offset1:4
	v_mov_b32_e32 v0, s3
	v_add_co_u32_e32 v5, vcc, s2, v5
	v_addc_co_u32_e32 v6, vcc, v0, v6, vcc
	v_add_u32_e32 v0, s12, v1
	v_mov_b32_e32 v1, 0
	v_lshlrev_b64 v[0:1], 2, v[0:1]
	v_mov_b32_e32 v2, s3
	v_add_co_u32_e32 v0, vcc, s2, v0
	v_addc_co_u32_e32 v1, vcc, v2, v1, vcc
	s_waitcnt lgkmcnt(0)
	global_store_dword v[5:6], v4, off
	global_store_dword v[0:1], v3, off
.LBB16_32:
	s_endpgm
	.section	.rodata,"a",@progbits
	.p2align	6, 0x0
	.amdhsa_kernel _ZN9rocsparseL33gtsv_solve_spike_propagate_kernelILj256ELj2EfEEviiiPT1_PKS1_S4_S4_
		.amdhsa_group_segment_fixed_size 6160
		.amdhsa_private_segment_fixed_size 0
		.amdhsa_kernarg_size 304
		.amdhsa_user_sgpr_count 6
		.amdhsa_user_sgpr_private_segment_buffer 1
		.amdhsa_user_sgpr_dispatch_ptr 0
		.amdhsa_user_sgpr_queue_ptr 0
		.amdhsa_user_sgpr_kernarg_segment_ptr 1
		.amdhsa_user_sgpr_dispatch_id 0
		.amdhsa_user_sgpr_flat_scratch_init 0
		.amdhsa_user_sgpr_private_segment_size 0
		.amdhsa_uses_dynamic_stack 0
		.amdhsa_system_sgpr_private_segment_wavefront_offset 0
		.amdhsa_system_sgpr_workgroup_id_x 1
		.amdhsa_system_sgpr_workgroup_id_y 1
		.amdhsa_system_sgpr_workgroup_id_z 0
		.amdhsa_system_sgpr_workgroup_info 0
		.amdhsa_system_vgpr_workitem_id 0
		.amdhsa_next_free_vgpr 13
		.amdhsa_next_free_sgpr 16
		.amdhsa_reserve_vcc 1
		.amdhsa_reserve_flat_scratch 0
		.amdhsa_float_round_mode_32 0
		.amdhsa_float_round_mode_16_64 0
		.amdhsa_float_denorm_mode_32 3
		.amdhsa_float_denorm_mode_16_64 3
		.amdhsa_dx10_clamp 1
		.amdhsa_ieee_mode 1
		.amdhsa_fp16_overflow 0
		.amdhsa_exception_fp_ieee_invalid_op 0
		.amdhsa_exception_fp_denorm_src 0
		.amdhsa_exception_fp_ieee_div_zero 0
		.amdhsa_exception_fp_ieee_overflow 0
		.amdhsa_exception_fp_ieee_underflow 0
		.amdhsa_exception_fp_ieee_inexact 0
		.amdhsa_exception_int_div_zero 0
	.end_amdhsa_kernel
	.section	.text._ZN9rocsparseL33gtsv_solve_spike_propagate_kernelILj256ELj2EfEEviiiPT1_PKS1_S4_S4_,"axG",@progbits,_ZN9rocsparseL33gtsv_solve_spike_propagate_kernelILj256ELj2EfEEviiiPT1_PKS1_S4_S4_,comdat
.Lfunc_end16:
	.size	_ZN9rocsparseL33gtsv_solve_spike_propagate_kernelILj256ELj2EfEEviiiPT1_PKS1_S4_S4_, .Lfunc_end16-_ZN9rocsparseL33gtsv_solve_spike_propagate_kernelILj256ELj2EfEEviiiPT1_PKS1_S4_S4_
                                        ; -- End function
	.set _ZN9rocsparseL33gtsv_solve_spike_propagate_kernelILj256ELj2EfEEviiiPT1_PKS1_S4_S4_.num_vgpr, 13
	.set _ZN9rocsparseL33gtsv_solve_spike_propagate_kernelILj256ELj2EfEEviiiPT1_PKS1_S4_S4_.num_agpr, 0
	.set _ZN9rocsparseL33gtsv_solve_spike_propagate_kernelILj256ELj2EfEEviiiPT1_PKS1_S4_S4_.numbered_sgpr, 16
	.set _ZN9rocsparseL33gtsv_solve_spike_propagate_kernelILj256ELj2EfEEviiiPT1_PKS1_S4_S4_.num_named_barrier, 0
	.set _ZN9rocsparseL33gtsv_solve_spike_propagate_kernelILj256ELj2EfEEviiiPT1_PKS1_S4_S4_.private_seg_size, 0
	.set _ZN9rocsparseL33gtsv_solve_spike_propagate_kernelILj256ELj2EfEEviiiPT1_PKS1_S4_S4_.uses_vcc, 1
	.set _ZN9rocsparseL33gtsv_solve_spike_propagate_kernelILj256ELj2EfEEviiiPT1_PKS1_S4_S4_.uses_flat_scratch, 0
	.set _ZN9rocsparseL33gtsv_solve_spike_propagate_kernelILj256ELj2EfEEviiiPT1_PKS1_S4_S4_.has_dyn_sized_stack, 0
	.set _ZN9rocsparseL33gtsv_solve_spike_propagate_kernelILj256ELj2EfEEviiiPT1_PKS1_S4_S4_.has_recursion, 0
	.set _ZN9rocsparseL33gtsv_solve_spike_propagate_kernelILj256ELj2EfEEviiiPT1_PKS1_S4_S4_.has_indirect_call, 0
	.section	.AMDGPU.csdata,"",@progbits
; Kernel info:
; codeLenInByte = 1964
; TotalNumSgprs: 20
; NumVgprs: 13
; ScratchSize: 0
; MemoryBound: 0
; FloatMode: 240
; IeeeMode: 1
; LDSByteSize: 6160 bytes/workgroup (compile time only)
; SGPRBlocks: 2
; VGPRBlocks: 3
; NumSGPRsForWavesPerEU: 20
; NumVGPRsForWavesPerEU: 13
; Occupancy: 10
; WaveLimiterHint : 0
; COMPUTE_PGM_RSRC2:SCRATCH_EN: 0
; COMPUTE_PGM_RSRC2:USER_SGPR: 6
; COMPUTE_PGM_RSRC2:TRAP_HANDLER: 0
; COMPUTE_PGM_RSRC2:TGID_X_EN: 1
; COMPUTE_PGM_RSRC2:TGID_Y_EN: 1
; COMPUTE_PGM_RSRC2:TGID_Z_EN: 0
; COMPUTE_PGM_RSRC2:TIDIG_COMP_CNT: 0
	.section	.text._ZN9rocsparseL39gtsv_spike_backward_substitution_kernelILj256ELj2EfEEviiiPT1_PKS1_S4_,"axG",@progbits,_ZN9rocsparseL39gtsv_spike_backward_substitution_kernelILj256ELj2EfEEviiiPT1_PKS1_S4_,comdat
	.globl	_ZN9rocsparseL39gtsv_spike_backward_substitution_kernelILj256ELj2EfEEviiiPT1_PKS1_S4_ ; -- Begin function _ZN9rocsparseL39gtsv_spike_backward_substitution_kernelILj256ELj2EfEEviiiPT1_PKS1_S4_
	.p2align	8
	.type	_ZN9rocsparseL39gtsv_spike_backward_substitution_kernelILj256ELj2EfEEviiiPT1_PKS1_S4_,@function
_ZN9rocsparseL39gtsv_spike_backward_substitution_kernelILj256ELj2EfEEviiiPT1_PKS1_S4_: ; @_ZN9rocsparseL39gtsv_spike_backward_substitution_kernelILj256ELj2EfEEviiiPT1_PKS1_S4_
; %bb.0:
	s_endpgm
	.section	.rodata,"a",@progbits
	.p2align	6, 0x0
	.amdhsa_kernel _ZN9rocsparseL39gtsv_spike_backward_substitution_kernelILj256ELj2EfEEviiiPT1_PKS1_S4_
		.amdhsa_group_segment_fixed_size 0
		.amdhsa_private_segment_fixed_size 0
		.amdhsa_kernarg_size 40
		.amdhsa_user_sgpr_count 6
		.amdhsa_user_sgpr_private_segment_buffer 1
		.amdhsa_user_sgpr_dispatch_ptr 0
		.amdhsa_user_sgpr_queue_ptr 0
		.amdhsa_user_sgpr_kernarg_segment_ptr 1
		.amdhsa_user_sgpr_dispatch_id 0
		.amdhsa_user_sgpr_flat_scratch_init 0
		.amdhsa_user_sgpr_private_segment_size 0
		.amdhsa_uses_dynamic_stack 0
		.amdhsa_system_sgpr_private_segment_wavefront_offset 0
		.amdhsa_system_sgpr_workgroup_id_x 1
		.amdhsa_system_sgpr_workgroup_id_y 0
		.amdhsa_system_sgpr_workgroup_id_z 0
		.amdhsa_system_sgpr_workgroup_info 0
		.amdhsa_system_vgpr_workitem_id 0
		.amdhsa_next_free_vgpr 1
		.amdhsa_next_free_sgpr 0
		.amdhsa_reserve_vcc 0
		.amdhsa_reserve_flat_scratch 0
		.amdhsa_float_round_mode_32 0
		.amdhsa_float_round_mode_16_64 0
		.amdhsa_float_denorm_mode_32 3
		.amdhsa_float_denorm_mode_16_64 3
		.amdhsa_dx10_clamp 1
		.amdhsa_ieee_mode 1
		.amdhsa_fp16_overflow 0
		.amdhsa_exception_fp_ieee_invalid_op 0
		.amdhsa_exception_fp_denorm_src 0
		.amdhsa_exception_fp_ieee_div_zero 0
		.amdhsa_exception_fp_ieee_overflow 0
		.amdhsa_exception_fp_ieee_underflow 0
		.amdhsa_exception_fp_ieee_inexact 0
		.amdhsa_exception_int_div_zero 0
	.end_amdhsa_kernel
	.section	.text._ZN9rocsparseL39gtsv_spike_backward_substitution_kernelILj256ELj2EfEEviiiPT1_PKS1_S4_,"axG",@progbits,_ZN9rocsparseL39gtsv_spike_backward_substitution_kernelILj256ELj2EfEEviiiPT1_PKS1_S4_,comdat
.Lfunc_end17:
	.size	_ZN9rocsparseL39gtsv_spike_backward_substitution_kernelILj256ELj2EfEEviiiPT1_PKS1_S4_, .Lfunc_end17-_ZN9rocsparseL39gtsv_spike_backward_substitution_kernelILj256ELj2EfEEviiiPT1_PKS1_S4_
                                        ; -- End function
	.set _ZN9rocsparseL39gtsv_spike_backward_substitution_kernelILj256ELj2EfEEviiiPT1_PKS1_S4_.num_vgpr, 0
	.set _ZN9rocsparseL39gtsv_spike_backward_substitution_kernelILj256ELj2EfEEviiiPT1_PKS1_S4_.num_agpr, 0
	.set _ZN9rocsparseL39gtsv_spike_backward_substitution_kernelILj256ELj2EfEEviiiPT1_PKS1_S4_.numbered_sgpr, 0
	.set _ZN9rocsparseL39gtsv_spike_backward_substitution_kernelILj256ELj2EfEEviiiPT1_PKS1_S4_.num_named_barrier, 0
	.set _ZN9rocsparseL39gtsv_spike_backward_substitution_kernelILj256ELj2EfEEviiiPT1_PKS1_S4_.private_seg_size, 0
	.set _ZN9rocsparseL39gtsv_spike_backward_substitution_kernelILj256ELj2EfEEviiiPT1_PKS1_S4_.uses_vcc, 0
	.set _ZN9rocsparseL39gtsv_spike_backward_substitution_kernelILj256ELj2EfEEviiiPT1_PKS1_S4_.uses_flat_scratch, 0
	.set _ZN9rocsparseL39gtsv_spike_backward_substitution_kernelILj256ELj2EfEEviiiPT1_PKS1_S4_.has_dyn_sized_stack, 0
	.set _ZN9rocsparseL39gtsv_spike_backward_substitution_kernelILj256ELj2EfEEviiiPT1_PKS1_S4_.has_recursion, 0
	.set _ZN9rocsparseL39gtsv_spike_backward_substitution_kernelILj256ELj2EfEEviiiPT1_PKS1_S4_.has_indirect_call, 0
	.section	.AMDGPU.csdata,"",@progbits
; Kernel info:
; codeLenInByte = 4
; TotalNumSgprs: 4
; NumVgprs: 0
; ScratchSize: 0
; MemoryBound: 0
; FloatMode: 240
; IeeeMode: 1
; LDSByteSize: 0 bytes/workgroup (compile time only)
; SGPRBlocks: 0
; VGPRBlocks: 0
; NumSGPRsForWavesPerEU: 4
; NumVGPRsForWavesPerEU: 1
; Occupancy: 10
; WaveLimiterHint : 0
; COMPUTE_PGM_RSRC2:SCRATCH_EN: 0
; COMPUTE_PGM_RSRC2:USER_SGPR: 6
; COMPUTE_PGM_RSRC2:TRAP_HANDLER: 0
; COMPUTE_PGM_RSRC2:TGID_X_EN: 1
; COMPUTE_PGM_RSRC2:TGID_Y_EN: 0
; COMPUTE_PGM_RSRC2:TGID_Z_EN: 0
; COMPUTE_PGM_RSRC2:TIDIG_COMP_CNT: 0
	.section	.text._ZN9rocsparseL32gtsv_transpose_back_array_kernelILj256ELj2EfEEviiiPKT1_PS1_,"axG",@progbits,_ZN9rocsparseL32gtsv_transpose_back_array_kernelILj256ELj2EfEEviiiPKT1_PS1_,comdat
	.globl	_ZN9rocsparseL32gtsv_transpose_back_array_kernelILj256ELj2EfEEviiiPKT1_PS1_ ; -- Begin function _ZN9rocsparseL32gtsv_transpose_back_array_kernelILj256ELj2EfEEviiiPKT1_PS1_
	.p2align	8
	.type	_ZN9rocsparseL32gtsv_transpose_back_array_kernelILj256ELj2EfEEviiiPKT1_PS1_,@function
_ZN9rocsparseL32gtsv_transpose_back_array_kernelILj256ELj2EfEEviiiPKT1_PS1_: ; @_ZN9rocsparseL32gtsv_transpose_back_array_kernelILj256ELj2EfEEviiiPKT1_PS1_
; %bb.0:
	s_load_dwordx4 s[0:3], s[4:5], 0x0
	v_lshl_or_b32 v0, s6, 8, v0
	v_lshlrev_b32_e32 v3, 1, v0
	s_waitcnt lgkmcnt(0)
	v_cvt_f32_u32_e32 v1, s1
	s_sub_i32 s3, 0, s1
	v_rcp_iflag_f32_e32 v1, v1
	v_mul_f32_e32 v1, 0x4f7ffffe, v1
	v_cvt_u32_f32_e32 v1, v1
	v_mul_lo_u32 v2, s3, v1
	v_mul_hi_u32 v2, v1, v2
	v_add_u32_e32 v1, v1, v2
	v_mul_hi_u32 v1, v3, v1
	v_mul_lo_u32 v2, v1, s1
	v_add_u32_e32 v4, 1, v1
	v_sub_u32_e32 v2, v3, v2
	v_cmp_le_u32_e32 vcc, s1, v2
	v_cndmask_b32_e32 v1, v1, v4, vcc
	v_subrev_u32_e32 v4, s1, v2
	v_cndmask_b32_e32 v2, v2, v4, vcc
	v_add_u32_e32 v4, 1, v1
	v_cmp_le_u32_e32 vcc, s1, v2
	v_cndmask_b32_e32 v1, v1, v4, vcc
	v_mul_lo_u32 v2, v1, s1
	v_sub_u32_e32 v2, v3, v2
	v_add_u32_e32 v1, v1, v2
	v_cmp_gt_i32_e32 vcc, s0, v1
	s_and_saveexec_b64 s[8:9], vcc
	s_cbranch_execz .LBB18_2
; %bb.1:
	s_load_dwordx4 s[8:11], s[4:5], 0x10
	s_mul_i32 s0, s1, s7
	v_add_u32_e32 v2, s0, v0
	v_ashrrev_i32_e32 v3, 31, v2
	v_lshlrev_b64 v[2:3], 2, v[2:3]
	s_waitcnt lgkmcnt(0)
	v_mov_b32_e32 v0, s9
	v_add_co_u32_e32 v2, vcc, s8, v2
	v_addc_co_u32_e32 v3, vcc, v0, v3, vcc
	global_load_dword v2, v[2:3], off
	s_mul_i32 s0, s2, s7
	v_add_u32_e32 v0, s0, v1
	v_ashrrev_i32_e32 v1, 31, v0
	v_lshlrev_b64 v[0:1], 2, v[0:1]
	v_mov_b32_e32 v3, s11
	v_add_co_u32_e32 v0, vcc, s10, v0
	v_addc_co_u32_e32 v1, vcc, v3, v1, vcc
	s_waitcnt vmcnt(0)
	global_store_dword v[0:1], v2, off
.LBB18_2:
	s_endpgm
	.section	.rodata,"a",@progbits
	.p2align	6, 0x0
	.amdhsa_kernel _ZN9rocsparseL32gtsv_transpose_back_array_kernelILj256ELj2EfEEviiiPKT1_PS1_
		.amdhsa_group_segment_fixed_size 0
		.amdhsa_private_segment_fixed_size 0
		.amdhsa_kernarg_size 32
		.amdhsa_user_sgpr_count 6
		.amdhsa_user_sgpr_private_segment_buffer 1
		.amdhsa_user_sgpr_dispatch_ptr 0
		.amdhsa_user_sgpr_queue_ptr 0
		.amdhsa_user_sgpr_kernarg_segment_ptr 1
		.amdhsa_user_sgpr_dispatch_id 0
		.amdhsa_user_sgpr_flat_scratch_init 0
		.amdhsa_user_sgpr_private_segment_size 0
		.amdhsa_uses_dynamic_stack 0
		.amdhsa_system_sgpr_private_segment_wavefront_offset 0
		.amdhsa_system_sgpr_workgroup_id_x 1
		.amdhsa_system_sgpr_workgroup_id_y 1
		.amdhsa_system_sgpr_workgroup_id_z 0
		.amdhsa_system_sgpr_workgroup_info 0
		.amdhsa_system_vgpr_workitem_id 0
		.amdhsa_next_free_vgpr 5
		.amdhsa_next_free_sgpr 12
		.amdhsa_reserve_vcc 1
		.amdhsa_reserve_flat_scratch 0
		.amdhsa_float_round_mode_32 0
		.amdhsa_float_round_mode_16_64 0
		.amdhsa_float_denorm_mode_32 3
		.amdhsa_float_denorm_mode_16_64 3
		.amdhsa_dx10_clamp 1
		.amdhsa_ieee_mode 1
		.amdhsa_fp16_overflow 0
		.amdhsa_exception_fp_ieee_invalid_op 0
		.amdhsa_exception_fp_denorm_src 0
		.amdhsa_exception_fp_ieee_div_zero 0
		.amdhsa_exception_fp_ieee_overflow 0
		.amdhsa_exception_fp_ieee_underflow 0
		.amdhsa_exception_fp_ieee_inexact 0
		.amdhsa_exception_int_div_zero 0
	.end_amdhsa_kernel
	.section	.text._ZN9rocsparseL32gtsv_transpose_back_array_kernelILj256ELj2EfEEviiiPKT1_PS1_,"axG",@progbits,_ZN9rocsparseL32gtsv_transpose_back_array_kernelILj256ELj2EfEEviiiPKT1_PS1_,comdat
.Lfunc_end18:
	.size	_ZN9rocsparseL32gtsv_transpose_back_array_kernelILj256ELj2EfEEviiiPKT1_PS1_, .Lfunc_end18-_ZN9rocsparseL32gtsv_transpose_back_array_kernelILj256ELj2EfEEviiiPKT1_PS1_
                                        ; -- End function
	.set _ZN9rocsparseL32gtsv_transpose_back_array_kernelILj256ELj2EfEEviiiPKT1_PS1_.num_vgpr, 5
	.set _ZN9rocsparseL32gtsv_transpose_back_array_kernelILj256ELj2EfEEviiiPKT1_PS1_.num_agpr, 0
	.set _ZN9rocsparseL32gtsv_transpose_back_array_kernelILj256ELj2EfEEviiiPKT1_PS1_.numbered_sgpr, 12
	.set _ZN9rocsparseL32gtsv_transpose_back_array_kernelILj256ELj2EfEEviiiPKT1_PS1_.num_named_barrier, 0
	.set _ZN9rocsparseL32gtsv_transpose_back_array_kernelILj256ELj2EfEEviiiPKT1_PS1_.private_seg_size, 0
	.set _ZN9rocsparseL32gtsv_transpose_back_array_kernelILj256ELj2EfEEviiiPKT1_PS1_.uses_vcc, 1
	.set _ZN9rocsparseL32gtsv_transpose_back_array_kernelILj256ELj2EfEEviiiPKT1_PS1_.uses_flat_scratch, 0
	.set _ZN9rocsparseL32gtsv_transpose_back_array_kernelILj256ELj2EfEEviiiPKT1_PS1_.has_dyn_sized_stack, 0
	.set _ZN9rocsparseL32gtsv_transpose_back_array_kernelILj256ELj2EfEEviiiPKT1_PS1_.has_recursion, 0
	.set _ZN9rocsparseL32gtsv_transpose_back_array_kernelILj256ELj2EfEEviiiPKT1_PS1_.has_indirect_call, 0
	.section	.AMDGPU.csdata,"",@progbits
; Kernel info:
; codeLenInByte = 248
; TotalNumSgprs: 16
; NumVgprs: 5
; ScratchSize: 0
; MemoryBound: 0
; FloatMode: 240
; IeeeMode: 1
; LDSByteSize: 0 bytes/workgroup (compile time only)
; SGPRBlocks: 1
; VGPRBlocks: 1
; NumSGPRsForWavesPerEU: 16
; NumVGPRsForWavesPerEU: 5
; Occupancy: 10
; WaveLimiterHint : 0
; COMPUTE_PGM_RSRC2:SCRATCH_EN: 0
; COMPUTE_PGM_RSRC2:USER_SGPR: 6
; COMPUTE_PGM_RSRC2:TRAP_HANDLER: 0
; COMPUTE_PGM_RSRC2:TGID_X_EN: 1
; COMPUTE_PGM_RSRC2:TGID_Y_EN: 1
; COMPUTE_PGM_RSRC2:TGID_Z_EN: 0
; COMPUTE_PGM_RSRC2:TIDIG_COMP_CNT: 0
	.section	.text._ZN9rocsparseL42gtsv_transpose_and_pad_array_shared_kernelILj256ELj4EfEEviiiPKT1_PS1_S1_,"axG",@progbits,_ZN9rocsparseL42gtsv_transpose_and_pad_array_shared_kernelILj256ELj4EfEEviiiPKT1_PS1_S1_,comdat
	.globl	_ZN9rocsparseL42gtsv_transpose_and_pad_array_shared_kernelILj256ELj4EfEEviiiPKT1_PS1_S1_ ; -- Begin function _ZN9rocsparseL42gtsv_transpose_and_pad_array_shared_kernelILj256ELj4EfEEviiiPKT1_PS1_S1_
	.p2align	8
	.type	_ZN9rocsparseL42gtsv_transpose_and_pad_array_shared_kernelILj256ELj4EfEEviiiPKT1_PS1_S1_,@function
_ZN9rocsparseL42gtsv_transpose_and_pad_array_shared_kernelILj256ELj4EfEEviiiPKT1_PS1_S1_: ; @_ZN9rocsparseL42gtsv_transpose_and_pad_array_shared_kernelILj256ELj4EfEEviiiPKT1_PS1_S1_
; %bb.0:
	s_load_dwordx4 s[0:3], s[4:5], 0x0
	s_waitcnt lgkmcnt(0)
	s_load_dword s3, s[4:5], 0x20
	v_lshl_or_b32 v2, s6, 8, v0
	v_cmp_gt_i32_e32 vcc, s0, v2
	s_waitcnt lgkmcnt(0)
	v_mov_b32_e32 v1, s3
	s_and_saveexec_b64 s[8:9], vcc
	s_cbranch_execz .LBB19_2
; %bb.1:
	s_load_dwordx2 s[10:11], s[4:5], 0x10
	s_mul_i32 s0, s2, s7
	v_add_u32_e32 v1, s0, v2
	v_ashrrev_i32_e32 v2, 31, v1
	v_lshlrev_b64 v[1:2], 2, v[1:2]
	s_waitcnt lgkmcnt(0)
	v_mov_b32_e32 v3, s11
	v_add_co_u32_e32 v1, vcc, s10, v1
	v_addc_co_u32_e32 v2, vcc, v3, v2, vcc
	global_load_dword v1, v[1:2], off
.LBB19_2:
	s_or_b64 exec, exec, s[8:9]
	v_lshrrev_b32_e32 v2, 6, v0
	v_and_b32_e32 v3, 63, v0
	v_lshlrev_b32_e32 v0, 2, v0
	s_waitcnt vmcnt(0)
	ds_write_b32 v0, v1
	s_lshr_b32 s0, s1, 2
	v_lshl_or_b32 v0, s6, 6, v3
	v_mad_u64_u32 v[0:1], s[2:3], s0, v2, v[0:1]
	s_waitcnt lgkmcnt(0)
	s_barrier
	v_cmp_gt_i32_e32 vcc, s1, v0
	s_and_saveexec_b64 s[2:3], vcc
	s_cbranch_execz .LBB19_4
; %bb.3:
	s_load_dwordx2 s[2:3], s[4:5], 0x18
	v_lshlrev_b32_e32 v1, 2, v2
	s_mul_i32 s0, s1, s7
	v_lshl_or_b32 v1, v3, 4, v1
	v_add_u32_e32 v0, s0, v0
	ds_read_b32 v2, v1
	v_ashrrev_i32_e32 v1, 31, v0
	v_lshlrev_b64 v[0:1], 2, v[0:1]
	s_waitcnt lgkmcnt(0)
	v_mov_b32_e32 v3, s3
	v_add_co_u32_e32 v0, vcc, s2, v0
	v_addc_co_u32_e32 v1, vcc, v3, v1, vcc
	global_store_dword v[0:1], v2, off
.LBB19_4:
	s_endpgm
	.section	.rodata,"a",@progbits
	.p2align	6, 0x0
	.amdhsa_kernel _ZN9rocsparseL42gtsv_transpose_and_pad_array_shared_kernelILj256ELj4EfEEviiiPKT1_PS1_S1_
		.amdhsa_group_segment_fixed_size 1024
		.amdhsa_private_segment_fixed_size 0
		.amdhsa_kernarg_size 36
		.amdhsa_user_sgpr_count 6
		.amdhsa_user_sgpr_private_segment_buffer 1
		.amdhsa_user_sgpr_dispatch_ptr 0
		.amdhsa_user_sgpr_queue_ptr 0
		.amdhsa_user_sgpr_kernarg_segment_ptr 1
		.amdhsa_user_sgpr_dispatch_id 0
		.amdhsa_user_sgpr_flat_scratch_init 0
		.amdhsa_user_sgpr_private_segment_size 0
		.amdhsa_uses_dynamic_stack 0
		.amdhsa_system_sgpr_private_segment_wavefront_offset 0
		.amdhsa_system_sgpr_workgroup_id_x 1
		.amdhsa_system_sgpr_workgroup_id_y 1
		.amdhsa_system_sgpr_workgroup_id_z 0
		.amdhsa_system_sgpr_workgroup_info 0
		.amdhsa_system_vgpr_workitem_id 0
		.amdhsa_next_free_vgpr 4
		.amdhsa_next_free_sgpr 12
		.amdhsa_reserve_vcc 1
		.amdhsa_reserve_flat_scratch 0
		.amdhsa_float_round_mode_32 0
		.amdhsa_float_round_mode_16_64 0
		.amdhsa_float_denorm_mode_32 3
		.amdhsa_float_denorm_mode_16_64 3
		.amdhsa_dx10_clamp 1
		.amdhsa_ieee_mode 1
		.amdhsa_fp16_overflow 0
		.amdhsa_exception_fp_ieee_invalid_op 0
		.amdhsa_exception_fp_denorm_src 0
		.amdhsa_exception_fp_ieee_div_zero 0
		.amdhsa_exception_fp_ieee_overflow 0
		.amdhsa_exception_fp_ieee_underflow 0
		.amdhsa_exception_fp_ieee_inexact 0
		.amdhsa_exception_int_div_zero 0
	.end_amdhsa_kernel
	.section	.text._ZN9rocsparseL42gtsv_transpose_and_pad_array_shared_kernelILj256ELj4EfEEviiiPKT1_PS1_S1_,"axG",@progbits,_ZN9rocsparseL42gtsv_transpose_and_pad_array_shared_kernelILj256ELj4EfEEviiiPKT1_PS1_S1_,comdat
.Lfunc_end19:
	.size	_ZN9rocsparseL42gtsv_transpose_and_pad_array_shared_kernelILj256ELj4EfEEviiiPKT1_PS1_S1_, .Lfunc_end19-_ZN9rocsparseL42gtsv_transpose_and_pad_array_shared_kernelILj256ELj4EfEEviiiPKT1_PS1_S1_
                                        ; -- End function
	.set _ZN9rocsparseL42gtsv_transpose_and_pad_array_shared_kernelILj256ELj4EfEEviiiPKT1_PS1_S1_.num_vgpr, 4
	.set _ZN9rocsparseL42gtsv_transpose_and_pad_array_shared_kernelILj256ELj4EfEEviiiPKT1_PS1_S1_.num_agpr, 0
	.set _ZN9rocsparseL42gtsv_transpose_and_pad_array_shared_kernelILj256ELj4EfEEviiiPKT1_PS1_S1_.numbered_sgpr, 12
	.set _ZN9rocsparseL42gtsv_transpose_and_pad_array_shared_kernelILj256ELj4EfEEviiiPKT1_PS1_S1_.num_named_barrier, 0
	.set _ZN9rocsparseL42gtsv_transpose_and_pad_array_shared_kernelILj256ELj4EfEEviiiPKT1_PS1_S1_.private_seg_size, 0
	.set _ZN9rocsparseL42gtsv_transpose_and_pad_array_shared_kernelILj256ELj4EfEEviiiPKT1_PS1_S1_.uses_vcc, 1
	.set _ZN9rocsparseL42gtsv_transpose_and_pad_array_shared_kernelILj256ELj4EfEEviiiPKT1_PS1_S1_.uses_flat_scratch, 0
	.set _ZN9rocsparseL42gtsv_transpose_and_pad_array_shared_kernelILj256ELj4EfEEviiiPKT1_PS1_S1_.has_dyn_sized_stack, 0
	.set _ZN9rocsparseL42gtsv_transpose_and_pad_array_shared_kernelILj256ELj4EfEEviiiPKT1_PS1_S1_.has_recursion, 0
	.set _ZN9rocsparseL42gtsv_transpose_and_pad_array_shared_kernelILj256ELj4EfEEviiiPKT1_PS1_S1_.has_indirect_call, 0
	.section	.AMDGPU.csdata,"",@progbits
; Kernel info:
; codeLenInByte = 244
; TotalNumSgprs: 16
; NumVgprs: 4
; ScratchSize: 0
; MemoryBound: 0
; FloatMode: 240
; IeeeMode: 1
; LDSByteSize: 1024 bytes/workgroup (compile time only)
; SGPRBlocks: 1
; VGPRBlocks: 0
; NumSGPRsForWavesPerEU: 16
; NumVGPRsForWavesPerEU: 4
; Occupancy: 10
; WaveLimiterHint : 0
; COMPUTE_PGM_RSRC2:SCRATCH_EN: 0
; COMPUTE_PGM_RSRC2:USER_SGPR: 6
; COMPUTE_PGM_RSRC2:TRAP_HANDLER: 0
; COMPUTE_PGM_RSRC2:TGID_X_EN: 1
; COMPUTE_PGM_RSRC2:TGID_Y_EN: 1
; COMPUTE_PGM_RSRC2:TGID_Z_EN: 0
; COMPUTE_PGM_RSRC2:TIDIG_COMP_CNT: 0
	.section	.text._ZN9rocsparseL18gtsv_LBM_wv_kernelILj256ELj4EfEEviiiPKT1_S3_S3_PS1_S4_S4_Pi,"axG",@progbits,_ZN9rocsparseL18gtsv_LBM_wv_kernelILj256ELj4EfEEviiiPKT1_S3_S3_PS1_S4_S4_Pi,comdat
	.globl	_ZN9rocsparseL18gtsv_LBM_wv_kernelILj256ELj4EfEEviiiPKT1_S3_S3_PS1_S4_S4_Pi ; -- Begin function _ZN9rocsparseL18gtsv_LBM_wv_kernelILj256ELj4EfEEviiiPKT1_S3_S3_PS1_S4_S4_Pi
	.p2align	8
	.type	_ZN9rocsparseL18gtsv_LBM_wv_kernelILj256ELj4EfEEviiiPKT1_S3_S3_PS1_S4_S4_Pi,@function
_ZN9rocsparseL18gtsv_LBM_wv_kernelILj256ELj4EfEEviiiPKT1_S3_S3_PS1_S4_S4_Pi: ; @_ZN9rocsparseL18gtsv_LBM_wv_kernelILj256ELj4EfEEviiiPKT1_S3_S3_PS1_S4_S4_Pi
; %bb.0:
	s_load_dword s27, s[4:5], 0x0
	v_lshl_or_b32 v0, s6, 8, v0
	s_waitcnt lgkmcnt(0)
	s_lshr_b32 s26, s27, 2
	v_cmp_gt_i32_e32 vcc, s26, v0
	s_and_saveexec_b64 s[0:1], vcc
	s_cbranch_execz .LBB20_30
; %bb.1:
	s_load_dwordx2 s[16:17], s[4:5], 0x10
	s_load_dwordx8 s[8:15], s[4:5], 0x20
	v_ashrrev_i32_e32 v1, 31, v0
	v_lshlrev_b64 v[4:5], 2, v[0:1]
	s_mul_i32 s28, s26, 3
	s_waitcnt lgkmcnt(0)
	v_mov_b32_e32 v2, s17
	v_add_co_u32_e32 v1, vcc, s16, v4
	v_addc_co_u32_e32 v2, vcc, v2, v5, vcc
	global_load_dword v8, v[1:2], off
	v_add_u32_e32 v2, s28, v0
	v_mov_b32_e32 v3, 0
	v_lshlrev_b64 v[6:7], 2, v[2:3]
	v_mov_b32_e32 v2, s9
	v_add_co_u32_e32 v1, vcc, s8, v6
	v_addc_co_u32_e32 v2, vcc, v2, v7, vcc
	global_load_dword v9, v[1:2], off
	s_load_dwordx2 s[6:7], s[4:5], 0x40
	v_mov_b32_e32 v2, s11
	v_add_co_u32_e32 v1, vcc, s10, v4
	v_addc_co_u32_e32 v2, vcc, v2, v5, vcc
	s_cmp_lt_i32 s27, 1
	v_add_u32_e32 v10, s26, v0
	v_mov_b32_e32 v11, s13
	v_add_co_u32_e32 v6, vcc, s12, v6
	v_addc_co_u32_e32 v7, vcc, v11, v7, vcc
	s_waitcnt vmcnt(1)
	global_store_dword v[1:2], v8, off
	s_waitcnt vmcnt(1)
	global_store_dword v[6:7], v9, off
	s_cbranch_scc1 .LBB20_23
; %bb.2:
	s_load_dwordx2 s[18:19], s[4:5], 0x18
	s_mov_b32 s22, 0x372fe950
	s_lshl_b32 s29, s26, 1
	v_add_u32_e32 v11, s26, v10
	s_mov_b64 s[20:21], 0
	s_waitcnt lgkmcnt(0)
	v_mov_b32_e32 v6, s19
	v_add_co_u32_e32 v3, vcc, s18, v4
	v_addc_co_u32_e32 v4, vcc, v6, v5, vcc
	global_load_dword v14, v[3:4], off
	v_mov_b32_e32 v3, 0
	s_mov_b32 s23, 0x3fe3c6ef
	v_mov_b32_e32 v12, 2
	v_mov_b32_e32 v13, 1
	s_branch .LBB20_5
.LBB20_3:                               ;   in Loop: Header=BB20_5 Depth=1
	s_or_b64 exec, exec, s[4:5]
	v_fma_f32 v14, -v5, v7, v16
	v_mov_b32_e32 v4, s26
.LBB20_4:                               ;   in Loop: Header=BB20_5 Depth=1
	s_or_b64 exec, exec, s[2:3]
	v_add_u32_e32 v3, v4, v3
	v_cmp_le_i32_e32 vcc, s27, v3
	s_or_b64 s[20:21], vcc, s[20:21]
	s_andn2_b64 exec, exec, s[20:21]
	s_cbranch_execz .LBB20_22
.LBB20_5:                               ; =>This Inner Loop Header: Depth=1
	v_add_u32_e32 v4, v3, v0
	v_ashrrev_i32_e32 v5, 31, v4
	v_lshlrev_b64 v[5:6], 2, v[4:5]
	v_mov_b32_e32 v4, s9
	v_add_co_u32_e32 v7, vcc, s8, v5
	v_addc_co_u32_e32 v8, vcc, v4, v6, vcc
	global_load_dword v17, v[7:8], off
	v_cmp_gt_u32_e64 s[0:1], s28, v3
	v_mov_b32_e32 v15, 0
	s_and_saveexec_b64 s[2:3], s[0:1]
	s_cbranch_execz .LBB20_7
; %bb.6:                                ;   in Loop: Header=BB20_5 Depth=1
	v_add_u32_e32 v7, v10, v3
	v_ashrrev_i32_e32 v8, 31, v7
	v_lshlrev_b64 v[7:8], 2, v[7:8]
	v_mov_b32_e32 v4, s17
	v_add_co_u32_e32 v7, vcc, s16, v7
	v_addc_co_u32_e32 v8, vcc, v4, v8, vcc
	global_load_dword v15, v[7:8], off
.LBB20_7:                               ;   in Loop: Header=BB20_5 Depth=1
	s_or_b64 exec, exec, s[2:3]
	v_mov_b32_e32 v18, 0
	v_mov_b32_e32 v16, 0
	s_and_saveexec_b64 s[2:3], s[0:1]
	s_cbranch_execz .LBB20_9
; %bb.8:                                ;   in Loop: Header=BB20_5 Depth=1
	v_add_u32_e32 v7, v10, v3
	v_ashrrev_i32_e32 v8, 31, v7
	v_lshlrev_b64 v[7:8], 2, v[7:8]
	v_mov_b32_e32 v4, s19
	v_add_co_u32_e32 v7, vcc, s18, v7
	v_addc_co_u32_e32 v8, vcc, v4, v8, vcc
	global_load_dword v16, v[7:8], off
.LBB20_9:                               ;   in Loop: Header=BB20_5 Depth=1
	s_or_b64 exec, exec, s[2:3]
	s_and_saveexec_b64 s[2:3], s[0:1]
	s_cbranch_execz .LBB20_11
; %bb.10:                               ;   in Loop: Header=BB20_5 Depth=1
	v_add_u32_e32 v7, v10, v3
	v_ashrrev_i32_e32 v8, 31, v7
	v_lshlrev_b64 v[7:8], 2, v[7:8]
	v_mov_b32_e32 v4, s9
	v_add_co_u32_e32 v7, vcc, s8, v7
	v_addc_co_u32_e32 v8, vcc, v4, v8, vcc
	global_load_dword v18, v[7:8], off
.LBB20_11:                              ;   in Loop: Header=BB20_5 Depth=1
	s_or_b64 exec, exec, s[2:3]
	v_cmp_gt_u32_e64 s[2:3], s29, v3
	v_mov_b32_e32 v19, 0
	s_and_saveexec_b64 s[4:5], s[2:3]
	s_cbranch_execz .LBB20_13
; %bb.12:                               ;   in Loop: Header=BB20_5 Depth=1
	v_add_u32_e32 v7, v11, v3
	v_ashrrev_i32_e32 v8, 31, v7
	v_lshlrev_b64 v[7:8], 2, v[7:8]
	v_mov_b32_e32 v4, s17
	v_add_co_u32_e32 v7, vcc, s16, v7
	v_addc_co_u32_e32 v8, vcc, v4, v8, vcc
	global_load_dword v19, v[7:8], off
.LBB20_13:                              ;   in Loop: Header=BB20_5 Depth=1
	s_or_b64 exec, exec, s[4:5]
	s_waitcnt vmcnt(0)
	v_cmp_gt_f32_e32 vcc, 0, v15
	v_cndmask_b32_e64 v4, v15, -v15, vcc
	v_cmp_gt_f32_e32 vcc, 0, v19
	v_cndmask_b32_e64 v7, v19, -v19, vcc
	v_cmp_lt_f32_e32 vcc, v4, v7
	v_cndmask_b32_e32 v4, v4, v7, vcc
	v_cmp_gt_f32_e32 vcc, 0, v16
	v_cndmask_b32_e64 v7, v16, -v16, vcc
	v_cmp_lt_f32_e32 vcc, v7, v4
	v_cndmask_b32_e32 v4, v7, v4, vcc
	;; [unrolled: 4-line block ×4, first 2 shown]
	v_cmp_gt_f32_e32 vcc, 0, v14
	v_cvt_f64_f32_e32 v[7:8], v4
	v_cndmask_b32_e64 v4, v14, -v14, vcc
	v_cvt_f64_f32_e32 v[20:21], v4
	v_cmp_ne_u32_e64 s[4:5], s28, v3
	v_mul_f64 v[8:9], v[20:21], v[7:8]
	v_mul_f32_e32 v7, v17, v15
	v_cmp_gt_f32_e32 vcc, 0, v7
	v_cndmask_b32_e64 v4, v7, -v7, vcc
	v_cvt_f64_f32_e32 v[20:21], v4
	v_mul_f64 v[20:21], v[20:21], s[22:23]
	v_cmp_nge_f64_e32 vcc, v[8:9], v[20:21]
	s_and_b64 s[4:5], s[4:5], vcc
	s_and_saveexec_b64 s[24:25], s[4:5]
	s_xor_b64 s[4:5], exec, s[24:25]
	s_cbranch_execz .LBB20_19
; %bb.14:                               ;   in Loop: Header=BB20_5 Depth=1
	v_mov_b32_e32 v4, s13
	v_add_co_u32_e32 v24, vcc, s12, v5
	v_addc_co_u32_e32 v25, vcc, v4, v6, vcc
	v_mov_b32_e32 v4, s15
	v_add_co_u32_e32 v8, vcc, s14, v5
	v_addc_co_u32_e32 v9, vcc, v4, v6, vcc
	v_mov_b32_e32 v4, s7
	v_add_co_u32_e32 v26, vcc, s6, v5
	v_addc_co_u32_e32 v27, vcc, v4, v6, vcc
	v_fma_f32 v4, v14, v16, -v7
	v_div_scale_f32 v5, s[24:25], v4, v4, 1.0
	v_rcp_f32_e32 v6, v5
	v_fma_f32 v7, -v5, v6, 1.0
	v_fmac_f32_e32 v6, v7, v6
	v_div_scale_f32 v7, vcc, 1.0, v4, 1.0
	v_mul_f32_e32 v20, v7, v6
	v_fma_f32 v21, -v5, v20, v7
	v_fmac_f32_e32 v20, v21, v6
	v_fma_f32 v5, -v5, v20, v7
	v_div_fmas_f32 v5, v5, v6, v20
	v_mov_b32_e32 v7, s11
	v_div_fixup_f32 v20, v5, v4, 1.0
	v_mul_f32_e64 v4, v18, -v17
	v_mul_f32_e32 v4, v20, v4
	global_store_dword v[8:9], v4, off
	v_ashrrev_i32_e32 v4, 31, v3
	v_lshlrev_b64 v[4:5], 2, v[3:4]
	v_add_co_u32_e32 v8, vcc, v1, v4
	v_add_u32_e32 v4, v10, v3
	v_addc_co_u32_e32 v9, vcc, v2, v5, vcc
	v_ashrrev_i32_e32 v5, 31, v4
	v_lshlrev_b64 v[4:5], 2, v[4:5]
	v_add_co_u32_e32 v6, vcc, s10, v4
	v_addc_co_u32_e32 v7, vcc, v7, v5, vcc
	global_load_dword v22, v[6:7], off
	global_load_dword v21, v[8:9], off
	s_waitcnt vmcnt(1)
	v_mul_f32_e32 v23, v17, v22
	s_waitcnt vmcnt(0)
	v_fma_f32 v23, v16, v21, -v23
	v_mul_f32_e32 v23, v20, v23
	global_store_dword v[8:9], v23, off
	v_mov_b32_e32 v9, s13
	v_add_co_u32_e32 v8, vcc, s12, v4
	v_addc_co_u32_e32 v9, vcc, v9, v5, vcc
	global_load_dword v23, v[8:9], off
	s_waitcnt vmcnt(0)
	v_mul_f32_e32 v28, v17, v23
	global_load_dword v17, v[24:25], off
	s_waitcnt vmcnt(0)
	v_fma_f32 v16, v16, v17, -v28
	v_mul_f32_e32 v16, v20, v16
	global_store_dword v[24:25], v16, off
	global_store_dword v[26:27], v12, off
	s_and_saveexec_b64 s[24:25], s[0:1]
	s_cbranch_execz .LBB20_16
; %bb.15:                               ;   in Loop: Header=BB20_5 Depth=1
	v_mul_f32_e32 v16, v15, v21
	v_fma_f32 v16, v14, v22, -v16
	v_mul_f32_e32 v16, v20, v16
	global_store_dword v[6:7], v16, off
	v_mul_f32_e32 v6, v15, v17
	v_fma_f32 v6, v14, v23, -v6
	v_mul_f32_e32 v6, v20, v6
	global_store_dword v[8:9], v6, off
	v_mul_f32_e32 v6, v14, v18
	v_mul_f32_e32 v8, v20, v6
	v_mov_b32_e32 v7, s15
	v_add_co_u32_e32 v6, vcc, s14, v4
	v_addc_co_u32_e32 v7, vcc, v7, v5, vcc
	global_store_dword v[6:7], v8, off
	v_mov_b32_e32 v6, s7
	v_add_co_u32_e32 v4, vcc, s6, v4
	v_addc_co_u32_e32 v5, vcc, v6, v5, vcc
	global_store_dword v[4:5], v12, off
.LBB20_16:                              ;   in Loop: Header=BB20_5 Depth=1
	s_or_b64 exec, exec, s[24:25]
	v_mov_b32_e32 v4, 0
	s_and_saveexec_b64 s[24:25], s[2:3]
	s_cbranch_execz .LBB20_18
; %bb.17:                               ;   in Loop: Header=BB20_5 Depth=1
	v_add_u32_e32 v4, v11, v3
	v_ashrrev_i32_e32 v5, 31, v4
	v_lshlrev_b64 v[4:5], 2, v[4:5]
	v_mov_b32_e32 v7, s11
	v_add_co_u32_e32 v6, vcc, s10, v4
	v_addc_co_u32_e32 v7, vcc, v7, v5, vcc
	v_mov_b32_e32 v9, s19
	v_add_co_u32_e32 v4, vcc, s18, v4
	v_addc_co_u32_e32 v5, vcc, v9, v5, vcc
	global_load_dword v8, v[6:7], off
	v_mul_f32_e32 v9, v14, v19
	global_load_dword v4, v[4:5], off
	v_mul_f32_e32 v5, v19, v15
	v_mul_f32_e32 v14, v20, v9
	;; [unrolled: 1-line block ×5, first 2 shown]
	v_fma_f32 v5, v5, v21, -v14
	s_waitcnt vmcnt(1)
	v_add_f32_e32 v5, v5, v8
	global_store_dword v[6:7], v5, off
	s_waitcnt vmcnt(1)
	v_fma_f32 v4, -v20, v9, v4
.LBB20_18:                              ;   in Loop: Header=BB20_5 Depth=1
	s_or_b64 exec, exec, s[24:25]
	v_mov_b32_e32 v14, v4
                                        ; implicit-def: $vgpr7
                                        ; implicit-def: $vgpr16
                                        ; implicit-def: $vgpr17
                                        ; implicit-def: $vgpr5_vgpr6
                                        ; implicit-def: $vgpr15
.LBB20_19:                              ;   in Loop: Header=BB20_5 Depth=1
	s_or_saveexec_b64 s[2:3], s[4:5]
	v_mov_b32_e32 v4, s29
	s_xor_b64 exec, exec, s[2:3]
	s_cbranch_execz .LBB20_4
; %bb.20:                               ;   in Loop: Header=BB20_5 Depth=1
	v_ashrrev_i32_e32 v4, 31, v3
	v_lshlrev_b64 v[8:9], 2, v[3:4]
	v_mov_b32_e32 v4, s13
	v_add_co_u32_e32 v18, vcc, s12, v5
	v_addc_co_u32_e32 v19, vcc, v4, v6, vcc
	v_add_co_u32_e32 v8, vcc, v1, v8
	global_load_dword v24, v[18:19], off
	v_addc_co_u32_e32 v9, vcc, v2, v9, vcc
	global_load_dword v4, v[8:9], off
	v_div_scale_f32 v20, s[4:5], v14, v14, 1.0
	v_div_scale_f32 v21, vcc, 1.0, v14, 1.0
	v_rcp_f32_e32 v22, v20
	v_fma_f32 v23, -v20, v22, 1.0
	v_fmac_f32_e32 v22, v23, v22
	v_mul_f32_e32 v23, v21, v22
	v_fma_f32 v25, -v20, v23, v21
	v_fmac_f32_e32 v23, v25, v22
	v_fma_f32 v20, -v20, v23, v21
	v_div_fmas_f32 v25, v20, v22, v23
	v_mov_b32_e32 v21, s15
	v_add_co_u32_e32 v20, vcc, s14, v5
	v_addc_co_u32_e32 v21, vcc, v21, v6, vcc
	v_mov_b32_e32 v23, s7
	v_add_co_u32_e32 v22, vcc, s6, v5
	v_addc_co_u32_e32 v23, vcc, v23, v6, vcc
	v_div_fixup_f32 v5, v25, v14, 1.0
	v_mul_f32_e32 v6, v5, v17
	global_store_dword v[20:21], v6, off
	s_waitcnt vmcnt(2)
	v_mul_f32_e32 v6, v5, v24
	global_store_dword v[18:19], v6, off
	s_waitcnt vmcnt(2)
	v_mul_f32_e32 v6, v5, v4
	global_store_dword v[8:9], v6, off
	global_store_dword v[22:23], v13, off
	s_and_saveexec_b64 s[4:5], s[0:1]
	s_cbranch_execz .LBB20_3
; %bb.21:                               ;   in Loop: Header=BB20_5 Depth=1
	v_add_u32_e32 v8, v10, v3
	v_ashrrev_i32_e32 v9, 31, v8
	v_lshlrev_b64 v[8:9], 2, v[8:9]
	v_mov_b32_e32 v6, s11
	v_add_co_u32_e32 v8, vcc, s10, v8
	v_addc_co_u32_e32 v9, vcc, v6, v9, vcc
	global_load_dword v6, v[8:9], off
	v_mul_f32_e32 v14, v15, v5
	s_waitcnt vmcnt(0)
	v_fma_f32 v4, -v14, v4, v6
	global_store_dword v[8:9], v4, off
	s_branch .LBB20_3
.LBB20_22:
	s_or_b64 exec, exec, s[20:21]
.LBB20_23:
	v_subrev_u32_e32 v5, s26, v3
	v_add_u32_e32 v3, v5, v0
	v_ashrrev_i32_e32 v4, 31, v3
	v_lshlrev_b64 v[3:4], 2, v[3:4]
	s_waitcnt lgkmcnt(0)
	v_mov_b32_e32 v6, s7
	v_add_co_u32_e32 v3, vcc, s6, v3
	v_addc_co_u32_e32 v4, vcc, v6, v4, vcc
	s_waitcnt vmcnt(0)
	buffer_wbinvl1_vol
	global_load_dword v3, v[3:4], off
	s_waitcnt vmcnt(0)
	v_mul_lo_u32 v3, v3, s26
	v_sub_u32_e32 v3, v5, v3
	v_cmp_lt_i32_e32 vcc, -1, v3
	s_and_b64 exec, exec, vcc
	s_cbranch_execz .LBB20_30
; %bb.24:
	v_subrev_u32_e32 v7, s26, v0
	s_lshl_b32 s4, s26, 1
	s_mov_b64 s[0:1], 0
	v_mov_b32_e32 v8, s7
	v_mov_b32_e32 v9, s15
	s_branch .LBB20_26
.LBB20_25:                              ;   in Loop: Header=BB20_26 Depth=1
	s_or_b64 exec, exec, s[2:3]
	v_sub_u32_e32 v3, v3, v4
	v_cmp_gt_i32_e32 vcc, 0, v3
	s_or_b64 s[0:1], vcc, s[0:1]
	s_andn2_b64 exec, exec, s[0:1]
	s_cbranch_execz .LBB20_30
.LBB20_26:                              ; =>This Inner Loop Header: Depth=1
	v_add_u32_e32 v4, v3, v0
	v_ashrrev_i32_e32 v5, 31, v4
	v_lshlrev_b64 v[5:6], 2, v[4:5]
	s_waitcnt vmcnt(0)
	v_add_co_u32_e32 v11, vcc, s6, v5
	v_addc_co_u32_e32 v12, vcc, v8, v6, vcc
	global_load_dword v4, v[11:12], off
	v_add_co_u32_e32 v11, vcc, s14, v5
	v_addc_co_u32_e32 v12, vcc, v9, v6, vcc
	global_load_dword v11, v[11:12], off
	s_waitcnt vmcnt(1)
	v_cmp_ne_u32_e32 vcc, 1, v4
	s_and_saveexec_b64 s[2:3], vcc
	s_xor_b64 s[2:3], exec, s[2:3]
	s_cbranch_execz .LBB20_28
; %bb.27:                               ;   in Loop: Header=BB20_26 Depth=1
	v_add_u32_e32 v12, v10, v3
	v_ashrrev_i32_e32 v13, 31, v12
	v_lshlrev_b64 v[12:13], 2, v[12:13]
	v_mov_b32_e32 v4, s11
	v_add_co_u32_e32 v14, vcc, s10, v12
	v_addc_co_u32_e32 v15, vcc, v4, v13, vcc
	v_ashrrev_i32_e32 v4, 31, v3
	v_lshlrev_b64 v[16:17], 2, v[3:4]
	v_mov_b32_e32 v4, s13
	v_add_co_u32_e32 v16, vcc, v1, v16
	v_addc_co_u32_e32 v17, vcc, v2, v17, vcc
	v_add_co_u32_e32 v12, vcc, s12, v12
	v_addc_co_u32_e32 v13, vcc, v4, v13, vcc
	global_load_dword v24, v[14:15], off
	global_load_dword v25, v[16:17], off
	v_mov_b32_e32 v18, s13
	v_add_co_u32_e32 v4, vcc, s12, v5
	v_addc_co_u32_e32 v5, vcc, v18, v6, vcc
	global_load_dword v6, v[12:13], off
	global_load_dword v26, v[4:5], off
	v_add_u32_e32 v18, v7, v3
	v_ashrrev_i32_e32 v19, 31, v18
	v_lshlrev_b64 v[18:19], 2, v[18:19]
	v_mov_b32_e32 v21, s11
	v_add_co_u32_e32 v20, vcc, s10, v18
	v_addc_co_u32_e32 v21, vcc, v21, v19, vcc
	v_mov_b32_e32 v23, s13
	v_add_co_u32_e32 v22, vcc, s12, v18
	v_addc_co_u32_e32 v23, vcc, v23, v19, vcc
	v_add_co_u32_e32 v18, vcc, s14, v18
	v_addc_co_u32_e32 v19, vcc, v9, v19, vcc
	global_load_dword v18, v[18:19], off
	s_waitcnt vmcnt(3)
	v_fma_f32 v19, -v11, v24, v25
	s_waitcnt vmcnt(1)
	v_fma_f32 v6, -v11, v6, v26
	global_store_dword v[16:17], v19, off
	global_store_dword v[4:5], v6, off
	global_load_dword v4, v[14:15], off
	s_nop 0
	global_load_dword v5, v[20:21], off
	global_load_dword v6, v[12:13], off
	;; [unrolled: 1-line block ×3, first 2 shown]
	s_waitcnt vmcnt(2)
	v_fma_f32 v4, -v18, v4, v5
	s_waitcnt vmcnt(0)
	v_fma_f32 v5, -v18, v6, v11
	global_store_dword v[20:21], v4, off
	global_store_dword v[22:23], v5, off
                                        ; implicit-def: $vgpr11
                                        ; implicit-def: $vgpr5_vgpr6
.LBB20_28:                              ;   in Loop: Header=BB20_26 Depth=1
	s_or_saveexec_b64 s[2:3], s[2:3]
	v_mov_b32_e32 v4, s4
	s_xor_b64 exec, exec, s[2:3]
	s_cbranch_execz .LBB20_25
; %bb.29:                               ;   in Loop: Header=BB20_26 Depth=1
	v_add_u32_e32 v12, v10, v3
	v_ashrrev_i32_e32 v13, 31, v12
	v_lshlrev_b64 v[12:13], 2, v[12:13]
	v_mov_b32_e32 v4, s11
	v_add_co_u32_e32 v14, vcc, s10, v12
	v_addc_co_u32_e32 v15, vcc, v4, v13, vcc
	v_ashrrev_i32_e32 v4, 31, v3
	v_lshlrev_b64 v[16:17], 2, v[3:4]
	v_mov_b32_e32 v4, s13
	v_add_co_u32_e32 v16, vcc, v1, v16
	v_addc_co_u32_e32 v17, vcc, v2, v17, vcc
	v_add_co_u32_e32 v12, vcc, s12, v12
	v_addc_co_u32_e32 v13, vcc, v4, v13, vcc
	global_load_dword v18, v[14:15], off
	global_load_dword v19, v[16:17], off
	v_mov_b32_e32 v14, s13
	v_add_co_u32_e32 v4, vcc, s12, v5
	v_addc_co_u32_e32 v5, vcc, v14, v6, vcc
	global_load_dword v6, v[12:13], off
	global_load_dword v14, v[4:5], off
	s_waitcnt vmcnt(2)
	v_fma_f32 v12, -v11, v18, v19
	s_waitcnt vmcnt(0)
	v_fma_f32 v6, -v11, v6, v14
	global_store_dword v[16:17], v12, off
	global_store_dword v[4:5], v6, off
	v_mov_b32_e32 v4, s26
	s_branch .LBB20_25
.LBB20_30:
	s_endpgm
	.section	.rodata,"a",@progbits
	.p2align	6, 0x0
	.amdhsa_kernel _ZN9rocsparseL18gtsv_LBM_wv_kernelILj256ELj4EfEEviiiPKT1_S3_S3_PS1_S4_S4_Pi
		.amdhsa_group_segment_fixed_size 0
		.amdhsa_private_segment_fixed_size 0
		.amdhsa_kernarg_size 72
		.amdhsa_user_sgpr_count 6
		.amdhsa_user_sgpr_private_segment_buffer 1
		.amdhsa_user_sgpr_dispatch_ptr 0
		.amdhsa_user_sgpr_queue_ptr 0
		.amdhsa_user_sgpr_kernarg_segment_ptr 1
		.amdhsa_user_sgpr_dispatch_id 0
		.amdhsa_user_sgpr_flat_scratch_init 0
		.amdhsa_user_sgpr_private_segment_size 0
		.amdhsa_uses_dynamic_stack 0
		.amdhsa_system_sgpr_private_segment_wavefront_offset 0
		.amdhsa_system_sgpr_workgroup_id_x 1
		.amdhsa_system_sgpr_workgroup_id_y 0
		.amdhsa_system_sgpr_workgroup_id_z 0
		.amdhsa_system_sgpr_workgroup_info 0
		.amdhsa_system_vgpr_workitem_id 0
		.amdhsa_next_free_vgpr 29
		.amdhsa_next_free_sgpr 30
		.amdhsa_reserve_vcc 1
		.amdhsa_reserve_flat_scratch 0
		.amdhsa_float_round_mode_32 0
		.amdhsa_float_round_mode_16_64 0
		.amdhsa_float_denorm_mode_32 3
		.amdhsa_float_denorm_mode_16_64 3
		.amdhsa_dx10_clamp 1
		.amdhsa_ieee_mode 1
		.amdhsa_fp16_overflow 0
		.amdhsa_exception_fp_ieee_invalid_op 0
		.amdhsa_exception_fp_denorm_src 0
		.amdhsa_exception_fp_ieee_div_zero 0
		.amdhsa_exception_fp_ieee_overflow 0
		.amdhsa_exception_fp_ieee_underflow 0
		.amdhsa_exception_fp_ieee_inexact 0
		.amdhsa_exception_int_div_zero 0
	.end_amdhsa_kernel
	.section	.text._ZN9rocsparseL18gtsv_LBM_wv_kernelILj256ELj4EfEEviiiPKT1_S3_S3_PS1_S4_S4_Pi,"axG",@progbits,_ZN9rocsparseL18gtsv_LBM_wv_kernelILj256ELj4EfEEviiiPKT1_S3_S3_PS1_S4_S4_Pi,comdat
.Lfunc_end20:
	.size	_ZN9rocsparseL18gtsv_LBM_wv_kernelILj256ELj4EfEEviiiPKT1_S3_S3_PS1_S4_S4_Pi, .Lfunc_end20-_ZN9rocsparseL18gtsv_LBM_wv_kernelILj256ELj4EfEEviiiPKT1_S3_S3_PS1_S4_S4_Pi
                                        ; -- End function
	.set _ZN9rocsparseL18gtsv_LBM_wv_kernelILj256ELj4EfEEviiiPKT1_S3_S3_PS1_S4_S4_Pi.num_vgpr, 29
	.set _ZN9rocsparseL18gtsv_LBM_wv_kernelILj256ELj4EfEEviiiPKT1_S3_S3_PS1_S4_S4_Pi.num_agpr, 0
	.set _ZN9rocsparseL18gtsv_LBM_wv_kernelILj256ELj4EfEEviiiPKT1_S3_S3_PS1_S4_S4_Pi.numbered_sgpr, 30
	.set _ZN9rocsparseL18gtsv_LBM_wv_kernelILj256ELj4EfEEviiiPKT1_S3_S3_PS1_S4_S4_Pi.num_named_barrier, 0
	.set _ZN9rocsparseL18gtsv_LBM_wv_kernelILj256ELj4EfEEviiiPKT1_S3_S3_PS1_S4_S4_Pi.private_seg_size, 0
	.set _ZN9rocsparseL18gtsv_LBM_wv_kernelILj256ELj4EfEEviiiPKT1_S3_S3_PS1_S4_S4_Pi.uses_vcc, 1
	.set _ZN9rocsparseL18gtsv_LBM_wv_kernelILj256ELj4EfEEviiiPKT1_S3_S3_PS1_S4_S4_Pi.uses_flat_scratch, 0
	.set _ZN9rocsparseL18gtsv_LBM_wv_kernelILj256ELj4EfEEviiiPKT1_S3_S3_PS1_S4_S4_Pi.has_dyn_sized_stack, 0
	.set _ZN9rocsparseL18gtsv_LBM_wv_kernelILj256ELj4EfEEviiiPKT1_S3_S3_PS1_S4_S4_Pi.has_recursion, 0
	.set _ZN9rocsparseL18gtsv_LBM_wv_kernelILj256ELj4EfEEviiiPKT1_S3_S3_PS1_S4_S4_Pi.has_indirect_call, 0
	.section	.AMDGPU.csdata,"",@progbits
; Kernel info:
; codeLenInByte = 2236
; TotalNumSgprs: 34
; NumVgprs: 29
; ScratchSize: 0
; MemoryBound: 0
; FloatMode: 240
; IeeeMode: 1
; LDSByteSize: 0 bytes/workgroup (compile time only)
; SGPRBlocks: 4
; VGPRBlocks: 7
; NumSGPRsForWavesPerEU: 34
; NumVGPRsForWavesPerEU: 29
; Occupancy: 8
; WaveLimiterHint : 0
; COMPUTE_PGM_RSRC2:SCRATCH_EN: 0
; COMPUTE_PGM_RSRC2:USER_SGPR: 6
; COMPUTE_PGM_RSRC2:TRAP_HANDLER: 0
; COMPUTE_PGM_RSRC2:TGID_X_EN: 1
; COMPUTE_PGM_RSRC2:TGID_Y_EN: 0
; COMPUTE_PGM_RSRC2:TGID_Z_EN: 0
; COMPUTE_PGM_RSRC2:TIDIG_COMP_CNT: 0
	.section	.text._ZN9rocsparseL19gtsv_LBM_rhs_kernelILj256ELj4ELj8EfEEviiiPKT2_S3_S3_PS1_S3_PKi,"axG",@progbits,_ZN9rocsparseL19gtsv_LBM_rhs_kernelILj256ELj4ELj8EfEEviiiPKT2_S3_S3_PS1_S3_PKi,comdat
	.globl	_ZN9rocsparseL19gtsv_LBM_rhs_kernelILj256ELj4ELj8EfEEviiiPKT2_S3_S3_PS1_S3_PKi ; -- Begin function _ZN9rocsparseL19gtsv_LBM_rhs_kernelILj256ELj4ELj8EfEEviiiPKT2_S3_S3_PS1_S3_PKi
	.p2align	8
	.type	_ZN9rocsparseL19gtsv_LBM_rhs_kernelILj256ELj4ELj8EfEEviiiPKT2_S3_S3_PS1_S3_PKi,@function
_ZN9rocsparseL19gtsv_LBM_rhs_kernelILj256ELj4ELj8EfEEviiiPKT2_S3_S3_PS1_S3_PKi: ; @_ZN9rocsparseL19gtsv_LBM_rhs_kernelILj256ELj4ELj8EfEEviiiPKT2_S3_S3_PS1_S3_PKi
; %bb.0:
	s_load_dword s23, s[4:5], 0x0
	v_lshl_or_b32 v0, s6, 8, v0
	s_waitcnt lgkmcnt(0)
	s_lshr_b32 s22, s23, 2
	v_cmp_gt_i32_e32 vcc, s22, v0
	s_and_saveexec_b64 s[0:1], vcc
	s_cbranch_execz .LBB21_29
; %bb.1:
	s_load_dwordx4 s[8:11], s[4:5], 0x28
	s_load_dwordx2 s[16:17], s[4:5], 0x38
	s_cmp_lt_i32 s23, 1
	v_add_u32_e32 v19, s22, v0
	s_mul_i32 s24, s7, s23
	s_cbranch_scc1 .LBB21_21
; %bb.2:
	s_load_dwordx4 s[12:15], s[4:5], 0x10
	s_load_dwordx2 s[6:7], s[4:5], 0x20
	v_ashrrev_i32_e32 v1, 31, v0
	v_lshlrev_b64 v[1:2], 2, v[0:1]
	s_lshl_b32 s27, s24, 3
	s_waitcnt lgkmcnt(0)
	v_mov_b32_e32 v3, s15
	v_add_co_u32_e32 v1, vcc, s14, v1
	v_addc_co_u32_e32 v2, vcc, v3, v2, vcc
	global_load_dword v24, v[1:2], off
	s_add_i32 s28, s27, s23
	s_add_i32 s29, s28, s23
	;; [unrolled: 1-line block ×6, first 2 shown]
	s_mul_i32 s25, s22, 3
	s_lshl_b32 s26, s22, 1
	v_add_u32_e32 v20, s22, v19
	s_add_i32 s35, s34, s23
	v_mov_b32_e32 v2, 0
	s_mov_b64 s[18:19], 0
	v_mov_b32_e32 v22, s7
	v_mov_b32_e32 v21, 0
	s_branch .LBB21_5
.LBB21_3:                               ;   in Loop: Header=BB21_5 Depth=1
	s_or_b64 exec, exec, s[4:5]
	v_fma_f32 v24, -v24, v29, v25
	v_mov_b32_e32 v1, s22
.LBB21_4:                               ;   in Loop: Header=BB21_5 Depth=1
	s_or_b64 exec, exec, s[2:3]
	v_add_u32_e32 v21, v1, v21
	v_cmp_le_i32_e32 vcc, s23, v21
	s_or_b64 s[18:19], vcc, s[18:19]
	s_andn2_b64 exec, exec, s[18:19]
	s_cbranch_execz .LBB21_20
.LBB21_5:                               ; =>This Inner Loop Header: Depth=1
	v_add_u32_e32 v15, v21, v0
	v_ashrrev_i32_e32 v16, 31, v15
	v_lshlrev_b64 v[3:4], 2, v[15:16]
	v_cmp_gt_u32_e64 s[0:1], s25, v21
	v_add_co_u32_e32 v5, vcc, s6, v3
	v_addc_co_u32_e32 v6, vcc, v22, v4, vcc
	global_load_dword v27, v[5:6], off
	v_mov_b32_e32 v23, 0
	s_and_saveexec_b64 s[2:3], s[0:1]
	s_cbranch_execz .LBB21_7
; %bb.6:                                ;   in Loop: Header=BB21_5 Depth=1
	v_add_u32_e32 v5, v19, v21
	v_ashrrev_i32_e32 v6, 31, v5
	v_lshlrev_b64 v[5:6], 2, v[5:6]
	v_mov_b32_e32 v1, s13
	v_add_co_u32_e32 v5, vcc, s12, v5
	v_addc_co_u32_e32 v6, vcc, v1, v6, vcc
	global_load_dword v23, v[5:6], off
.LBB21_7:                               ;   in Loop: Header=BB21_5 Depth=1
	s_or_b64 exec, exec, s[2:3]
	v_mov_b32_e32 v26, 0
	v_mov_b32_e32 v25, 0
	s_and_saveexec_b64 s[2:3], s[0:1]
	s_cbranch_execz .LBB21_9
; %bb.8:                                ;   in Loop: Header=BB21_5 Depth=1
	v_add_u32_e32 v5, v19, v21
	v_ashrrev_i32_e32 v6, 31, v5
	v_lshlrev_b64 v[5:6], 2, v[5:6]
	v_mov_b32_e32 v1, s15
	v_add_co_u32_e32 v5, vcc, s14, v5
	v_addc_co_u32_e32 v6, vcc, v1, v6, vcc
	global_load_dword v25, v[5:6], off
.LBB21_9:                               ;   in Loop: Header=BB21_5 Depth=1
	s_or_b64 exec, exec, s[2:3]
	s_and_saveexec_b64 s[2:3], s[0:1]
	s_cbranch_execz .LBB21_11
; %bb.10:                               ;   in Loop: Header=BB21_5 Depth=1
	v_add_u32_e32 v5, v19, v21
	v_ashrrev_i32_e32 v6, 31, v5
	v_lshlrev_b64 v[5:6], 2, v[5:6]
	v_mov_b32_e32 v1, s7
	v_add_co_u32_e32 v5, vcc, s6, v5
	v_addc_co_u32_e32 v6, vcc, v1, v6, vcc
	global_load_dword v26, v[5:6], off
.LBB21_11:                              ;   in Loop: Header=BB21_5 Depth=1
	s_or_b64 exec, exec, s[2:3]
	v_cmp_gt_u32_e64 s[2:3], s26, v21
	v_mov_b32_e32 v28, 0
	s_and_saveexec_b64 s[4:5], s[2:3]
	s_cbranch_execz .LBB21_13
; %bb.12:                               ;   in Loop: Header=BB21_5 Depth=1
	v_add_u32_e32 v5, v20, v21
	v_ashrrev_i32_e32 v6, 31, v5
	v_lshlrev_b64 v[5:6], 2, v[5:6]
	v_mov_b32_e32 v1, s13
	v_add_co_u32_e32 v5, vcc, s12, v5
	v_addc_co_u32_e32 v6, vcc, v1, v6, vcc
	global_load_dword v28, v[5:6], off
.LBB21_13:                              ;   in Loop: Header=BB21_5 Depth=1
	s_or_b64 exec, exec, s[4:5]
	v_mov_b32_e32 v1, s17
	v_add_co_u32_e32 v3, vcc, s16, v3
	v_addc_co_u32_e32 v4, vcc, v1, v4, vcc
	v_add_u32_e32 v1, s27, v15
	global_load_dword v29, v[3:4], off
	v_lshlrev_b64 v[3:4], 2, v[1:2]
	s_waitcnt vmcnt(2)
	v_mov_b32_e32 v30, s9
	v_add_co_u32_e32 v17, vcc, s8, v3
	v_add_u32_e32 v1, s28, v15
	v_addc_co_u32_e32 v18, vcc, v30, v4, vcc
	v_lshlrev_b64 v[3:4], 2, v[1:2]
	v_add_u32_e32 v1, s29, v15
	v_add_co_u32_e32 v7, vcc, s8, v3
	v_addc_co_u32_e32 v8, vcc, v30, v4, vcc
	v_lshlrev_b64 v[3:4], 2, v[1:2]
	v_add_u32_e32 v1, s30, v15
	v_add_co_u32_e32 v11, vcc, s8, v3
	;; [unrolled: 4-line block ×3, first 2 shown]
	v_lshlrev_b64 v[5:6], 2, v[1:2]
	v_addc_co_u32_e32 v4, vcc, v30, v4, vcc
	v_add_u32_e32 v1, s33, v15
	v_add_co_u32_e32 v5, vcc, s8, v5
	v_lshlrev_b64 v[9:10], 2, v[1:2]
	v_addc_co_u32_e32 v6, vcc, v30, v6, vcc
	v_add_u32_e32 v1, s34, v15
	v_add_co_u32_e32 v9, vcc, s8, v9
	;; [unrolled: 4-line block ×3, first 2 shown]
	v_lshlrev_b64 v[15:16], 2, v[1:2]
	v_addc_co_u32_e32 v14, vcc, v30, v14, vcc
	v_add_co_u32_e32 v15, vcc, s8, v15
	v_addc_co_u32_e32 v16, vcc, v30, v16, vcc
	global_load_dword v37, v[17:18], off
	global_load_dword v36, v[7:8], off
	;; [unrolled: 1-line block ×8, first 2 shown]
	v_cmp_ne_u32_e64 s[4:5], s25, v21
	s_waitcnt vmcnt(8)
	v_cmp_ne_u32_e32 vcc, 1, v29
	s_and_b64 s[4:5], s[4:5], vcc
	v_mul_f32_e32 v29, v27, v23
	s_and_saveexec_b64 s[20:21], s[4:5]
	s_xor_b64 s[4:5], exec, s[20:21]
	s_cbranch_execz .LBB21_17
; %bb.14:                               ;   in Loop: Header=BB21_5 Depth=1
	v_add_u32_e32 v54, v19, v21
	v_add_u32_e32 v1, s27, v54
	v_lshlrev_b64 v[38:39], 2, v[1:2]
	v_mov_b32_e32 v55, s9
	v_add_co_u32_e32 v40, vcc, s8, v38
	v_add_u32_e32 v1, s28, v54
	v_addc_co_u32_e32 v41, vcc, v55, v39, vcc
	v_lshlrev_b64 v[38:39], 2, v[1:2]
	v_add_u32_e32 v1, s29, v54
	v_add_co_u32_e32 v42, vcc, s8, v38
	v_addc_co_u32_e32 v43, vcc, v55, v39, vcc
	v_lshlrev_b64 v[38:39], 2, v[1:2]
	v_add_u32_e32 v1, s30, v54
	v_add_co_u32_e32 v44, vcc, s8, v38
	;; [unrolled: 4-line block ×6, first 2 shown]
	v_addc_co_u32_e32 v53, vcc, v55, v39, vcc
	v_lshlrev_b64 v[38:39], 2, v[1:2]
	v_fma_f32 v1, v24, v25, -v29
	v_div_scale_f32 v29, s[20:21], v1, v1, 1.0
	v_add_co_u32_e32 v54, vcc, s8, v38
	v_addc_co_u32_e32 v55, vcc, v55, v39, vcc
	v_rcp_f32_e32 v38, v29
	v_fma_f32 v39, -v29, v38, 1.0
	v_fmac_f32_e32 v38, v39, v38
	v_div_scale_f32 v39, vcc, 1.0, v1, 1.0
	v_mul_f32_e32 v56, v39, v38
	v_fma_f32 v57, -v29, v56, v39
	v_fmac_f32_e32 v56, v57, v38
	v_fma_f32 v29, -v29, v56, v39
	v_div_fmas_f32 v29, v29, v38, v56
	v_div_fixup_f32 v29, v29, v1, 1.0
	global_load_dword v1, v[40:41], off
	global_load_dword v39, v[42:43], off
	;; [unrolled: 1-line block ×8, first 2 shown]
	s_waitcnt vmcnt(15)
	v_mul_f32_e32 v37, v29, v37
	s_waitcnt vmcnt(13)
	v_mul_f32_e32 v35, v29, v35
	;; [unrolled: 2-line block ×3, first 2 shown]
	v_mul_f32_e32 v1, v27, v38
	v_fma_f32 v1, v25, v37, -v1
	global_store_dword v[17:18], v1, off
	v_mul_f32_e32 v18, v29, v36
	s_waitcnt vmcnt(7)
	v_mul_f32_e32 v36, v29, v39
	v_mul_f32_e32 v1, v27, v36
	v_fma_f32 v1, v25, v18, -v1
	s_waitcnt vmcnt(6)
	v_mul_f32_e32 v39, v29, v56
	global_store_dword v[7:8], v1, off
	v_mul_f32_e32 v1, v27, v39
	v_fma_f32 v1, v25, v35, -v1
	global_store_dword v[11:12], v1, off
	s_waitcnt vmcnt(7)
	v_mul_f32_e32 v12, v29, v57
	v_mul_f32_e32 v7, v29, v34
	;; [unrolled: 1-line block ×3, first 2 shown]
	v_fma_f32 v1, v25, v7, -v1
	v_mul_f32_e32 v17, v29, v33
	s_waitcnt vmcnt(6)
	v_mul_f32_e32 v33, v29, v58
	global_store_dword v[3:4], v1, off
	v_mul_f32_e32 v1, v27, v33
	v_fma_f32 v1, v25, v17, -v1
	s_waitcnt vmcnt(6)
	v_mul_f32_e32 v11, v29, v59
	global_store_dword v[5:6], v1, off
	v_mul_f32_e32 v8, v29, v32
	v_mul_f32_e32 v1, v27, v11
	v_fma_f32 v1, v25, v8, -v1
	s_waitcnt vmcnt(6)
	v_mul_f32_e32 v6, v29, v60
	global_store_dword v[9:10], v1, off
	v_mul_f32_e32 v5, v29, v31
	;; [unrolled: 6-line block ×3, first 2 shown]
	v_mul_f32_e32 v1, v27, v4
	v_fma_f32 v1, v25, v3, -v1
	global_store_dword v[15:16], v1, off
	v_mul_f32_e32 v1, v23, v37
	v_fma_f32 v1, v24, v38, -v1
	global_store_dword v[40:41], v1, off
	;; [unrolled: 3-line block ×9, first 2 shown]
	v_mov_b32_e32 v1, 0
	s_and_saveexec_b64 s[20:21], s[2:3]
	s_cbranch_execz .LBB21_16
; %bb.15:                               ;   in Loop: Header=BB21_5 Depth=1
	v_add_u32_e32 v9, v20, v21
	v_add_u32_e32 v1, s27, v9
	v_lshlrev_b64 v[13:14], 2, v[1:2]
	v_mov_b32_e32 v25, s9
	v_add_co_u32_e32 v13, vcc, s8, v13
	v_addc_co_u32_e32 v14, vcc, v25, v14, vcc
	global_load_dword v10, v[13:14], off
	v_mul_f32_e32 v31, v24, v28
	v_mul_f32_e32 v30, v23, v28
	;; [unrolled: 1-line block ×3, first 2 shown]
	v_fma_f32 v27, v30, v37, -v1
	v_add_u32_e32 v1, s28, v9
	v_lshlrev_b64 v[15:16], 2, v[1:2]
	v_add_u32_e32 v1, s29, v9
	v_lshlrev_b64 v[23:24], 2, v[1:2]
	v_add_co_u32_e32 v15, vcc, s8, v15
	v_addc_co_u32_e32 v16, vcc, v25, v16, vcc
	global_load_dword v32, v[15:16], off
	v_add_co_u32_e32 v23, vcc, s8, v23
	v_addc_co_u32_e32 v24, vcc, v25, v24, vcc
	v_mul_f32_e32 v4, v31, v4
	v_fma_f32 v3, v30, v3, -v4
	s_waitcnt vmcnt(1)
	v_add_f32_e32 v1, v27, v10
	global_store_dword v[13:14], v1, off
	global_load_dword v10, v[23:24], off
	v_mul_f32_e32 v1, v31, v36
	v_mul_f32_e32 v13, v31, v39
	v_fma_f32 v18, v30, v18, -v1
	v_add_u32_e32 v1, s30, v9
	v_fma_f32 v34, v30, v35, -v13
	v_lshlrev_b64 v[13:14], 2, v[1:2]
	v_add_u32_e32 v1, s31, v9
	v_lshlrev_b64 v[27:28], 2, v[1:2]
	v_add_co_u32_e32 v13, vcc, s8, v13
	s_waitcnt vmcnt(2)
	v_add_f32_e32 v1, v18, v32
	v_addc_co_u32_e32 v14, vcc, v25, v14, vcc
	global_store_dword v[15:16], v1, off
	v_add_co_u32_e32 v27, vcc, s8, v27
	global_load_dword v18, v[13:14], off
	v_addc_co_u32_e32 v28, vcc, v25, v28, vcc
	s_waitcnt vmcnt(2)
	v_add_f32_e32 v1, v34, v10
	global_store_dword v[23:24], v1, off
	global_load_dword v10, v[27:28], off
	v_mul_f32_e32 v1, v31, v12
	v_fma_f32 v7, v30, v7, -v1
	v_add_u32_e32 v1, s33, v9
	v_mul_f32_e32 v12, v31, v33
	v_lshlrev_b64 v[15:16], 2, v[1:2]
	v_fma_f32 v12, v30, v17, -v12
	v_add_co_u32_e32 v15, vcc, s8, v15
	v_addc_co_u32_e32 v16, vcc, v25, v16, vcc
	s_waitcnt vmcnt(2)
	v_add_f32_e32 v1, v7, v18
	global_store_dword v[13:14], v1, off
	s_waitcnt vmcnt(1)
	v_add_f32_e32 v1, v12, v10
	global_store_dword v[27:28], v1, off
	global_load_dword v10, v[15:16], off
	v_mul_f32_e32 v1, v31, v11
	v_fma_f32 v11, v30, v8, -v1
	v_add_u32_e32 v1, s34, v9
	v_lshlrev_b64 v[7:8], 2, v[1:2]
	v_mov_b32_e32 v12, s15
	v_add_co_u32_e32 v7, vcc, s8, v7
	v_addc_co_u32_e32 v8, vcc, v25, v8, vcc
	s_waitcnt vmcnt(0)
	v_add_f32_e32 v1, v11, v10
	global_store_dword v[15:16], v1, off
	global_load_dword v11, v[7:8], off
	v_mul_f32_e32 v1, v31, v6
	v_ashrrev_i32_e32 v10, 31, v9
	v_fma_f32 v13, v30, v5, -v1
	v_add_u32_e32 v1, s35, v9
	v_lshlrev_b64 v[5:6], 2, v[9:10]
	v_lshlrev_b64 v[9:10], 2, v[1:2]
	v_add_co_u32_e32 v9, vcc, s8, v9
	v_addc_co_u32_e32 v10, vcc, v25, v10, vcc
	v_add_co_u32_e32 v5, vcc, s14, v5
	v_addc_co_u32_e32 v6, vcc, v12, v6, vcc
	global_load_dword v5, v[5:6], off
	v_mul_f32_e32 v6, v26, v31
	s_waitcnt vmcnt(1)
	v_add_f32_e32 v1, v13, v11
	global_store_dword v[7:8], v1, off
	global_load_dword v1, v[9:10], off
	s_waitcnt vmcnt(0)
	v_add_f32_e32 v1, v3, v1
	global_store_dword v[9:10], v1, off
	v_fma_f32 v1, -v29, v6, v5
.LBB21_16:                              ;   in Loop: Header=BB21_5 Depth=1
	s_or_b64 exec, exec, s[20:21]
	v_mov_b32_e32 v24, v1
                                        ; implicit-def: $vgpr23
                                        ; implicit-def: $vgpr25
                                        ; implicit-def: $vgpr29
                                        ; implicit-def: $vgpr17_vgpr18
                                        ; implicit-def: $vgpr37
                                        ; implicit-def: $vgpr7_vgpr8
                                        ; implicit-def: $vgpr36
                                        ; implicit-def: $vgpr11_vgpr12
                                        ; implicit-def: $vgpr35
                                        ; implicit-def: $vgpr3_vgpr4
                                        ; implicit-def: $vgpr34
                                        ; implicit-def: $vgpr5_vgpr6
                                        ; implicit-def: $vgpr33
                                        ; implicit-def: $vgpr9_vgpr10
                                        ; implicit-def: $vgpr32
                                        ; implicit-def: $vgpr13_vgpr14
                                        ; implicit-def: $vgpr31
                                        ; implicit-def: $vgpr15_vgpr16
                                        ; implicit-def: $vgpr30
.LBB21_17:                              ;   in Loop: Header=BB21_5 Depth=1
	s_or_saveexec_b64 s[2:3], s[4:5]
	v_mov_b32_e32 v1, s26
	s_xor_b64 exec, exec, s[2:3]
	s_cbranch_execz .LBB21_4
; %bb.18:                               ;   in Loop: Header=BB21_5 Depth=1
	v_div_scale_f32 v1, s[4:5], v24, v24, 1.0
	v_div_scale_f32 v26, vcc, 1.0, v24, 1.0
	v_rcp_f32_e32 v27, v1
	v_fma_f32 v28, -v1, v27, 1.0
	v_fmac_f32_e32 v27, v28, v27
	v_mul_f32_e32 v28, v26, v27
	v_fma_f32 v38, -v1, v28, v26
	v_fmac_f32_e32 v28, v38, v27
	v_fma_f32 v1, -v1, v28, v26
	v_div_fmas_f32 v1, v1, v27, v28
	v_div_fixup_f32 v24, v1, v24, 1.0
	s_waitcnt vmcnt(7)
	v_mul_f32_e32 v37, v24, v37
	s_waitcnt vmcnt(6)
	v_mul_f32_e32 v36, v24, v36
	s_waitcnt vmcnt(5)
	v_mul_f32_e32 v35, v24, v35
	s_waitcnt vmcnt(4)
	v_mul_f32_e32 v34, v24, v34
	s_waitcnt vmcnt(3)
	v_mul_f32_e32 v33, v24, v33
	s_waitcnt vmcnt(2)
	v_mul_f32_e32 v28, v24, v32
	s_waitcnt vmcnt(1)
	v_mul_f32_e32 v27, v24, v31
	s_waitcnt vmcnt(0)
	v_mul_f32_e32 v26, v24, v30
	global_store_dword v[17:18], v37, off
	global_store_dword v[7:8], v36, off
	;; [unrolled: 1-line block ×8, first 2 shown]
	s_and_saveexec_b64 s[4:5], s[0:1]
	s_cbranch_execz .LBB21_3
; %bb.19:                               ;   in Loop: Header=BB21_5 Depth=1
	v_add_u32_e32 v11, v19, v21
	v_add_u32_e32 v1, s27, v11
	v_lshlrev_b64 v[3:4], 2, v[1:2]
	v_mov_b32_e32 v12, s9
	v_add_co_u32_e32 v3, vcc, s8, v3
	v_addc_co_u32_e32 v4, vcc, v12, v4, vcc
	global_load_dword v9, v[3:4], off
	v_add_u32_e32 v1, s28, v11
	v_lshlrev_b64 v[5:6], 2, v[1:2]
	v_add_u32_e32 v1, s29, v11
	v_lshlrev_b64 v[7:8], 2, v[1:2]
	v_add_co_u32_e32 v5, vcc, s8, v5
	v_addc_co_u32_e32 v6, vcc, v12, v6, vcc
	global_load_dword v13, v[5:6], off
	v_add_co_u32_e32 v7, vcc, s8, v7
	v_addc_co_u32_e32 v8, vcc, v12, v8, vcc
	s_waitcnt vmcnt(1)
	v_fma_f32 v1, -v23, v37, v9
	global_store_dword v[3:4], v1, off
	global_load_dword v14, v[7:8], off
	v_add_u32_e32 v1, s30, v11
	v_lshlrev_b64 v[3:4], 2, v[1:2]
	v_add_u32_e32 v1, s31, v11
	v_lshlrev_b64 v[9:10], 2, v[1:2]
	v_add_co_u32_e32 v3, vcc, s8, v3
	s_waitcnt vmcnt(2)
	v_fma_f32 v1, -v23, v36, v13
	v_addc_co_u32_e32 v4, vcc, v12, v4, vcc
	global_store_dword v[5:6], v1, off
	v_add_co_u32_e32 v9, vcc, s8, v9
	global_load_dword v13, v[3:4], off
	v_addc_co_u32_e32 v10, vcc, v12, v10, vcc
	s_waitcnt vmcnt(2)
	v_fma_f32 v1, -v23, v35, v14
	global_store_dword v[7:8], v1, off
	global_load_dword v7, v[9:10], off
	v_add_u32_e32 v1, s33, v11
	v_lshlrev_b64 v[5:6], 2, v[1:2]
	v_add_co_u32_e32 v5, vcc, s8, v5
	v_addc_co_u32_e32 v6, vcc, v12, v6, vcc
	s_waitcnt vmcnt(2)
	v_fma_f32 v1, -v23, v34, v13
	global_store_dword v[3:4], v1, off
	s_waitcnt vmcnt(1)
	v_fma_f32 v1, -v23, v33, v7
	global_store_dword v[9:10], v1, off
	global_load_dword v7, v[5:6], off
	v_add_u32_e32 v1, s34, v11
	v_lshlrev_b64 v[3:4], 2, v[1:2]
	v_add_co_u32_e32 v3, vcc, s8, v3
	v_addc_co_u32_e32 v4, vcc, v12, v4, vcc
	s_waitcnt vmcnt(0)
	v_fma_f32 v1, -v23, v28, v7
	global_store_dword v[5:6], v1, off
	global_load_dword v7, v[3:4], off
	v_add_u32_e32 v1, s35, v11
	v_lshlrev_b64 v[5:6], 2, v[1:2]
	s_waitcnt vmcnt(0)
	v_fma_f32 v1, -v23, v27, v7
	global_store_dword v[3:4], v1, off
	v_add_co_u32_e32 v3, vcc, s8, v5
	v_addc_co_u32_e32 v4, vcc, v12, v6, vcc
	global_load_dword v1, v[3:4], off
	s_waitcnt vmcnt(0)
	v_fma_f32 v1, -v23, v26, v1
	global_store_dword v[3:4], v1, off
	s_branch .LBB21_3
.LBB21_20:
	s_or_b64 exec, exec, s[18:19]
	s_branch .LBB21_22
.LBB21_21:
	v_mov_b32_e32 v21, 0
.LBB21_22:
	v_subrev_u32_e32 v3, s22, v21
	v_add_u32_e32 v1, v3, v0
	v_ashrrev_i32_e32 v2, 31, v1
	v_lshlrev_b64 v[1:2], 2, v[1:2]
	s_waitcnt lgkmcnt(0)
	v_mov_b32_e32 v4, s17
	v_add_co_u32_e32 v1, vcc, s16, v1
	v_addc_co_u32_e32 v2, vcc, v4, v2, vcc
	s_waitcnt vmcnt(0)
	buffer_wbinvl1_vol
	global_load_dword v1, v[1:2], off
	s_waitcnt vmcnt(0)
	v_mul_lo_u32 v1, v1, s22
	v_sub_u32_e32 v5, v3, v1
	v_cmp_lt_i32_e32 vcc, -1, v5
	s_and_b64 exec, exec, vcc
	s_cbranch_execz .LBB21_29
; %bb.23:
	s_lshl_b32 s4, s24, 3
	s_add_i32 s5, s4, s23
	s_add_i32 s6, s5, s23
	;; [unrolled: 1-line block ×7, first 2 shown]
	s_lshl_b32 s18, s22, 1
	s_mov_b64 s[0:1], 0
	v_mov_b32_e32 v6, s17
	v_mov_b32_e32 v7, s11
	;; [unrolled: 1-line block ×3, first 2 shown]
	s_branch .LBB21_25
.LBB21_24:                              ;   in Loop: Header=BB21_25 Depth=1
	s_or_b64 exec, exec, s[2:3]
	v_sub_u32_e32 v5, v5, v1
	v_cmp_gt_i32_e32 vcc, 0, v5
	s_or_b64 s[0:1], vcc, s[0:1]
	s_andn2_b64 exec, exec, s[0:1]
	s_cbranch_execz .LBB21_29
.LBB21_25:                              ; =>This Inner Loop Header: Depth=1
	v_add_u32_e32 v3, v5, v0
	s_waitcnt vmcnt(0)
	v_ashrrev_i32_e32 v4, 31, v3
	v_lshlrev_b64 v[8:9], 2, v[3:4]
	v_add_co_u32_e32 v10, vcc, s16, v8
	v_addc_co_u32_e32 v11, vcc, v6, v9, vcc
	v_add_co_u32_e32 v8, vcc, s10, v8
	global_load_dword v1, v[10:11], off
	v_addc_co_u32_e32 v9, vcc, v7, v9, vcc
	global_load_dword v4, v[8:9], off
	s_waitcnt vmcnt(1)
	v_cmp_ne_u32_e32 vcc, 1, v1
	s_and_saveexec_b64 s[2:3], vcc
	s_xor_b64 s[2:3], exec, s[2:3]
	s_cbranch_execz .LBB21_27
; %bb.26:                               ;   in Loop: Header=BB21_25 Depth=1
	v_add_u32_e32 v18, v19, v5
	v_add_u32_e32 v1, s4, v18
	v_lshlrev_b64 v[8:9], 2, v[1:2]
	v_mov_b32_e32 v1, s9
	v_add_co_u32_e32 v8, vcc, s8, v8
	v_addc_co_u32_e32 v9, vcc, v1, v9, vcc
	v_add_u32_e32 v1, s5, v18
	global_load_dword v28, v[8:9], off
	v_lshlrev_b64 v[8:9], 2, v[1:2]
	v_add_u32_e32 v1, s6, v18
	v_lshlrev_b64 v[10:11], 2, v[1:2]
	v_add_u32_e32 v1, s7, v18
	;; [unrolled: 2-line block ×7, first 2 shown]
	v_lshlrev_b64 v[24:25], 2, v[1:2]
	v_mov_b32_e32 v1, s9
	v_add_co_u32_e32 v24, vcc, s8, v24
	v_addc_co_u32_e32 v25, vcc, v1, v25, vcc
	global_load_dword v18, v[24:25], off
	v_add_co_u32_e32 v8, vcc, s8, v8
	v_addc_co_u32_e32 v9, vcc, v1, v9, vcc
	v_mov_b32_e32 v26, s9
	v_add_co_u32_e32 v10, vcc, s8, v10
	v_addc_co_u32_e32 v11, vcc, v26, v11, vcc
	v_mov_b32_e32 v27, s9
	;; [unrolled: 3-line block ×5, first 2 shown]
	v_add_co_u32_e32 v20, vcc, s8, v20
	v_addc_co_u32_e32 v21, vcc, v31, v21, vcc
	v_add_u32_e32 v1, s5, v3
	v_mov_b32_e32 v32, s9
	v_add_co_u32_e32 v22, vcc, s8, v22
	v_lshlrev_b64 v[26:27], 2, v[1:2]
	v_addc_co_u32_e32 v23, vcc, v32, v23, vcc
	v_mov_b32_e32 v33, s9
	global_load_dword v29, v[8:9], off
	global_load_dword v30, v[10:11], off
	global_load_dword v31, v[12:13], off
	global_load_dword v32, v[14:15], off
	global_load_dword v34, v[16:17], off
	global_load_dword v35, v[20:21], off
	global_load_dword v36, v[22:23], off
	v_add_co_u32_e32 v8, vcc, s8, v26
	v_addc_co_u32_e32 v9, vcc, v33, v27, vcc
	v_mov_b32_e32 v13, s9
	s_waitcnt vmcnt(7)
	v_fma_f32 v1, -v4, v28, v18
	global_store_dword v[24:25], v1, off
	global_load_dword v12, v[8:9], off
	v_add_u32_e32 v1, s6, v3
	v_lshlrev_b64 v[10:11], 2, v[1:2]
	v_add_co_u32_e32 v10, vcc, s8, v10
	v_addc_co_u32_e32 v11, vcc, v13, v11, vcc
	s_waitcnt vmcnt(0)
	v_fma_f32 v1, -v4, v29, v12
	global_store_dword v[8:9], v1, off
	global_load_dword v12, v[10:11], off
	v_add_u32_e32 v1, s7, v3
	v_lshlrev_b64 v[8:9], 2, v[1:2]
	v_add_co_u32_e32 v8, vcc, s8, v8
	v_addc_co_u32_e32 v9, vcc, v13, v9, vcc
	;; [unrolled: 8-line block ×6, first 2 shown]
	s_waitcnt vmcnt(0)
	v_fma_f32 v1, -v4, v35, v12
	global_store_dword v[10:11], v1, off
	global_load_dword v3, v[8:9], off
	v_subrev_u32_e32 v1, s22, v5
	v_add_u32_e32 v10, v1, v0
	v_ashrrev_i32_e32 v11, 31, v10
	v_lshlrev_b64 v[11:12], 2, v[10:11]
	v_add_u32_e32 v1, s4, v10
	v_add_co_u32_e32 v11, vcc, s10, v11
	v_addc_co_u32_e32 v12, vcc, v7, v12, vcc
	global_load_dword v14, v[11:12], off
	v_lshlrev_b64 v[11:12], 2, v[1:2]
	v_add_co_u32_e32 v11, vcc, s8, v11
	v_addc_co_u32_e32 v12, vcc, v13, v12, vcc
	s_waitcnt vmcnt(1)
	v_fma_f32 v1, -v4, v36, v3
	global_store_dword v[8:9], v1, off
	global_load_dword v8, v[11:12], off
	v_add_u32_e32 v1, s5, v10
	v_lshlrev_b64 v[3:4], 2, v[1:2]
	v_mov_b32_e32 v9, s9
	v_add_co_u32_e32 v3, vcc, s8, v3
	v_addc_co_u32_e32 v4, vcc, v9, v4, vcc
	s_waitcnt vmcnt(0)
	v_fma_f32 v1, -v14, v28, v8
	global_store_dword v[11:12], v1, off
	global_load_dword v11, v[3:4], off
	v_add_u32_e32 v1, s6, v10
	v_lshlrev_b64 v[8:9], 2, v[1:2]
	v_mov_b32_e32 v12, s9
	v_add_co_u32_e32 v8, vcc, s8, v8
	v_addc_co_u32_e32 v9, vcc, v12, v9, vcc
	s_waitcnt vmcnt(0)
	v_fma_f32 v1, -v14, v29, v11
	global_store_dword v[3:4], v1, off
	global_load_dword v11, v[8:9], off
	v_add_u32_e32 v1, s7, v10
	v_lshlrev_b64 v[3:4], 2, v[1:2]
	v_add_co_u32_e32 v3, vcc, s8, v3
	v_addc_co_u32_e32 v4, vcc, v12, v4, vcc
	s_waitcnt vmcnt(0)
	v_fma_f32 v1, -v14, v30, v11
	global_store_dword v[8:9], v1, off
	global_load_dword v11, v[3:4], off
	v_add_u32_e32 v1, s12, v10
	v_lshlrev_b64 v[8:9], 2, v[1:2]
	;; [unrolled: 8-line block ×5, first 2 shown]
	v_add_co_u32_e32 v3, vcc, s8, v3
	v_addc_co_u32_e32 v4, vcc, v12, v4, vcc
	s_waitcnt vmcnt(0)
	v_fma_f32 v1, -v14, v35, v11
	global_store_dword v[8:9], v1, off
	global_load_dword v1, v[3:4], off
	s_waitcnt vmcnt(0)
	v_fma_f32 v1, -v14, v36, v1
	global_store_dword v[3:4], v1, off
                                        ; implicit-def: $vgpr3
                                        ; implicit-def: $vgpr4
.LBB21_27:                              ;   in Loop: Header=BB21_25 Depth=1
	s_or_saveexec_b64 s[2:3], s[2:3]
	v_mov_b32_e32 v1, s18
	s_xor_b64 exec, exec, s[2:3]
	s_cbranch_execz .LBB21_24
; %bb.28:                               ;   in Loop: Header=BB21_25 Depth=1
	v_add_u32_e32 v14, v19, v5
	v_add_u32_e32 v1, s4, v14
	v_lshlrev_b64 v[8:9], 2, v[1:2]
	v_mov_b32_e32 v1, s9
	v_add_co_u32_e32 v8, vcc, s8, v8
	v_addc_co_u32_e32 v9, vcc, v1, v9, vcc
	v_add_u32_e32 v1, s4, v3
	v_lshlrev_b64 v[10:11], 2, v[1:2]
	v_mov_b32_e32 v1, s9
	v_add_co_u32_e32 v10, vcc, s8, v10
	v_addc_co_u32_e32 v11, vcc, v1, v11, vcc
	global_load_dword v15, v[8:9], off
	global_load_dword v16, v[10:11], off
	v_add_u32_e32 v1, s5, v14
	v_lshlrev_b64 v[8:9], 2, v[1:2]
	v_add_u32_e32 v1, s5, v3
	v_mov_b32_e32 v17, s9
	v_lshlrev_b64 v[12:13], 2, v[1:2]
	v_add_co_u32_e32 v8, vcc, s8, v8
	v_addc_co_u32_e32 v9, vcc, v17, v9, vcc
	v_mov_b32_e32 v18, s9
	v_add_co_u32_e32 v12, vcc, s8, v12
	v_addc_co_u32_e32 v13, vcc, v18, v13, vcc
	s_waitcnt vmcnt(0)
	v_fma_f32 v1, -v4, v15, v16
	global_store_dword v[10:11], v1, off
	global_load_dword v15, v[8:9], off
	global_load_dword v16, v[12:13], off
	v_add_u32_e32 v1, s6, v14
	v_lshlrev_b64 v[8:9], 2, v[1:2]
	v_add_u32_e32 v1, s6, v3
	v_lshlrev_b64 v[10:11], 2, v[1:2]
	v_add_co_u32_e32 v8, vcc, s8, v8
	v_addc_co_u32_e32 v9, vcc, v17, v9, vcc
	v_add_co_u32_e32 v10, vcc, s8, v10
	v_addc_co_u32_e32 v11, vcc, v18, v11, vcc
	s_waitcnt vmcnt(0)
	v_fma_f32 v1, -v4, v15, v16
	global_store_dword v[12:13], v1, off
	global_load_dword v15, v[8:9], off
	global_load_dword v16, v[10:11], off
	v_add_u32_e32 v1, s7, v14
	v_lshlrev_b64 v[8:9], 2, v[1:2]
	v_add_u32_e32 v1, s7, v3
	v_lshlrev_b64 v[12:13], 2, v[1:2]
	v_add_co_u32_e32 v8, vcc, s8, v8
	v_addc_co_u32_e32 v9, vcc, v17, v9, vcc
	;; [unrolled: 13-line block ×6, first 2 shown]
	v_add_co_u32_e32 v12, vcc, s8, v12
	v_addc_co_u32_e32 v13, vcc, v18, v13, vcc
	s_waitcnt vmcnt(0)
	v_fma_f32 v1, -v4, v15, v16
	global_store_dword v[10:11], v1, off
	global_load_dword v1, v[8:9], off
	s_nop 0
	global_load_dword v3, v[12:13], off
	s_waitcnt vmcnt(0)
	v_fma_f32 v1, -v4, v1, v3
	global_store_dword v[12:13], v1, off
	v_mov_b32_e32 v1, s22
	s_branch .LBB21_24
.LBB21_29:
	s_endpgm
	.section	.rodata,"a",@progbits
	.p2align	6, 0x0
	.amdhsa_kernel _ZN9rocsparseL19gtsv_LBM_rhs_kernelILj256ELj4ELj8EfEEviiiPKT2_S3_S3_PS1_S3_PKi
		.amdhsa_group_segment_fixed_size 0
		.amdhsa_private_segment_fixed_size 0
		.amdhsa_kernarg_size 64
		.amdhsa_user_sgpr_count 6
		.amdhsa_user_sgpr_private_segment_buffer 1
		.amdhsa_user_sgpr_dispatch_ptr 0
		.amdhsa_user_sgpr_queue_ptr 0
		.amdhsa_user_sgpr_kernarg_segment_ptr 1
		.amdhsa_user_sgpr_dispatch_id 0
		.amdhsa_user_sgpr_flat_scratch_init 0
		.amdhsa_user_sgpr_private_segment_size 0
		.amdhsa_uses_dynamic_stack 0
		.amdhsa_system_sgpr_private_segment_wavefront_offset 0
		.amdhsa_system_sgpr_workgroup_id_x 1
		.amdhsa_system_sgpr_workgroup_id_y 1
		.amdhsa_system_sgpr_workgroup_id_z 0
		.amdhsa_system_sgpr_workgroup_info 0
		.amdhsa_system_vgpr_workitem_id 0
		.amdhsa_next_free_vgpr 62
		.amdhsa_next_free_sgpr 36
		.amdhsa_reserve_vcc 1
		.amdhsa_reserve_flat_scratch 0
		.amdhsa_float_round_mode_32 0
		.amdhsa_float_round_mode_16_64 0
		.amdhsa_float_denorm_mode_32 3
		.amdhsa_float_denorm_mode_16_64 3
		.amdhsa_dx10_clamp 1
		.amdhsa_ieee_mode 1
		.amdhsa_fp16_overflow 0
		.amdhsa_exception_fp_ieee_invalid_op 0
		.amdhsa_exception_fp_denorm_src 0
		.amdhsa_exception_fp_ieee_div_zero 0
		.amdhsa_exception_fp_ieee_overflow 0
		.amdhsa_exception_fp_ieee_underflow 0
		.amdhsa_exception_fp_ieee_inexact 0
		.amdhsa_exception_int_div_zero 0
	.end_amdhsa_kernel
	.section	.text._ZN9rocsparseL19gtsv_LBM_rhs_kernelILj256ELj4ELj8EfEEviiiPKT2_S3_S3_PS1_S3_PKi,"axG",@progbits,_ZN9rocsparseL19gtsv_LBM_rhs_kernelILj256ELj4ELj8EfEEviiiPKT2_S3_S3_PS1_S3_PKi,comdat
.Lfunc_end21:
	.size	_ZN9rocsparseL19gtsv_LBM_rhs_kernelILj256ELj4ELj8EfEEviiiPKT2_S3_S3_PS1_S3_PKi, .Lfunc_end21-_ZN9rocsparseL19gtsv_LBM_rhs_kernelILj256ELj4ELj8EfEEviiiPKT2_S3_S3_PS1_S3_PKi
                                        ; -- End function
	.set _ZN9rocsparseL19gtsv_LBM_rhs_kernelILj256ELj4ELj8EfEEviiiPKT2_S3_S3_PS1_S3_PKi.num_vgpr, 62
	.set _ZN9rocsparseL19gtsv_LBM_rhs_kernelILj256ELj4ELj8EfEEviiiPKT2_S3_S3_PS1_S3_PKi.num_agpr, 0
	.set _ZN9rocsparseL19gtsv_LBM_rhs_kernelILj256ELj4ELj8EfEEviiiPKT2_S3_S3_PS1_S3_PKi.numbered_sgpr, 36
	.set _ZN9rocsparseL19gtsv_LBM_rhs_kernelILj256ELj4ELj8EfEEviiiPKT2_S3_S3_PS1_S3_PKi.num_named_barrier, 0
	.set _ZN9rocsparseL19gtsv_LBM_rhs_kernelILj256ELj4ELj8EfEEviiiPKT2_S3_S3_PS1_S3_PKi.private_seg_size, 0
	.set _ZN9rocsparseL19gtsv_LBM_rhs_kernelILj256ELj4ELj8EfEEviiiPKT2_S3_S3_PS1_S3_PKi.uses_vcc, 1
	.set _ZN9rocsparseL19gtsv_LBM_rhs_kernelILj256ELj4ELj8EfEEviiiPKT2_S3_S3_PS1_S3_PKi.uses_flat_scratch, 0
	.set _ZN9rocsparseL19gtsv_LBM_rhs_kernelILj256ELj4ELj8EfEEviiiPKT2_S3_S3_PS1_S3_PKi.has_dyn_sized_stack, 0
	.set _ZN9rocsparseL19gtsv_LBM_rhs_kernelILj256ELj4ELj8EfEEviiiPKT2_S3_S3_PS1_S3_PKi.has_recursion, 0
	.set _ZN9rocsparseL19gtsv_LBM_rhs_kernelILj256ELj4ELj8EfEEviiiPKT2_S3_S3_PS1_S3_PKi.has_indirect_call, 0
	.section	.AMDGPU.csdata,"",@progbits
; Kernel info:
; codeLenInByte = 4640
; TotalNumSgprs: 40
; NumVgprs: 62
; ScratchSize: 0
; MemoryBound: 0
; FloatMode: 240
; IeeeMode: 1
; LDSByteSize: 0 bytes/workgroup (compile time only)
; SGPRBlocks: 4
; VGPRBlocks: 15
; NumSGPRsForWavesPerEU: 40
; NumVGPRsForWavesPerEU: 62
; Occupancy: 4
; WaveLimiterHint : 0
; COMPUTE_PGM_RSRC2:SCRATCH_EN: 0
; COMPUTE_PGM_RSRC2:USER_SGPR: 6
; COMPUTE_PGM_RSRC2:TRAP_HANDLER: 0
; COMPUTE_PGM_RSRC2:TGID_X_EN: 1
; COMPUTE_PGM_RSRC2:TGID_Y_EN: 1
; COMPUTE_PGM_RSRC2:TGID_Z_EN: 0
; COMPUTE_PGM_RSRC2:TIDIG_COMP_CNT: 0
	.section	.text._ZN9rocsparseL19gtsv_LBM_rhs_kernelILj256ELj4ELj4EfEEviiiPKT2_S3_S3_PS1_S3_PKi,"axG",@progbits,_ZN9rocsparseL19gtsv_LBM_rhs_kernelILj256ELj4ELj4EfEEviiiPKT2_S3_S3_PS1_S3_PKi,comdat
	.globl	_ZN9rocsparseL19gtsv_LBM_rhs_kernelILj256ELj4ELj4EfEEviiiPKT2_S3_S3_PS1_S3_PKi ; -- Begin function _ZN9rocsparseL19gtsv_LBM_rhs_kernelILj256ELj4ELj4EfEEviiiPKT2_S3_S3_PS1_S3_PKi
	.p2align	8
	.type	_ZN9rocsparseL19gtsv_LBM_rhs_kernelILj256ELj4ELj4EfEEviiiPKT2_S3_S3_PS1_S3_PKi,@function
_ZN9rocsparseL19gtsv_LBM_rhs_kernelILj256ELj4ELj4EfEEviiiPKT2_S3_S3_PS1_S3_PKi: ; @_ZN9rocsparseL19gtsv_LBM_rhs_kernelILj256ELj4ELj4EfEEviiiPKT2_S3_S3_PS1_S3_PKi
; %bb.0:
	s_load_dword s23, s[4:5], 0x0
	v_lshl_or_b32 v0, s6, 8, v0
	s_waitcnt lgkmcnt(0)
	s_lshr_b32 s22, s23, 2
	v_cmp_gt_i32_e32 vcc, s22, v0
	s_and_saveexec_b64 s[0:1], vcc
	s_cbranch_execz .LBB22_29
; %bb.1:
	s_load_dwordx4 s[8:11], s[4:5], 0x28
	s_load_dwordx2 s[16:17], s[4:5], 0x38
	s_cmp_lt_i32 s23, 1
	v_add_u32_e32 v11, s22, v0
	s_mul_i32 s24, s7, s23
	s_cbranch_scc1 .LBB22_21
; %bb.2:
	s_load_dwordx4 s[12:15], s[4:5], 0x10
	s_load_dwordx2 s[6:7], s[4:5], 0x20
	v_ashrrev_i32_e32 v1, 31, v0
	v_lshlrev_b64 v[1:2], 2, v[0:1]
	s_lshl_b32 s27, s24, 2
	s_waitcnt lgkmcnt(0)
	v_mov_b32_e32 v3, s15
	v_add_co_u32_e32 v1, vcc, s14, v1
	v_addc_co_u32_e32 v2, vcc, v3, v2, vcc
	global_load_dword v16, v[1:2], off
	s_add_i32 s28, s27, s23
	s_add_i32 s29, s28, s23
	s_mul_i32 s25, s22, 3
	s_lshl_b32 s26, s22, 1
	v_add_u32_e32 v13, s22, v11
	s_add_i32 s30, s29, s23
	v_mov_b32_e32 v2, 0
	s_mov_b64 s[18:19], 0
	v_mov_b32_e32 v14, s7
	v_mov_b32_e32 v12, 0
	s_branch .LBB22_5
.LBB22_3:                               ;   in Loop: Header=BB22_5 Depth=1
	s_or_b64 exec, exec, s[4:5]
	v_fma_f32 v16, -v16, v22, v18
	v_mov_b32_e32 v1, s22
.LBB22_4:                               ;   in Loop: Header=BB22_5 Depth=1
	s_or_b64 exec, exec, s[2:3]
	v_add_u32_e32 v12, v1, v12
	v_cmp_le_i32_e32 vcc, s23, v12
	s_or_b64 s[18:19], vcc, s[18:19]
	s_andn2_b64 exec, exec, s[18:19]
	s_cbranch_execz .LBB22_20
.LBB22_5:                               ; =>This Inner Loop Header: Depth=1
	v_add_u32_e32 v9, v12, v0
	v_ashrrev_i32_e32 v10, 31, v9
	v_lshlrev_b64 v[3:4], 2, v[9:10]
	v_cmp_gt_u32_e64 s[0:1], s25, v12
	v_add_co_u32_e32 v5, vcc, s6, v3
	v_addc_co_u32_e32 v6, vcc, v14, v4, vcc
	global_load_dword v19, v[5:6], off
	v_mov_b32_e32 v15, 0
	s_and_saveexec_b64 s[2:3], s[0:1]
	s_cbranch_execz .LBB22_7
; %bb.6:                                ;   in Loop: Header=BB22_5 Depth=1
	v_add_u32_e32 v5, v11, v12
	v_ashrrev_i32_e32 v6, 31, v5
	v_lshlrev_b64 v[5:6], 2, v[5:6]
	v_mov_b32_e32 v1, s13
	v_add_co_u32_e32 v5, vcc, s12, v5
	v_addc_co_u32_e32 v6, vcc, v1, v6, vcc
	global_load_dword v15, v[5:6], off
.LBB22_7:                               ;   in Loop: Header=BB22_5 Depth=1
	s_or_b64 exec, exec, s[2:3]
	v_mov_b32_e32 v17, 0
	v_mov_b32_e32 v18, 0
	s_and_saveexec_b64 s[2:3], s[0:1]
	s_cbranch_execz .LBB22_9
; %bb.8:                                ;   in Loop: Header=BB22_5 Depth=1
	v_add_u32_e32 v5, v11, v12
	v_ashrrev_i32_e32 v6, 31, v5
	v_lshlrev_b64 v[5:6], 2, v[5:6]
	v_mov_b32_e32 v1, s15
	v_add_co_u32_e32 v5, vcc, s14, v5
	v_addc_co_u32_e32 v6, vcc, v1, v6, vcc
	global_load_dword v18, v[5:6], off
.LBB22_9:                               ;   in Loop: Header=BB22_5 Depth=1
	s_or_b64 exec, exec, s[2:3]
	s_and_saveexec_b64 s[2:3], s[0:1]
	s_cbranch_execz .LBB22_11
; %bb.10:                               ;   in Loop: Header=BB22_5 Depth=1
	v_add_u32_e32 v5, v11, v12
	v_ashrrev_i32_e32 v6, 31, v5
	v_lshlrev_b64 v[5:6], 2, v[5:6]
	v_mov_b32_e32 v1, s7
	v_add_co_u32_e32 v5, vcc, s6, v5
	v_addc_co_u32_e32 v6, vcc, v1, v6, vcc
	global_load_dword v17, v[5:6], off
.LBB22_11:                              ;   in Loop: Header=BB22_5 Depth=1
	s_or_b64 exec, exec, s[2:3]
	v_cmp_gt_u32_e64 s[2:3], s26, v12
	v_mov_b32_e32 v20, 0
	s_and_saveexec_b64 s[4:5], s[2:3]
	s_cbranch_execz .LBB22_13
; %bb.12:                               ;   in Loop: Header=BB22_5 Depth=1
	v_add_u32_e32 v5, v13, v12
	v_ashrrev_i32_e32 v6, 31, v5
	v_lshlrev_b64 v[5:6], 2, v[5:6]
	v_mov_b32_e32 v1, s13
	v_add_co_u32_e32 v5, vcc, s12, v5
	v_addc_co_u32_e32 v6, vcc, v1, v6, vcc
	global_load_dword v20, v[5:6], off
.LBB22_13:                              ;   in Loop: Header=BB22_5 Depth=1
	s_or_b64 exec, exec, s[4:5]
	v_mov_b32_e32 v1, s17
	v_add_co_u32_e32 v3, vcc, s16, v3
	v_addc_co_u32_e32 v4, vcc, v1, v4, vcc
	v_add_u32_e32 v1, s27, v9
	global_load_dword v22, v[3:4], off
	v_lshlrev_b64 v[3:4], 2, v[1:2]
	v_add_u32_e32 v1, s28, v9
	s_waitcnt vmcnt(2)
	v_mov_b32_e32 v21, s9
	v_add_co_u32_e32 v3, vcc, s8, v3
	v_lshlrev_b64 v[5:6], 2, v[1:2]
	v_addc_co_u32_e32 v4, vcc, v21, v4, vcc
	v_add_u32_e32 v1, s29, v9
	v_add_co_u32_e32 v5, vcc, s8, v5
	v_lshlrev_b64 v[7:8], 2, v[1:2]
	v_addc_co_u32_e32 v6, vcc, v21, v6, vcc
	v_add_u32_e32 v1, s30, v9
	v_add_co_u32_e32 v7, vcc, s8, v7
	v_lshlrev_b64 v[9:10], 2, v[1:2]
	v_addc_co_u32_e32 v8, vcc, v21, v8, vcc
	v_add_co_u32_e32 v9, vcc, s8, v9
	v_addc_co_u32_e32 v10, vcc, v21, v10, vcc
	global_load_dword v25, v[3:4], off
	global_load_dword v24, v[5:6], off
	;; [unrolled: 1-line block ×4, first 2 shown]
	v_cmp_ne_u32_e64 s[4:5], s25, v12
	s_waitcnt vmcnt(4)
	v_cmp_ne_u32_e32 vcc, 1, v22
	s_and_b64 s[4:5], s[4:5], vcc
	v_mul_f32_e32 v22, v19, v15
	s_and_saveexec_b64 s[20:21], s[4:5]
	s_xor_b64 s[4:5], exec, s[20:21]
	s_cbranch_execz .LBB22_17
; %bb.14:                               ;   in Loop: Header=BB22_5 Depth=1
	v_add_u32_e32 v34, v11, v12
	v_add_u32_e32 v1, s27, v34
	v_lshlrev_b64 v[26:27], 2, v[1:2]
	v_mov_b32_e32 v35, s9
	v_add_co_u32_e32 v28, vcc, s8, v26
	v_add_u32_e32 v1, s28, v34
	v_addc_co_u32_e32 v29, vcc, v35, v27, vcc
	v_lshlrev_b64 v[26:27], 2, v[1:2]
	v_add_u32_e32 v1, s29, v34
	v_add_co_u32_e32 v30, vcc, s8, v26
	v_addc_co_u32_e32 v31, vcc, v35, v27, vcc
	v_lshlrev_b64 v[26:27], 2, v[1:2]
	v_add_u32_e32 v1, s30, v34
	v_add_co_u32_e32 v32, vcc, s8, v26
	v_addc_co_u32_e32 v33, vcc, v35, v27, vcc
	v_lshlrev_b64 v[26:27], 2, v[1:2]
	v_fma_f32 v1, v16, v18, -v22
	v_div_scale_f32 v22, s[20:21], v1, v1, 1.0
	v_add_co_u32_e32 v34, vcc, s8, v26
	v_addc_co_u32_e32 v35, vcc, v35, v27, vcc
	v_rcp_f32_e32 v26, v22
	v_fma_f32 v27, -v22, v26, 1.0
	v_fmac_f32_e32 v26, v27, v26
	v_div_scale_f32 v27, vcc, 1.0, v1, 1.0
	v_mul_f32_e32 v36, v27, v26
	v_fma_f32 v37, -v22, v36, v27
	v_fmac_f32_e32 v36, v37, v26
	v_fma_f32 v22, -v22, v36, v27
	v_div_fmas_f32 v22, v22, v26, v36
	v_div_fixup_f32 v22, v22, v1, 1.0
	global_load_dword v1, v[28:29], off
	global_load_dword v27, v[30:31], off
	;; [unrolled: 1-line block ×4, first 2 shown]
	s_waitcnt vmcnt(7)
	v_mul_f32_e32 v25, v22, v25
	s_waitcnt vmcnt(6)
	v_mul_f32_e32 v24, v22, v24
	;; [unrolled: 2-line block ×3, first 2 shown]
	v_mul_f32_e32 v26, v22, v1
	v_mul_f32_e32 v1, v19, v26
	v_fma_f32 v1, v18, v25, -v1
	global_store_dword v[3:4], v1, off
	v_mul_f32_e32 v1, v19, v27
	v_fma_f32 v1, v18, v24, -v1
	s_waitcnt vmcnt(2)
	v_mul_f32_e32 v4, v22, v36
	global_store_dword v[5:6], v1, off
	v_mul_f32_e32 v3, v22, v23
	v_mul_f32_e32 v1, v19, v4
	v_fma_f32 v1, v18, v3, -v1
	s_waitcnt vmcnt(2)
	v_mul_f32_e32 v6, v22, v37
	global_store_dword v[7:8], v1, off
	v_mul_f32_e32 v5, v22, v21
	v_mul_f32_e32 v1, v19, v6
	v_fma_f32 v1, v18, v5, -v1
	global_store_dword v[9:10], v1, off
	v_mul_f32_e32 v1, v15, v25
	v_fma_f32 v1, v16, v26, -v1
	v_mul_f32_e32 v7, v15, v24
	global_store_dword v[28:29], v1, off
	v_mul_f32_e32 v1, v15, v3
	v_mul_f32_e32 v8, v15, v5
	v_fma_f32 v7, v16, v27, -v7
	v_fma_f32 v1, v16, v4, -v1
	;; [unrolled: 1-line block ×3, first 2 shown]
	global_store_dword v[30:31], v7, off
	global_store_dword v[32:33], v1, off
	global_store_dword v[34:35], v8, off
	v_mov_b32_e32 v1, 0
	s_and_saveexec_b64 s[20:21], s[2:3]
	s_cbranch_execz .LBB22_16
; %bb.15:                               ;   in Loop: Header=BB22_5 Depth=1
	v_add_u32_e32 v7, v13, v12
	v_add_u32_e32 v1, s27, v7
	v_lshlrev_b64 v[8:9], 2, v[1:2]
	v_mov_b32_e32 v10, s9
	v_add_co_u32_e32 v18, vcc, s8, v8
	v_add_u32_e32 v1, s28, v7
	v_addc_co_u32_e32 v19, vcc, v10, v9, vcc
	v_lshlrev_b64 v[8:9], 2, v[1:2]
	global_load_dword v23, v[18:19], off
	v_add_co_u32_e32 v28, vcc, s8, v8
	v_addc_co_u32_e32 v29, vcc, v10, v9, vcc
	global_load_dword v30, v[28:29], off
	v_mul_f32_e32 v32, v16, v20
	v_mul_f32_e32 v31, v15, v20
	;; [unrolled: 1-line block ×3, first 2 shown]
	v_fma_f32 v25, v31, v25, -v1
	v_add_u32_e32 v1, s29, v7
	v_lshlrev_b64 v[15:16], 2, v[1:2]
	v_add_u32_e32 v1, s30, v7
	v_lshlrev_b64 v[20:21], 2, v[1:2]
	v_add_co_u32_e32 v15, vcc, s8, v15
	v_mul_f32_e32 v9, v32, v27
	v_ashrrev_i32_e32 v8, 31, v7
	v_addc_co_u32_e32 v16, vcc, v10, v16, vcc
	v_fma_f32 v24, v31, v24, -v9
	v_lshlrev_b64 v[8:9], 2, v[7:8]
	v_add_co_u32_e32 v20, vcc, s8, v20
	v_addc_co_u32_e32 v21, vcc, v10, v21, vcc
	v_mov_b32_e32 v33, s15
	v_add_co_u32_e32 v7, vcc, s14, v8
	v_addc_co_u32_e32 v8, vcc, v33, v9, vcc
	v_mul_f32_e32 v4, v32, v4
	v_mul_f32_e32 v6, v32, v6
	v_fma_f32 v3, v31, v3, -v4
	v_fma_f32 v4, v31, v5, -v6
	s_waitcnt vmcnt(1)
	v_add_f32_e32 v1, v25, v23
	global_store_dword v[18:19], v1, off
	s_waitcnt vmcnt(1)
	v_add_f32_e32 v1, v24, v30
	global_store_dword v[28:29], v1, off
	global_load_dword v1, v[15:16], off
	s_nop 0
	global_load_dword v10, v[20:21], off
	s_waitcnt vmcnt(1)
	v_add_f32_e32 v1, v3, v1
	global_load_dword v7, v[7:8], off
	v_mul_f32_e32 v8, v17, v32
	global_store_dword v[15:16], v1, off
	s_waitcnt vmcnt(2)
	v_add_f32_e32 v1, v4, v10
	global_store_dword v[20:21], v1, off
	s_waitcnt vmcnt(2)
	v_fma_f32 v1, -v22, v8, v7
.LBB22_16:                              ;   in Loop: Header=BB22_5 Depth=1
	s_or_b64 exec, exec, s[20:21]
	v_mov_b32_e32 v16, v1
                                        ; implicit-def: $vgpr15
                                        ; implicit-def: $vgpr18
                                        ; implicit-def: $vgpr22
                                        ; implicit-def: $vgpr3_vgpr4
                                        ; implicit-def: $vgpr25
                                        ; implicit-def: $vgpr5_vgpr6
                                        ; implicit-def: $vgpr24
                                        ; implicit-def: $vgpr7_vgpr8
                                        ; implicit-def: $vgpr23
                                        ; implicit-def: $vgpr9_vgpr10
                                        ; implicit-def: $vgpr21
.LBB22_17:                              ;   in Loop: Header=BB22_5 Depth=1
	s_or_saveexec_b64 s[2:3], s[4:5]
	v_mov_b32_e32 v1, s26
	s_xor_b64 exec, exec, s[2:3]
	s_cbranch_execz .LBB22_4
; %bb.18:                               ;   in Loop: Header=BB22_5 Depth=1
	v_div_scale_f32 v1, s[4:5], v16, v16, 1.0
	v_div_scale_f32 v17, vcc, 1.0, v16, 1.0
	v_rcp_f32_e32 v19, v1
	v_fma_f32 v20, -v1, v19, 1.0
	v_fmac_f32_e32 v19, v20, v19
	v_mul_f32_e32 v20, v17, v19
	v_fma_f32 v26, -v1, v20, v17
	v_fmac_f32_e32 v20, v26, v19
	v_fma_f32 v1, -v1, v20, v17
	v_div_fmas_f32 v1, v1, v19, v20
	v_div_fixup_f32 v16, v1, v16, 1.0
	s_waitcnt vmcnt(3)
	v_mul_f32_e32 v25, v16, v25
	s_waitcnt vmcnt(2)
	v_mul_f32_e32 v20, v16, v24
	;; [unrolled: 2-line block ×4, first 2 shown]
	global_store_dword v[3:4], v25, off
	global_store_dword v[5:6], v20, off
	;; [unrolled: 1-line block ×4, first 2 shown]
	s_and_saveexec_b64 s[4:5], s[0:1]
	s_cbranch_execz .LBB22_3
; %bb.19:                               ;   in Loop: Header=BB22_5 Depth=1
	v_add_u32_e32 v9, v11, v12
	v_add_u32_e32 v1, s27, v9
	v_lshlrev_b64 v[3:4], 2, v[1:2]
	v_add_u32_e32 v1, s28, v9
	v_mov_b32_e32 v21, s9
	v_add_co_u32_e32 v3, vcc, s8, v3
	v_lshlrev_b64 v[5:6], 2, v[1:2]
	v_addc_co_u32_e32 v4, vcc, v21, v4, vcc
	v_add_co_u32_e32 v5, vcc, s8, v5
	global_load_dword v23, v[3:4], off
	v_addc_co_u32_e32 v6, vcc, v21, v6, vcc
	global_load_dword v24, v[5:6], off
	v_add_u32_e32 v1, s29, v9
	v_lshlrev_b64 v[7:8], 2, v[1:2]
	v_add_u32_e32 v1, s30, v9
	v_lshlrev_b64 v[9:10], 2, v[1:2]
	v_add_co_u32_e32 v7, vcc, s8, v7
	v_addc_co_u32_e32 v8, vcc, v21, v8, vcc
	v_add_co_u32_e32 v9, vcc, s8, v9
	v_addc_co_u32_e32 v10, vcc, v21, v10, vcc
	s_waitcnt vmcnt(1)
	v_fma_f32 v1, -v15, v25, v23
	global_store_dword v[3:4], v1, off
	global_load_dword v3, v[7:8], off
	s_waitcnt vmcnt(2)
	v_fma_f32 v1, -v15, v20, v24
	global_store_dword v[5:6], v1, off
	global_load_dword v1, v[9:10], off
	s_waitcnt vmcnt(2)
	v_fma_f32 v3, -v15, v19, v3
	global_store_dword v[7:8], v3, off
	s_waitcnt vmcnt(1)
	v_fma_f32 v1, -v15, v17, v1
	global_store_dword v[9:10], v1, off
	s_branch .LBB22_3
.LBB22_20:
	s_or_b64 exec, exec, s[18:19]
	s_branch .LBB22_22
.LBB22_21:
	v_mov_b32_e32 v12, 0
.LBB22_22:
	v_subrev_u32_e32 v3, s22, v12
	v_add_u32_e32 v1, v3, v0
	v_ashrrev_i32_e32 v2, 31, v1
	v_lshlrev_b64 v[1:2], 2, v[1:2]
	s_waitcnt lgkmcnt(0)
	v_mov_b32_e32 v4, s17
	v_add_co_u32_e32 v1, vcc, s16, v1
	v_addc_co_u32_e32 v2, vcc, v4, v2, vcc
	s_waitcnt vmcnt(0)
	buffer_wbinvl1_vol
	global_load_dword v1, v[1:2], off
	s_waitcnt vmcnt(0)
	v_mul_lo_u32 v1, v1, s22
	v_sub_u32_e32 v5, v3, v1
	v_cmp_lt_i32_e32 vcc, -1, v5
	s_and_b64 exec, exec, vcc
	s_cbranch_execz .LBB22_29
; %bb.23:
	s_lshl_b32 s4, s24, 2
	s_add_i32 s5, s4, s23
	s_add_i32 s6, s5, s23
	s_add_i32 s7, s6, s23
	s_lshl_b32 s12, s22, 1
	s_mov_b64 s[0:1], 0
	v_mov_b32_e32 v6, s17
	v_mov_b32_e32 v7, s11
	;; [unrolled: 1-line block ×3, first 2 shown]
	s_branch .LBB22_25
.LBB22_24:                              ;   in Loop: Header=BB22_25 Depth=1
	s_or_b64 exec, exec, s[2:3]
	v_sub_u32_e32 v5, v5, v1
	v_cmp_gt_i32_e32 vcc, 0, v5
	s_or_b64 s[0:1], vcc, s[0:1]
	s_andn2_b64 exec, exec, s[0:1]
	s_cbranch_execz .LBB22_29
.LBB22_25:                              ; =>This Inner Loop Header: Depth=1
	v_add_u32_e32 v3, v5, v0
	s_waitcnt vmcnt(0)
	v_ashrrev_i32_e32 v4, 31, v3
	v_lshlrev_b64 v[8:9], 2, v[3:4]
	v_add_co_u32_e32 v12, vcc, s16, v8
	v_addc_co_u32_e32 v13, vcc, v6, v9, vcc
	v_add_co_u32_e32 v8, vcc, s10, v8
	global_load_dword v1, v[12:13], off
	v_addc_co_u32_e32 v9, vcc, v7, v9, vcc
	global_load_dword v4, v[8:9], off
	s_waitcnt vmcnt(1)
	v_cmp_ne_u32_e32 vcc, 1, v1
	s_and_saveexec_b64 s[2:3], vcc
	s_xor_b64 s[2:3], exec, s[2:3]
	s_cbranch_execz .LBB22_27
; %bb.26:                               ;   in Loop: Header=BB22_25 Depth=1
	v_add_u32_e32 v10, v11, v5
	v_add_u32_e32 v1, s4, v10
	v_lshlrev_b64 v[8:9], 2, v[1:2]
	v_mov_b32_e32 v1, s9
	v_add_co_u32_e32 v8, vcc, s8, v8
	v_addc_co_u32_e32 v9, vcc, v1, v9, vcc
	v_add_u32_e32 v1, s5, v10
	v_lshlrev_b64 v[12:13], 2, v[1:2]
	v_add_u32_e32 v1, s6, v10
	v_lshlrev_b64 v[14:15], 2, v[1:2]
	;; [unrolled: 2-line block ×4, first 2 shown]
	v_mov_b32_e32 v1, s9
	v_add_co_u32_e32 v18, vcc, s8, v18
	v_addc_co_u32_e32 v19, vcc, v1, v19, vcc
	global_load_dword v10, v[8:9], off
	global_load_dword v20, v[18:19], off
	v_add_co_u32_e32 v8, vcc, s8, v12
	v_addc_co_u32_e32 v9, vcc, v1, v13, vcc
	v_mov_b32_e32 v21, s9
	v_add_co_u32_e32 v12, vcc, s8, v14
	v_addc_co_u32_e32 v13, vcc, v21, v15, vcc
	v_mov_b32_e32 v22, s9
	v_add_co_u32_e32 v14, vcc, s8, v16
	v_add_u32_e32 v1, s5, v3
	v_addc_co_u32_e32 v15, vcc, v22, v17, vcc
	global_load_dword v16, v[8:9], off
	global_load_dword v17, v[12:13], off
	;; [unrolled: 1-line block ×3, first 2 shown]
	v_lshlrev_b64 v[8:9], 2, v[1:2]
	v_mov_b32_e32 v12, s9
	v_add_co_u32_e32 v8, vcc, s8, v8
	v_addc_co_u32_e32 v9, vcc, v12, v9, vcc
	v_mov_b32_e32 v15, s9
	s_waitcnt vmcnt(3)
	v_fma_f32 v1, -v4, v10, v20
	global_store_dword v[18:19], v1, off
	global_load_dword v14, v[8:9], off
	v_add_u32_e32 v1, s6, v3
	v_lshlrev_b64 v[12:13], 2, v[1:2]
	v_add_co_u32_e32 v12, vcc, s8, v12
	v_addc_co_u32_e32 v13, vcc, v15, v13, vcc
	s_waitcnt vmcnt(0)
	v_fma_f32 v1, -v4, v16, v14
	global_store_dword v[8:9], v1, off
	global_load_dword v14, v[12:13], off
	v_add_u32_e32 v1, s7, v3
	v_lshlrev_b64 v[8:9], 2, v[1:2]
	v_add_co_u32_e32 v8, vcc, s8, v8
	v_addc_co_u32_e32 v9, vcc, v15, v9, vcc
	s_waitcnt vmcnt(0)
	v_fma_f32 v1, -v4, v17, v14
	global_store_dword v[12:13], v1, off
	global_load_dword v3, v[8:9], off
	v_subrev_u32_e32 v1, s22, v5
	v_add_u32_e32 v12, v1, v0
	v_ashrrev_i32_e32 v13, 31, v12
	v_lshlrev_b64 v[13:14], 2, v[12:13]
	v_add_u32_e32 v1, s4, v12
	v_add_co_u32_e32 v13, vcc, s10, v13
	v_addc_co_u32_e32 v14, vcc, v7, v14, vcc
	global_load_dword v18, v[13:14], off
	v_lshlrev_b64 v[13:14], 2, v[1:2]
	v_add_co_u32_e32 v13, vcc, s8, v13
	v_addc_co_u32_e32 v14, vcc, v15, v14, vcc
	s_waitcnt vmcnt(1)
	v_fma_f32 v1, -v4, v21, v3
	global_store_dword v[8:9], v1, off
	global_load_dword v8, v[13:14], off
	v_add_u32_e32 v1, s5, v12
	v_lshlrev_b64 v[3:4], 2, v[1:2]
	v_mov_b32_e32 v9, s9
	v_add_co_u32_e32 v3, vcc, s8, v3
	v_addc_co_u32_e32 v4, vcc, v9, v4, vcc
	s_waitcnt vmcnt(0)
	v_fma_f32 v1, -v18, v10, v8
	global_store_dword v[13:14], v1, off
	global_load_dword v10, v[3:4], off
	v_add_u32_e32 v1, s6, v12
	v_lshlrev_b64 v[8:9], 2, v[1:2]
	v_mov_b32_e32 v13, s9
	v_add_co_u32_e32 v8, vcc, s8, v8
	v_addc_co_u32_e32 v9, vcc, v13, v9, vcc
	s_waitcnt vmcnt(0)
	v_fma_f32 v1, -v18, v16, v10
	global_store_dword v[3:4], v1, off
	global_load_dword v10, v[8:9], off
	v_add_u32_e32 v1, s7, v12
	v_lshlrev_b64 v[3:4], 2, v[1:2]
	v_add_co_u32_e32 v3, vcc, s8, v3
	v_addc_co_u32_e32 v4, vcc, v13, v4, vcc
	s_waitcnt vmcnt(0)
	v_fma_f32 v1, -v18, v17, v10
	global_store_dword v[8:9], v1, off
	global_load_dword v1, v[3:4], off
	s_waitcnt vmcnt(0)
	v_fma_f32 v1, -v18, v21, v1
	global_store_dword v[3:4], v1, off
                                        ; implicit-def: $vgpr3
                                        ; implicit-def: $vgpr4
.LBB22_27:                              ;   in Loop: Header=BB22_25 Depth=1
	s_or_saveexec_b64 s[2:3], s[2:3]
	v_mov_b32_e32 v1, s12
	s_xor_b64 exec, exec, s[2:3]
	s_cbranch_execz .LBB22_24
; %bb.28:                               ;   in Loop: Header=BB22_25 Depth=1
	v_add_u32_e32 v10, v11, v5
	v_add_u32_e32 v1, s4, v10
	v_lshlrev_b64 v[8:9], 2, v[1:2]
	v_mov_b32_e32 v1, s9
	v_add_co_u32_e32 v8, vcc, s8, v8
	v_addc_co_u32_e32 v9, vcc, v1, v9, vcc
	v_add_u32_e32 v1, s4, v3
	v_lshlrev_b64 v[12:13], 2, v[1:2]
	v_mov_b32_e32 v1, s9
	v_add_co_u32_e32 v12, vcc, s8, v12
	v_addc_co_u32_e32 v13, vcc, v1, v13, vcc
	global_load_dword v16, v[8:9], off
	global_load_dword v17, v[12:13], off
	v_add_u32_e32 v1, s5, v10
	v_lshlrev_b64 v[8:9], 2, v[1:2]
	v_add_u32_e32 v1, s5, v3
	v_mov_b32_e32 v18, s9
	v_lshlrev_b64 v[14:15], 2, v[1:2]
	v_add_co_u32_e32 v8, vcc, s8, v8
	v_addc_co_u32_e32 v9, vcc, v18, v9, vcc
	v_mov_b32_e32 v19, s9
	v_add_co_u32_e32 v14, vcc, s8, v14
	v_addc_co_u32_e32 v15, vcc, v19, v15, vcc
	s_waitcnt vmcnt(0)
	v_fma_f32 v1, -v4, v16, v17
	global_store_dword v[12:13], v1, off
	global_load_dword v16, v[8:9], off
	global_load_dword v17, v[14:15], off
	v_add_u32_e32 v1, s6, v10
	v_lshlrev_b64 v[8:9], 2, v[1:2]
	v_add_u32_e32 v1, s6, v3
	v_lshlrev_b64 v[12:13], 2, v[1:2]
	v_add_co_u32_e32 v8, vcc, s8, v8
	v_addc_co_u32_e32 v9, vcc, v18, v9, vcc
	v_add_co_u32_e32 v12, vcc, s8, v12
	v_addc_co_u32_e32 v13, vcc, v19, v13, vcc
	s_waitcnt vmcnt(0)
	v_fma_f32 v1, -v4, v16, v17
	global_store_dword v[14:15], v1, off
	global_load_dword v16, v[8:9], off
	global_load_dword v17, v[12:13], off
	v_add_u32_e32 v1, s7, v10
	v_lshlrev_b64 v[8:9], 2, v[1:2]
	v_add_u32_e32 v1, s7, v3
	v_lshlrev_b64 v[14:15], 2, v[1:2]
	v_add_co_u32_e32 v8, vcc, s8, v8
	v_addc_co_u32_e32 v9, vcc, v18, v9, vcc
	v_add_co_u32_e32 v14, vcc, s8, v14
	v_addc_co_u32_e32 v15, vcc, v19, v15, vcc
	s_waitcnt vmcnt(0)
	v_fma_f32 v1, -v4, v16, v17
	global_store_dword v[12:13], v1, off
	global_load_dword v1, v[8:9], off
	s_nop 0
	global_load_dword v3, v[14:15], off
	s_waitcnt vmcnt(0)
	v_fma_f32 v1, -v4, v1, v3
	global_store_dword v[14:15], v1, off
	v_mov_b32_e32 v1, s22
	s_branch .LBB22_24
.LBB22_29:
	s_endpgm
	.section	.rodata,"a",@progbits
	.p2align	6, 0x0
	.amdhsa_kernel _ZN9rocsparseL19gtsv_LBM_rhs_kernelILj256ELj4ELj4EfEEviiiPKT2_S3_S3_PS1_S3_PKi
		.amdhsa_group_segment_fixed_size 0
		.amdhsa_private_segment_fixed_size 0
		.amdhsa_kernarg_size 64
		.amdhsa_user_sgpr_count 6
		.amdhsa_user_sgpr_private_segment_buffer 1
		.amdhsa_user_sgpr_dispatch_ptr 0
		.amdhsa_user_sgpr_queue_ptr 0
		.amdhsa_user_sgpr_kernarg_segment_ptr 1
		.amdhsa_user_sgpr_dispatch_id 0
		.amdhsa_user_sgpr_flat_scratch_init 0
		.amdhsa_user_sgpr_private_segment_size 0
		.amdhsa_uses_dynamic_stack 0
		.amdhsa_system_sgpr_private_segment_wavefront_offset 0
		.amdhsa_system_sgpr_workgroup_id_x 1
		.amdhsa_system_sgpr_workgroup_id_y 1
		.amdhsa_system_sgpr_workgroup_id_z 0
		.amdhsa_system_sgpr_workgroup_info 0
		.amdhsa_system_vgpr_workitem_id 0
		.amdhsa_next_free_vgpr 38
		.amdhsa_next_free_sgpr 31
		.amdhsa_reserve_vcc 1
		.amdhsa_reserve_flat_scratch 0
		.amdhsa_float_round_mode_32 0
		.amdhsa_float_round_mode_16_64 0
		.amdhsa_float_denorm_mode_32 3
		.amdhsa_float_denorm_mode_16_64 3
		.amdhsa_dx10_clamp 1
		.amdhsa_ieee_mode 1
		.amdhsa_fp16_overflow 0
		.amdhsa_exception_fp_ieee_invalid_op 0
		.amdhsa_exception_fp_denorm_src 0
		.amdhsa_exception_fp_ieee_div_zero 0
		.amdhsa_exception_fp_ieee_overflow 0
		.amdhsa_exception_fp_ieee_underflow 0
		.amdhsa_exception_fp_ieee_inexact 0
		.amdhsa_exception_int_div_zero 0
	.end_amdhsa_kernel
	.section	.text._ZN9rocsparseL19gtsv_LBM_rhs_kernelILj256ELj4ELj4EfEEviiiPKT2_S3_S3_PS1_S3_PKi,"axG",@progbits,_ZN9rocsparseL19gtsv_LBM_rhs_kernelILj256ELj4ELj4EfEEviiiPKT2_S3_S3_PS1_S3_PKi,comdat
.Lfunc_end22:
	.size	_ZN9rocsparseL19gtsv_LBM_rhs_kernelILj256ELj4ELj4EfEEviiiPKT2_S3_S3_PS1_S3_PKi, .Lfunc_end22-_ZN9rocsparseL19gtsv_LBM_rhs_kernelILj256ELj4ELj4EfEEviiiPKT2_S3_S3_PS1_S3_PKi
                                        ; -- End function
	.set _ZN9rocsparseL19gtsv_LBM_rhs_kernelILj256ELj4ELj4EfEEviiiPKT2_S3_S3_PS1_S3_PKi.num_vgpr, 38
	.set _ZN9rocsparseL19gtsv_LBM_rhs_kernelILj256ELj4ELj4EfEEviiiPKT2_S3_S3_PS1_S3_PKi.num_agpr, 0
	.set _ZN9rocsparseL19gtsv_LBM_rhs_kernelILj256ELj4ELj4EfEEviiiPKT2_S3_S3_PS1_S3_PKi.numbered_sgpr, 31
	.set _ZN9rocsparseL19gtsv_LBM_rhs_kernelILj256ELj4ELj4EfEEviiiPKT2_S3_S3_PS1_S3_PKi.num_named_barrier, 0
	.set _ZN9rocsparseL19gtsv_LBM_rhs_kernelILj256ELj4ELj4EfEEviiiPKT2_S3_S3_PS1_S3_PKi.private_seg_size, 0
	.set _ZN9rocsparseL19gtsv_LBM_rhs_kernelILj256ELj4ELj4EfEEviiiPKT2_S3_S3_PS1_S3_PKi.uses_vcc, 1
	.set _ZN9rocsparseL19gtsv_LBM_rhs_kernelILj256ELj4ELj4EfEEviiiPKT2_S3_S3_PS1_S3_PKi.uses_flat_scratch, 0
	.set _ZN9rocsparseL19gtsv_LBM_rhs_kernelILj256ELj4ELj4EfEEviiiPKT2_S3_S3_PS1_S3_PKi.has_dyn_sized_stack, 0
	.set _ZN9rocsparseL19gtsv_LBM_rhs_kernelILj256ELj4ELj4EfEEviiiPKT2_S3_S3_PS1_S3_PKi.has_recursion, 0
	.set _ZN9rocsparseL19gtsv_LBM_rhs_kernelILj256ELj4ELj4EfEEviiiPKT2_S3_S3_PS1_S3_PKi.has_indirect_call, 0
	.section	.AMDGPU.csdata,"",@progbits
; Kernel info:
; codeLenInByte = 2884
; TotalNumSgprs: 35
; NumVgprs: 38
; ScratchSize: 0
; MemoryBound: 0
; FloatMode: 240
; IeeeMode: 1
; LDSByteSize: 0 bytes/workgroup (compile time only)
; SGPRBlocks: 4
; VGPRBlocks: 9
; NumSGPRsForWavesPerEU: 35
; NumVGPRsForWavesPerEU: 38
; Occupancy: 6
; WaveLimiterHint : 0
; COMPUTE_PGM_RSRC2:SCRATCH_EN: 0
; COMPUTE_PGM_RSRC2:USER_SGPR: 6
; COMPUTE_PGM_RSRC2:TRAP_HANDLER: 0
; COMPUTE_PGM_RSRC2:TGID_X_EN: 1
; COMPUTE_PGM_RSRC2:TGID_Y_EN: 1
; COMPUTE_PGM_RSRC2:TGID_Z_EN: 0
; COMPUTE_PGM_RSRC2:TIDIG_COMP_CNT: 0
	.section	.text._ZN9rocsparseL19gtsv_LBM_rhs_kernelILj256ELj4ELj2EfEEviiiPKT2_S3_S3_PS1_S3_PKi,"axG",@progbits,_ZN9rocsparseL19gtsv_LBM_rhs_kernelILj256ELj4ELj2EfEEviiiPKT2_S3_S3_PS1_S3_PKi,comdat
	.globl	_ZN9rocsparseL19gtsv_LBM_rhs_kernelILj256ELj4ELj2EfEEviiiPKT2_S3_S3_PS1_S3_PKi ; -- Begin function _ZN9rocsparseL19gtsv_LBM_rhs_kernelILj256ELj4ELj2EfEEviiiPKT2_S3_S3_PS1_S3_PKi
	.p2align	8
	.type	_ZN9rocsparseL19gtsv_LBM_rhs_kernelILj256ELj4ELj2EfEEviiiPKT2_S3_S3_PS1_S3_PKi,@function
_ZN9rocsparseL19gtsv_LBM_rhs_kernelILj256ELj4ELj2EfEEviiiPKT2_S3_S3_PS1_S3_PKi: ; @_ZN9rocsparseL19gtsv_LBM_rhs_kernelILj256ELj4ELj2EfEEviiiPKT2_S3_S3_PS1_S3_PKi
; %bb.0:
	s_load_dword s23, s[4:5], 0x0
	v_lshl_or_b32 v0, s6, 8, v0
	s_waitcnt lgkmcnt(0)
	s_lshr_b32 s22, s23, 2
	v_cmp_gt_i32_e32 vcc, s22, v0
	s_and_saveexec_b64 s[0:1], vcc
	s_cbranch_execz .LBB23_29
; %bb.1:
	s_load_dwordx4 s[8:11], s[4:5], 0x28
	s_load_dwordx2 s[16:17], s[4:5], 0x38
	s_cmp_lt_i32 s23, 1
	v_add_u32_e32 v7, s22, v0
	s_mul_i32 s24, s7, s23
	s_cbranch_scc1 .LBB23_21
; %bb.2:
	s_load_dwordx4 s[12:15], s[4:5], 0x10
	s_load_dwordx2 s[6:7], s[4:5], 0x20
	v_ashrrev_i32_e32 v1, 31, v0
	v_lshlrev_b64 v[1:2], 2, v[0:1]
	s_lshl_b32 s27, s24, 1
	s_waitcnt lgkmcnt(0)
	v_mov_b32_e32 v3, s15
	v_add_co_u32_e32 v1, vcc, s14, v1
	v_addc_co_u32_e32 v2, vcc, v3, v2, vcc
	global_load_dword v11, v[1:2], off
	s_mul_i32 s25, s22, 3
	s_lshl_b32 s26, s22, 1
	v_add_u32_e32 v9, s22, v7
	s_add_i32 s28, s27, s23
	v_mov_b32_e32 v2, 0
	s_mov_b64 s[18:19], 0
	v_mov_b32_e32 v10, s7
	v_mov_b32_e32 v8, 0
	s_branch .LBB23_5
.LBB23_3:                               ;   in Loop: Header=BB23_5 Depth=1
	s_or_b64 exec, exec, s[4:5]
	v_fma_f32 v11, -v11, v18, v14
	v_mov_b32_e32 v1, s22
.LBB23_4:                               ;   in Loop: Header=BB23_5 Depth=1
	s_or_b64 exec, exec, s[2:3]
	v_add_u32_e32 v8, v1, v8
	v_cmp_le_i32_e32 vcc, s23, v8
	s_or_b64 s[18:19], vcc, s[18:19]
	s_andn2_b64 exec, exec, s[18:19]
	s_cbranch_execz .LBB23_20
.LBB23_5:                               ; =>This Inner Loop Header: Depth=1
	v_add_u32_e32 v3, v8, v0
	v_ashrrev_i32_e32 v4, 31, v3
	v_lshlrev_b64 v[4:5], 2, v[3:4]
	v_cmp_gt_u32_e64 s[0:1], s25, v8
	v_add_co_u32_e32 v12, vcc, s6, v4
	v_addc_co_u32_e32 v13, vcc, v10, v5, vcc
	global_load_dword v16, v[12:13], off
	v_mov_b32_e32 v12, 0
	s_and_saveexec_b64 s[2:3], s[0:1]
	s_cbranch_execz .LBB23_7
; %bb.6:                                ;   in Loop: Header=BB23_5 Depth=1
	v_add_u32_e32 v12, v7, v8
	v_ashrrev_i32_e32 v13, 31, v12
	v_lshlrev_b64 v[12:13], 2, v[12:13]
	v_mov_b32_e32 v1, s13
	v_add_co_u32_e32 v12, vcc, s12, v12
	v_addc_co_u32_e32 v13, vcc, v1, v13, vcc
	global_load_dword v12, v[12:13], off
.LBB23_7:                               ;   in Loop: Header=BB23_5 Depth=1
	s_or_b64 exec, exec, s[2:3]
	v_mov_b32_e32 v13, 0
	v_mov_b32_e32 v14, 0
	s_and_saveexec_b64 s[2:3], s[0:1]
	s_cbranch_execz .LBB23_9
; %bb.8:                                ;   in Loop: Header=BB23_5 Depth=1
	v_add_u32_e32 v14, v7, v8
	v_ashrrev_i32_e32 v15, 31, v14
	v_lshlrev_b64 v[14:15], 2, v[14:15]
	v_mov_b32_e32 v1, s15
	v_add_co_u32_e32 v14, vcc, s14, v14
	v_addc_co_u32_e32 v15, vcc, v1, v15, vcc
	global_load_dword v14, v[14:15], off
.LBB23_9:                               ;   in Loop: Header=BB23_5 Depth=1
	s_or_b64 exec, exec, s[2:3]
	s_and_saveexec_b64 s[2:3], s[0:1]
	s_cbranch_execz .LBB23_11
; %bb.10:                               ;   in Loop: Header=BB23_5 Depth=1
	s_waitcnt vmcnt(1)
	v_add_u32_e32 v17, v7, v8
	v_ashrrev_i32_e32 v18, 31, v17
	v_lshlrev_b64 v[17:18], 2, v[17:18]
	v_mov_b32_e32 v1, s7
	v_add_co_u32_e32 v17, vcc, s6, v17
	v_addc_co_u32_e32 v18, vcc, v1, v18, vcc
	global_load_dword v13, v[17:18], off
.LBB23_11:                              ;   in Loop: Header=BB23_5 Depth=1
	s_or_b64 exec, exec, s[2:3]
	v_cmp_gt_u32_e64 s[2:3], s26, v8
	v_mov_b32_e32 v15, 0
	s_and_saveexec_b64 s[4:5], s[2:3]
	s_cbranch_execz .LBB23_13
; %bb.12:                               ;   in Loop: Header=BB23_5 Depth=1
	s_waitcnt vmcnt(1)
	v_add_u32_e32 v17, v9, v8
	v_ashrrev_i32_e32 v18, 31, v17
	v_lshlrev_b64 v[17:18], 2, v[17:18]
	v_mov_b32_e32 v1, s13
	v_add_co_u32_e32 v17, vcc, s12, v17
	v_addc_co_u32_e32 v18, vcc, v1, v18, vcc
	global_load_dword v15, v[17:18], off
.LBB23_13:                              ;   in Loop: Header=BB23_5 Depth=1
	s_or_b64 exec, exec, s[4:5]
	v_mov_b32_e32 v1, s17
	v_add_co_u32_e32 v4, vcc, s16, v4
	v_addc_co_u32_e32 v5, vcc, v1, v5, vcc
	v_add_u32_e32 v1, s27, v3
	global_load_dword v18, v[4:5], off
	v_lshlrev_b64 v[5:6], 2, v[1:2]
	v_add_u32_e32 v1, s28, v3
	s_waitcnt vmcnt(2)
	v_mov_b32_e32 v17, s9
	v_add_co_u32_e32 v5, vcc, s8, v5
	v_lshlrev_b64 v[3:4], 2, v[1:2]
	v_addc_co_u32_e32 v6, vcc, v17, v6, vcc
	v_add_co_u32_e32 v3, vcc, s8, v3
	v_addc_co_u32_e32 v4, vcc, v17, v4, vcc
	global_load_dword v19, v[5:6], off
	global_load_dword v17, v[3:4], off
	v_cmp_ne_u32_e64 s[4:5], s25, v8
	s_waitcnt vmcnt(2)
	v_cmp_ne_u32_e32 vcc, 1, v18
	s_and_b64 s[4:5], s[4:5], vcc
	v_mul_f32_e32 v18, v16, v12
	s_and_saveexec_b64 s[20:21], s[4:5]
	s_xor_b64 s[4:5], exec, s[20:21]
	s_cbranch_execz .LBB23_17
; %bb.14:                               ;   in Loop: Header=BB23_5 Depth=1
	v_add_u32_e32 v24, v7, v8
	v_add_u32_e32 v1, s27, v24
	v_lshlrev_b64 v[20:21], 2, v[1:2]
	v_mov_b32_e32 v25, s9
	v_add_co_u32_e32 v22, vcc, s8, v20
	v_add_u32_e32 v1, s28, v24
	v_addc_co_u32_e32 v23, vcc, v25, v21, vcc
	v_lshlrev_b64 v[20:21], 2, v[1:2]
	v_fma_f32 v1, v11, v14, -v18
	v_div_scale_f32 v18, s[20:21], v1, v1, 1.0
	v_add_co_u32_e32 v24, vcc, s8, v20
	v_addc_co_u32_e32 v25, vcc, v25, v21, vcc
	v_rcp_f32_e32 v20, v18
	v_fma_f32 v21, -v18, v20, 1.0
	v_fmac_f32_e32 v20, v21, v20
	v_div_scale_f32 v21, vcc, 1.0, v1, 1.0
	v_mul_f32_e32 v26, v21, v20
	v_fma_f32 v27, -v18, v26, v21
	v_fmac_f32_e32 v26, v27, v20
	v_fma_f32 v18, -v18, v26, v21
	v_div_fmas_f32 v18, v18, v20, v26
	global_load_dword v21, v[24:25], off
	v_div_fixup_f32 v18, v18, v1, 1.0
	global_load_dword v1, v[22:23], off
	s_waitcnt vmcnt(3)
	v_mul_f32_e32 v19, v18, v19
	s_waitcnt vmcnt(0)
	v_mul_f32_e32 v20, v18, v1
	v_mul_f32_e32 v1, v16, v20
	v_fma_f32 v1, v14, v19, -v1
	global_store_dword v[5:6], v1, off
	v_mul_f32_e32 v6, v18, v21
	v_mul_f32_e32 v5, v18, v17
	;; [unrolled: 1-line block ×3, first 2 shown]
	v_fma_f32 v1, v14, v5, -v1
	global_store_dword v[3:4], v1, off
	v_mul_f32_e32 v1, v12, v19
	v_fma_f32 v1, v11, v20, -v1
	global_store_dword v[22:23], v1, off
	v_mul_f32_e32 v1, v12, v5
	v_fma_f32 v1, v11, v6, -v1
	global_store_dword v[24:25], v1, off
	v_mov_b32_e32 v1, 0
	s_and_saveexec_b64 s[20:21], s[2:3]
	s_cbranch_execz .LBB23_16
; %bb.15:                               ;   in Loop: Header=BB23_5 Depth=1
	v_add_u32_e32 v3, v9, v8
	v_add_u32_e32 v1, s27, v3
	v_lshlrev_b64 v[16:17], 2, v[1:2]
	v_add_u32_e32 v1, s28, v3
	v_mov_b32_e32 v4, s9
	v_add_co_u32_e32 v16, vcc, s8, v16
	v_lshlrev_b64 v[21:22], 2, v[1:2]
	v_addc_co_u32_e32 v17, vcc, v4, v17, vcc
	v_add_co_u32_e32 v21, vcc, s8, v21
	v_addc_co_u32_e32 v22, vcc, v4, v22, vcc
	v_ashrrev_i32_e32 v4, 31, v3
	v_lshlrev_b64 v[3:4], 2, v[3:4]
	v_mov_b32_e32 v23, s15
	v_add_co_u32_e32 v3, vcc, s14, v3
	global_load_dword v1, v[16:17], off
	global_load_dword v14, v[21:22], off
	v_addc_co_u32_e32 v4, vcc, v23, v4, vcc
	global_load_dword v3, v[3:4], off
	v_mul_f32_e32 v11, v11, v15
	v_mul_f32_e32 v4, v12, v15
	;; [unrolled: 1-line block ×4, first 2 shown]
	v_fma_f32 v12, v4, v19, -v12
	v_fma_f32 v4, v4, v5, -v6
	v_mul_f32_e32 v11, v13, v11
	s_waitcnt vmcnt(2)
	v_add_f32_e32 v1, v12, v1
	global_store_dword v[16:17], v1, off
	s_waitcnt vmcnt(2)
	v_add_f32_e32 v1, v4, v14
	global_store_dword v[21:22], v1, off
	s_waitcnt vmcnt(2)
	v_fma_f32 v1, -v18, v11, v3
.LBB23_16:                              ;   in Loop: Header=BB23_5 Depth=1
	s_or_b64 exec, exec, s[20:21]
	v_mov_b32_e32 v11, v1
                                        ; implicit-def: $vgpr18
                                        ; implicit-def: $vgpr14
                                        ; implicit-def: $vgpr19
                                        ; implicit-def: $vgpr17
                                        ; implicit-def: $vgpr5_vgpr6
                                        ; implicit-def: $vgpr3_vgpr4
                                        ; implicit-def: $vgpr12
.LBB23_17:                              ;   in Loop: Header=BB23_5 Depth=1
	s_or_saveexec_b64 s[2:3], s[4:5]
	v_mov_b32_e32 v1, s26
	s_xor_b64 exec, exec, s[2:3]
	s_cbranch_execz .LBB23_4
; %bb.18:                               ;   in Loop: Header=BB23_5 Depth=1
	v_div_scale_f32 v1, s[4:5], v11, v11, 1.0
	v_div_scale_f32 v13, vcc, 1.0, v11, 1.0
	v_rcp_f32_e32 v15, v1
	v_fma_f32 v16, -v1, v15, 1.0
	v_fmac_f32_e32 v15, v16, v15
	v_mul_f32_e32 v16, v13, v15
	v_fma_f32 v20, -v1, v16, v13
	v_fmac_f32_e32 v16, v20, v15
	v_fma_f32 v1, -v1, v16, v13
	v_div_fmas_f32 v1, v1, v15, v16
	v_div_fixup_f32 v11, v1, v11, 1.0
	s_waitcnt vmcnt(1)
	v_mul_f32_e32 v15, v11, v19
	s_waitcnt vmcnt(0)
	v_mul_f32_e32 v13, v11, v17
	global_store_dword v[5:6], v15, off
	global_store_dword v[3:4], v13, off
	s_and_saveexec_b64 s[4:5], s[0:1]
	s_cbranch_execz .LBB23_3
; %bb.19:                               ;   in Loop: Header=BB23_5 Depth=1
	v_add_u32_e32 v5, v7, v8
	v_add_u32_e32 v1, s27, v5
	v_lshlrev_b64 v[3:4], 2, v[1:2]
	v_add_u32_e32 v1, s28, v5
	v_mov_b32_e32 v16, s9
	v_add_co_u32_e32 v3, vcc, s8, v3
	v_lshlrev_b64 v[5:6], 2, v[1:2]
	v_addc_co_u32_e32 v4, vcc, v16, v4, vcc
	v_add_co_u32_e32 v5, vcc, s8, v5
	v_addc_co_u32_e32 v6, vcc, v16, v6, vcc
	global_load_dword v17, v[3:4], off
	global_load_dword v1, v[5:6], off
	s_waitcnt vmcnt(1)
	v_fma_f32 v15, -v12, v15, v17
	s_waitcnt vmcnt(0)
	v_fma_f32 v1, -v12, v13, v1
	global_store_dword v[3:4], v15, off
	global_store_dword v[5:6], v1, off
	s_branch .LBB23_3
.LBB23_20:
	s_or_b64 exec, exec, s[18:19]
	s_branch .LBB23_22
.LBB23_21:
	v_mov_b32_e32 v8, 0
.LBB23_22:
	v_subrev_u32_e32 v3, s22, v8
	v_add_u32_e32 v1, v3, v0
	v_ashrrev_i32_e32 v2, 31, v1
	v_lshlrev_b64 v[1:2], 2, v[1:2]
	s_waitcnt lgkmcnt(0)
	v_mov_b32_e32 v4, s17
	v_add_co_u32_e32 v1, vcc, s16, v1
	v_addc_co_u32_e32 v2, vcc, v4, v2, vcc
	s_waitcnt vmcnt(0)
	buffer_wbinvl1_vol
	global_load_dword v1, v[1:2], off
	s_waitcnt vmcnt(0)
	v_mul_lo_u32 v1, v1, s22
	v_sub_u32_e32 v5, v3, v1
	v_cmp_lt_i32_e32 vcc, -1, v5
	s_and_b64 exec, exec, vcc
	s_cbranch_execz .LBB23_29
; %bb.23:
	s_lshl_b32 s4, s24, 1
	s_add_i32 s5, s4, s23
	s_lshl_b32 s6, s22, 1
	s_mov_b64 s[0:1], 0
	v_mov_b32_e32 v6, s17
	v_mov_b32_e32 v8, s11
	;; [unrolled: 1-line block ×3, first 2 shown]
	s_branch .LBB23_25
.LBB23_24:                              ;   in Loop: Header=BB23_25 Depth=1
	s_or_b64 exec, exec, s[2:3]
	v_sub_u32_e32 v5, v5, v1
	v_cmp_gt_i32_e32 vcc, 0, v5
	s_or_b64 s[0:1], vcc, s[0:1]
	s_andn2_b64 exec, exec, s[0:1]
	s_cbranch_execz .LBB23_29
.LBB23_25:                              ; =>This Inner Loop Header: Depth=1
	v_add_u32_e32 v3, v5, v0
	s_waitcnt vmcnt(0)
	v_ashrrev_i32_e32 v4, 31, v3
	v_lshlrev_b64 v[9:10], 2, v[3:4]
	v_add_co_u32_e32 v11, vcc, s16, v9
	v_addc_co_u32_e32 v12, vcc, v6, v10, vcc
	v_add_co_u32_e32 v9, vcc, s10, v9
	global_load_dword v1, v[11:12], off
	v_addc_co_u32_e32 v10, vcc, v8, v10, vcc
	global_load_dword v4, v[9:10], off
	s_waitcnt vmcnt(1)
	v_cmp_ne_u32_e32 vcc, 1, v1
	s_and_saveexec_b64 s[2:3], vcc
	s_xor_b64 s[2:3], exec, s[2:3]
	s_cbranch_execz .LBB23_27
; %bb.26:                               ;   in Loop: Header=BB23_25 Depth=1
	v_add_u32_e32 v11, v7, v5
	v_add_u32_e32 v1, s4, v11
	v_lshlrev_b64 v[9:10], 2, v[1:2]
	v_mov_b32_e32 v1, s9
	v_add_co_u32_e32 v9, vcc, s8, v9
	v_addc_co_u32_e32 v10, vcc, v1, v10, vcc
	v_add_u32_e32 v1, s5, v11
	v_lshlrev_b64 v[11:12], 2, v[1:2]
	v_add_u32_e32 v1, s4, v3
	v_lshlrev_b64 v[13:14], 2, v[1:2]
	v_mov_b32_e32 v1, s9
	v_add_co_u32_e32 v13, vcc, s8, v13
	v_addc_co_u32_e32 v14, vcc, v1, v14, vcc
	global_load_dword v15, v[9:10], off
	global_load_dword v16, v[13:14], off
	v_add_co_u32_e32 v9, vcc, s8, v11
	v_addc_co_u32_e32 v10, vcc, v1, v12, vcc
	v_add_u32_e32 v1, s5, v3
	global_load_dword v17, v[9:10], off
	v_lshlrev_b64 v[9:10], 2, v[1:2]
	v_mov_b32_e32 v11, s9
	v_add_co_u32_e32 v9, vcc, s8, v9
	v_addc_co_u32_e32 v10, vcc, v11, v10, vcc
	s_waitcnt vmcnt(1)
	v_fma_f32 v1, -v4, v15, v16
	global_store_dword v[13:14], v1, off
	global_load_dword v3, v[9:10], off
	v_subrev_u32_e32 v1, s22, v5
	v_add_u32_e32 v11, v1, v0
	v_ashrrev_i32_e32 v12, 31, v11
	v_lshlrev_b64 v[12:13], 2, v[11:12]
	v_add_u32_e32 v1, s4, v11
	v_add_co_u32_e32 v12, vcc, s10, v12
	v_addc_co_u32_e32 v13, vcc, v8, v13, vcc
	global_load_dword v16, v[12:13], off
	v_lshlrev_b64 v[12:13], 2, v[1:2]
	v_mov_b32_e32 v14, s9
	v_add_co_u32_e32 v12, vcc, s8, v12
	v_addc_co_u32_e32 v13, vcc, v14, v13, vcc
	s_waitcnt vmcnt(1)
	v_fma_f32 v1, -v4, v17, v3
	global_store_dword v[9:10], v1, off
	global_load_dword v9, v[12:13], off
	v_add_u32_e32 v1, s5, v11
	v_lshlrev_b64 v[3:4], 2, v[1:2]
	v_mov_b32_e32 v10, s9
	v_add_co_u32_e32 v3, vcc, s8, v3
	v_addc_co_u32_e32 v4, vcc, v10, v4, vcc
	s_waitcnt vmcnt(0)
	v_fma_f32 v1, -v16, v15, v9
	global_store_dword v[12:13], v1, off
	global_load_dword v1, v[3:4], off
	s_waitcnt vmcnt(0)
	v_fma_f32 v1, -v16, v17, v1
	global_store_dword v[3:4], v1, off
                                        ; implicit-def: $vgpr3
                                        ; implicit-def: $vgpr4
.LBB23_27:                              ;   in Loop: Header=BB23_25 Depth=1
	s_or_saveexec_b64 s[2:3], s[2:3]
	v_mov_b32_e32 v1, s6
	s_xor_b64 exec, exec, s[2:3]
	s_cbranch_execz .LBB23_24
; %bb.28:                               ;   in Loop: Header=BB23_25 Depth=1
	v_add_u32_e32 v13, v7, v5
	v_add_u32_e32 v1, s4, v13
	v_lshlrev_b64 v[9:10], 2, v[1:2]
	v_mov_b32_e32 v1, s9
	v_add_co_u32_e32 v9, vcc, s8, v9
	v_addc_co_u32_e32 v10, vcc, v1, v10, vcc
	v_add_u32_e32 v1, s4, v3
	v_lshlrev_b64 v[11:12], 2, v[1:2]
	v_mov_b32_e32 v1, s9
	v_add_co_u32_e32 v11, vcc, s8, v11
	v_addc_co_u32_e32 v12, vcc, v1, v12, vcc
	global_load_dword v15, v[9:10], off
	global_load_dword v16, v[11:12], off
	v_add_u32_e32 v1, s5, v13
	v_lshlrev_b64 v[9:10], 2, v[1:2]
	v_add_u32_e32 v1, s5, v3
	v_mov_b32_e32 v17, s9
	v_lshlrev_b64 v[13:14], 2, v[1:2]
	v_add_co_u32_e32 v9, vcc, s8, v9
	v_addc_co_u32_e32 v10, vcc, v17, v10, vcc
	v_mov_b32_e32 v18, s9
	v_add_co_u32_e32 v13, vcc, s8, v13
	v_addc_co_u32_e32 v14, vcc, v18, v14, vcc
	s_waitcnt vmcnt(0)
	v_fma_f32 v1, -v4, v15, v16
	global_store_dword v[11:12], v1, off
	global_load_dword v1, v[9:10], off
	s_nop 0
	global_load_dword v3, v[13:14], off
	s_waitcnt vmcnt(0)
	v_fma_f32 v1, -v4, v1, v3
	global_store_dword v[13:14], v1, off
	v_mov_b32_e32 v1, s22
	s_branch .LBB23_24
.LBB23_29:
	s_endpgm
	.section	.rodata,"a",@progbits
	.p2align	6, 0x0
	.amdhsa_kernel _ZN9rocsparseL19gtsv_LBM_rhs_kernelILj256ELj4ELj2EfEEviiiPKT2_S3_S3_PS1_S3_PKi
		.amdhsa_group_segment_fixed_size 0
		.amdhsa_private_segment_fixed_size 0
		.amdhsa_kernarg_size 64
		.amdhsa_user_sgpr_count 6
		.amdhsa_user_sgpr_private_segment_buffer 1
		.amdhsa_user_sgpr_dispatch_ptr 0
		.amdhsa_user_sgpr_queue_ptr 0
		.amdhsa_user_sgpr_kernarg_segment_ptr 1
		.amdhsa_user_sgpr_dispatch_id 0
		.amdhsa_user_sgpr_flat_scratch_init 0
		.amdhsa_user_sgpr_private_segment_size 0
		.amdhsa_uses_dynamic_stack 0
		.amdhsa_system_sgpr_private_segment_wavefront_offset 0
		.amdhsa_system_sgpr_workgroup_id_x 1
		.amdhsa_system_sgpr_workgroup_id_y 1
		.amdhsa_system_sgpr_workgroup_id_z 0
		.amdhsa_system_sgpr_workgroup_info 0
		.amdhsa_system_vgpr_workitem_id 0
		.amdhsa_next_free_vgpr 28
		.amdhsa_next_free_sgpr 29
		.amdhsa_reserve_vcc 1
		.amdhsa_reserve_flat_scratch 0
		.amdhsa_float_round_mode_32 0
		.amdhsa_float_round_mode_16_64 0
		.amdhsa_float_denorm_mode_32 3
		.amdhsa_float_denorm_mode_16_64 3
		.amdhsa_dx10_clamp 1
		.amdhsa_ieee_mode 1
		.amdhsa_fp16_overflow 0
		.amdhsa_exception_fp_ieee_invalid_op 0
		.amdhsa_exception_fp_denorm_src 0
		.amdhsa_exception_fp_ieee_div_zero 0
		.amdhsa_exception_fp_ieee_overflow 0
		.amdhsa_exception_fp_ieee_underflow 0
		.amdhsa_exception_fp_ieee_inexact 0
		.amdhsa_exception_int_div_zero 0
	.end_amdhsa_kernel
	.section	.text._ZN9rocsparseL19gtsv_LBM_rhs_kernelILj256ELj4ELj2EfEEviiiPKT2_S3_S3_PS1_S3_PKi,"axG",@progbits,_ZN9rocsparseL19gtsv_LBM_rhs_kernelILj256ELj4ELj2EfEEviiiPKT2_S3_S3_PS1_S3_PKi,comdat
.Lfunc_end23:
	.size	_ZN9rocsparseL19gtsv_LBM_rhs_kernelILj256ELj4ELj2EfEEviiiPKT2_S3_S3_PS1_S3_PKi, .Lfunc_end23-_ZN9rocsparseL19gtsv_LBM_rhs_kernelILj256ELj4ELj2EfEEviiiPKT2_S3_S3_PS1_S3_PKi
                                        ; -- End function
	.set _ZN9rocsparseL19gtsv_LBM_rhs_kernelILj256ELj4ELj2EfEEviiiPKT2_S3_S3_PS1_S3_PKi.num_vgpr, 28
	.set _ZN9rocsparseL19gtsv_LBM_rhs_kernelILj256ELj4ELj2EfEEviiiPKT2_S3_S3_PS1_S3_PKi.num_agpr, 0
	.set _ZN9rocsparseL19gtsv_LBM_rhs_kernelILj256ELj4ELj2EfEEviiiPKT2_S3_S3_PS1_S3_PKi.numbered_sgpr, 29
	.set _ZN9rocsparseL19gtsv_LBM_rhs_kernelILj256ELj4ELj2EfEEviiiPKT2_S3_S3_PS1_S3_PKi.num_named_barrier, 0
	.set _ZN9rocsparseL19gtsv_LBM_rhs_kernelILj256ELj4ELj2EfEEviiiPKT2_S3_S3_PS1_S3_PKi.private_seg_size, 0
	.set _ZN9rocsparseL19gtsv_LBM_rhs_kernelILj256ELj4ELj2EfEEviiiPKT2_S3_S3_PS1_S3_PKi.uses_vcc, 1
	.set _ZN9rocsparseL19gtsv_LBM_rhs_kernelILj256ELj4ELj2EfEEviiiPKT2_S3_S3_PS1_S3_PKi.uses_flat_scratch, 0
	.set _ZN9rocsparseL19gtsv_LBM_rhs_kernelILj256ELj4ELj2EfEEviiiPKT2_S3_S3_PS1_S3_PKi.has_dyn_sized_stack, 0
	.set _ZN9rocsparseL19gtsv_LBM_rhs_kernelILj256ELj4ELj2EfEEviiiPKT2_S3_S3_PS1_S3_PKi.has_recursion, 0
	.set _ZN9rocsparseL19gtsv_LBM_rhs_kernelILj256ELj4ELj2EfEEviiiPKT2_S3_S3_PS1_S3_PKi.has_indirect_call, 0
	.section	.AMDGPU.csdata,"",@progbits
; Kernel info:
; codeLenInByte = 2000
; TotalNumSgprs: 33
; NumVgprs: 28
; ScratchSize: 0
; MemoryBound: 0
; FloatMode: 240
; IeeeMode: 1
; LDSByteSize: 0 bytes/workgroup (compile time only)
; SGPRBlocks: 4
; VGPRBlocks: 6
; NumSGPRsForWavesPerEU: 33
; NumVGPRsForWavesPerEU: 28
; Occupancy: 9
; WaveLimiterHint : 0
; COMPUTE_PGM_RSRC2:SCRATCH_EN: 0
; COMPUTE_PGM_RSRC2:USER_SGPR: 6
; COMPUTE_PGM_RSRC2:TRAP_HANDLER: 0
; COMPUTE_PGM_RSRC2:TGID_X_EN: 1
; COMPUTE_PGM_RSRC2:TGID_Y_EN: 1
; COMPUTE_PGM_RSRC2:TGID_Z_EN: 0
; COMPUTE_PGM_RSRC2:TIDIG_COMP_CNT: 0
	.section	.text._ZN9rocsparseL19gtsv_LBM_rhs_kernelILj256ELj4ELj1EfEEviiiPKT2_S3_S3_PS1_S3_PKi,"axG",@progbits,_ZN9rocsparseL19gtsv_LBM_rhs_kernelILj256ELj4ELj1EfEEviiiPKT2_S3_S3_PS1_S3_PKi,comdat
	.globl	_ZN9rocsparseL19gtsv_LBM_rhs_kernelILj256ELj4ELj1EfEEviiiPKT2_S3_S3_PS1_S3_PKi ; -- Begin function _ZN9rocsparseL19gtsv_LBM_rhs_kernelILj256ELj4ELj1EfEEviiiPKT2_S3_S3_PS1_S3_PKi
	.p2align	8
	.type	_ZN9rocsparseL19gtsv_LBM_rhs_kernelILj256ELj4ELj1EfEEviiiPKT2_S3_S3_PS1_S3_PKi,@function
_ZN9rocsparseL19gtsv_LBM_rhs_kernelILj256ELj4ELj1EfEEviiiPKT2_S3_S3_PS1_S3_PKi: ; @_ZN9rocsparseL19gtsv_LBM_rhs_kernelILj256ELj4ELj1EfEEviiiPKT2_S3_S3_PS1_S3_PKi
; %bb.0:
	s_load_dword s24, s[4:5], 0x0
	v_lshl_or_b32 v0, s6, 8, v0
	s_waitcnt lgkmcnt(0)
	s_lshr_b32 s22, s24, 2
	v_cmp_gt_i32_e32 vcc, s22, v0
	s_and_saveexec_b64 s[0:1], vcc
	s_cbranch_execz .LBB24_29
; %bb.1:
	s_load_dwordx4 s[8:11], s[4:5], 0x28
	s_load_dwordx2 s[16:17], s[4:5], 0x38
	s_cmp_lt_i32 s24, 1
	s_mul_i32 s23, s24, s7
	s_cbranch_scc1 .LBB24_21
; %bb.2:
	s_load_dwordx4 s[12:15], s[4:5], 0x10
	s_load_dwordx2 s[6:7], s[4:5], 0x20
	v_ashrrev_i32_e32 v1, 31, v0
	v_lshlrev_b64 v[1:2], 2, v[0:1]
	v_add_u32_e32 v9, s22, v0
	s_waitcnt lgkmcnt(0)
	v_mov_b32_e32 v3, s15
	v_add_co_u32_e32 v1, vcc, s14, v1
	v_addc_co_u32_e32 v2, vcc, v3, v2, vcc
	global_load_dword v13, v[1:2], off
	s_mul_i32 s25, s22, 3
	s_lshl_b32 s26, s22, 1
	v_add_u32_e32 v10, s22, v9
	v_add_u32_e32 v11, s23, v9
	v_mov_b32_e32 v2, 0
	s_mov_b64 s[18:19], 0
	v_mov_b32_e32 v12, s7
	v_mov_b32_e32 v8, 0
	s_branch .LBB24_5
.LBB24_3:                               ;   in Loop: Header=BB24_5 Depth=1
	s_or_b64 exec, exec, s[4:5]
	v_fma_f32 v13, -v6, v5, v16
	v_mov_b32_e32 v6, s22
.LBB24_4:                               ;   in Loop: Header=BB24_5 Depth=1
	s_or_b64 exec, exec, s[2:3]
	v_add_u32_e32 v8, v6, v8
	v_cmp_le_i32_e32 vcc, s24, v8
	s_or_b64 s[18:19], vcc, s[18:19]
	s_andn2_b64 exec, exec, s[18:19]
	s_cbranch_execz .LBB24_20
.LBB24_5:                               ; =>This Inner Loop Header: Depth=1
	v_add_u32_e32 v3, v8, v0
	v_ashrrev_i32_e32 v4, 31, v3
	v_lshlrev_b64 v[4:5], 2, v[3:4]
	v_cmp_gt_u32_e64 s[0:1], s25, v8
	v_add_co_u32_e32 v6, vcc, s6, v4
	v_addc_co_u32_e32 v7, vcc, v12, v5, vcc
	global_load_dword v17, v[6:7], off
	v_add_u32_e32 v6, v9, v8
	v_mov_b32_e32 v14, 0
	s_and_saveexec_b64 s[2:3], s[0:1]
	s_cbranch_execz .LBB24_7
; %bb.6:                                ;   in Loop: Header=BB24_5 Depth=1
	v_ashrrev_i32_e32 v7, 31, v6
	v_lshlrev_b64 v[14:15], 2, v[6:7]
	s_waitcnt vmcnt(1)
	v_mov_b32_e32 v1, s13
	v_add_co_u32_e32 v14, vcc, s12, v14
	v_addc_co_u32_e32 v15, vcc, v1, v15, vcc
	global_load_dword v14, v[14:15], off
.LBB24_7:                               ;   in Loop: Header=BB24_5 Depth=1
	s_or_b64 exec, exec, s[2:3]
	v_mov_b32_e32 v15, 0
	v_mov_b32_e32 v16, 0
	s_and_saveexec_b64 s[2:3], s[0:1]
	s_cbranch_execz .LBB24_9
; %bb.8:                                ;   in Loop: Header=BB24_5 Depth=1
	v_ashrrev_i32_e32 v7, 31, v6
	v_lshlrev_b64 v[18:19], 2, v[6:7]
	s_waitcnt vmcnt(1)
	v_mov_b32_e32 v1, s15
	v_add_co_u32_e32 v18, vcc, s14, v18
	v_addc_co_u32_e32 v19, vcc, v1, v19, vcc
	global_load_dword v16, v[18:19], off
.LBB24_9:                               ;   in Loop: Header=BB24_5 Depth=1
	s_or_b64 exec, exec, s[2:3]
	s_and_saveexec_b64 s[2:3], s[0:1]
	s_cbranch_execz .LBB24_11
; %bb.10:                               ;   in Loop: Header=BB24_5 Depth=1
	v_ashrrev_i32_e32 v7, 31, v6
	v_lshlrev_b64 v[6:7], 2, v[6:7]
	s_waitcnt vmcnt(1)
	v_mov_b32_e32 v1, s7
	v_add_co_u32_e32 v6, vcc, s6, v6
	v_addc_co_u32_e32 v7, vcc, v1, v7, vcc
	global_load_dword v15, v[6:7], off
.LBB24_11:                              ;   in Loop: Header=BB24_5 Depth=1
	s_or_b64 exec, exec, s[2:3]
	v_cmp_gt_u32_e64 s[2:3], s26, v8
	v_mov_b32_e32 v6, 0
	s_and_saveexec_b64 s[4:5], s[2:3]
	s_cbranch_execz .LBB24_13
; %bb.12:                               ;   in Loop: Header=BB24_5 Depth=1
	v_add_u32_e32 v6, v10, v8
	v_ashrrev_i32_e32 v7, 31, v6
	v_lshlrev_b64 v[6:7], 2, v[6:7]
	s_waitcnt vmcnt(1)
	v_mov_b32_e32 v1, s13
	v_add_co_u32_e32 v6, vcc, s12, v6
	v_addc_co_u32_e32 v7, vcc, v1, v7, vcc
	global_load_dword v6, v[6:7], off
.LBB24_13:                              ;   in Loop: Header=BB24_5 Depth=1
	s_or_b64 exec, exec, s[4:5]
	s_waitcnt vmcnt(1)
	v_mov_b32_e32 v1, s17
	v_add_co_u32_e32 v4, vcc, s16, v4
	v_addc_co_u32_e32 v5, vcc, v1, v5, vcc
	v_add_u32_e32 v1, s23, v3
	global_load_dword v5, v[4:5], off
	v_lshlrev_b64 v[3:4], 2, v[1:2]
	v_mov_b32_e32 v1, s9
	v_add_co_u32_e32 v3, vcc, s8, v3
	v_addc_co_u32_e32 v4, vcc, v1, v4, vcc
	global_load_dword v1, v[3:4], off
	v_cmp_ne_u32_e32 vcc, s25, v8
	s_waitcnt vmcnt(1)
	v_cmp_ne_u32_e64 s[4:5], 1, v5
	s_and_b64 s[4:5], vcc, s[4:5]
	v_mul_f32_e32 v5, v17, v14
	s_and_saveexec_b64 s[20:21], s[4:5]
	s_xor_b64 s[4:5], exec, s[20:21]
	s_cbranch_execz .LBB24_17
; %bb.14:                               ;   in Loop: Header=BB24_5 Depth=1
	v_fma_f32 v5, v13, v16, -v5
	v_div_scale_f32 v7, s[20:21], v5, v5, 1.0
	v_rcp_f32_e32 v18, v7
	v_fma_f32 v19, -v7, v18, 1.0
	v_fmac_f32_e32 v18, v19, v18
	v_div_scale_f32 v19, vcc, 1.0, v5, 1.0
	v_mul_f32_e32 v20, v19, v18
	v_fma_f32 v21, -v7, v20, v19
	v_fmac_f32_e32 v20, v21, v18
	v_fma_f32 v7, -v7, v20, v19
	v_div_fmas_f32 v7, v7, v18, v20
	v_div_fixup_f32 v5, v7, v5, 1.0
	s_waitcnt vmcnt(0)
	v_mul_f32_e32 v7, v5, v1
	v_add_u32_e32 v1, v11, v8
	v_lshlrev_b64 v[18:19], 2, v[1:2]
	v_mov_b32_e32 v1, s9
	v_add_co_u32_e32 v20, vcc, s8, v18
	v_addc_co_u32_e32 v21, vcc, v1, v19, vcc
	global_load_dword v1, v[20:21], off
	s_waitcnt vmcnt(0)
	v_mul_f32_e32 v18, v5, v1
	v_mul_f32_e32 v1, v17, v18
	v_fma_f32 v1, v16, v7, -v1
	global_store_dword v[3:4], v1, off
	v_mul_f32_e32 v1, v14, v7
	v_fma_f32 v1, v13, v18, -v1
	global_store_dword v[20:21], v1, off
	v_mov_b32_e32 v1, 0
	s_and_saveexec_b64 s[20:21], s[2:3]
	s_cbranch_execz .LBB24_16
; %bb.15:                               ;   in Loop: Header=BB24_5 Depth=1
	v_add_u32_e32 v3, v10, v8
	v_add_u32_e32 v1, s23, v3
	v_lshlrev_b64 v[16:17], 2, v[1:2]
	v_ashrrev_i32_e32 v4, 31, v3
	v_mov_b32_e32 v1, s9
	v_add_co_u32_e32 v16, vcc, s8, v16
	v_lshlrev_b64 v[3:4], 2, v[3:4]
	v_addc_co_u32_e32 v17, vcc, v1, v17, vcc
	v_mov_b32_e32 v19, s15
	v_add_co_u32_e32 v3, vcc, s14, v3
	global_load_dword v1, v[16:17], off
	v_addc_co_u32_e32 v4, vcc, v19, v4, vcc
	global_load_dword v3, v[3:4], off
	v_mul_f32_e32 v4, v14, v6
	v_mul_f32_e32 v6, v13, v6
	;; [unrolled: 1-line block ×3, first 2 shown]
	v_fma_f32 v4, v4, v7, -v13
	v_mul_f32_e32 v6, v15, v6
	s_waitcnt vmcnt(1)
	v_add_f32_e32 v1, v4, v1
	global_store_dword v[16:17], v1, off
	s_waitcnt vmcnt(1)
	v_fma_f32 v1, -v5, v6, v3
.LBB24_16:                              ;   in Loop: Header=BB24_5 Depth=1
	s_or_b64 exec, exec, s[20:21]
	v_mov_b32_e32 v13, v1
                                        ; implicit-def: $vgpr5
                                        ; implicit-def: $vgpr16
                                        ; implicit-def: $vgpr1
                                        ; implicit-def: $vgpr3_vgpr4
                                        ; implicit-def: $vgpr14
.LBB24_17:                              ;   in Loop: Header=BB24_5 Depth=1
	s_or_saveexec_b64 s[2:3], s[4:5]
	v_mov_b32_e32 v6, s26
	s_xor_b64 exec, exec, s[2:3]
	s_cbranch_execz .LBB24_4
; %bb.18:                               ;   in Loop: Header=BB24_5 Depth=1
	v_div_scale_f32 v6, s[4:5], v13, v13, 1.0
	v_div_scale_f32 v7, vcc, 1.0, v13, 1.0
	v_rcp_f32_e32 v15, v6
	v_fma_f32 v17, -v6, v15, 1.0
	v_fmac_f32_e32 v15, v17, v15
	v_mul_f32_e32 v17, v7, v15
	v_fma_f32 v18, -v6, v17, v7
	v_fmac_f32_e32 v17, v18, v15
	v_fma_f32 v6, -v6, v17, v7
	v_div_fmas_f32 v6, v6, v15, v17
	v_div_fixup_f32 v6, v6, v13, 1.0
	s_waitcnt vmcnt(0)
	v_mul_f32_e32 v7, v6, v1
	global_store_dword v[3:4], v7, off
	s_and_saveexec_b64 s[4:5], s[0:1]
	s_cbranch_execz .LBB24_3
; %bb.19:                               ;   in Loop: Header=BB24_5 Depth=1
	v_add_u32_e32 v1, v11, v8
	v_lshlrev_b64 v[3:4], 2, v[1:2]
	v_mov_b32_e32 v1, s9
	v_add_co_u32_e32 v3, vcc, s8, v3
	v_addc_co_u32_e32 v4, vcc, v1, v4, vcc
	global_load_dword v1, v[3:4], off
	s_waitcnt vmcnt(0)
	v_fma_f32 v1, -v14, v7, v1
	global_store_dword v[3:4], v1, off
	s_branch .LBB24_3
.LBB24_20:
	s_or_b64 exec, exec, s[18:19]
	s_branch .LBB24_22
.LBB24_21:
	v_mov_b32_e32 v8, 0
.LBB24_22:
	v_subrev_u32_e32 v3, s22, v8
	s_waitcnt vmcnt(0)
	v_add_u32_e32 v1, v3, v0
	v_ashrrev_i32_e32 v2, 31, v1
	v_lshlrev_b64 v[1:2], 2, v[1:2]
	s_waitcnt lgkmcnt(0)
	v_mov_b32_e32 v4, s17
	v_add_co_u32_e32 v1, vcc, s16, v1
	v_addc_co_u32_e32 v2, vcc, v4, v2, vcc
	buffer_wbinvl1_vol
	global_load_dword v1, v[1:2], off
	s_waitcnt vmcnt(0)
	v_mul_lo_u32 v1, v1, s22
	v_sub_u32_e32 v5, v3, v1
	v_cmp_lt_i32_e32 vcc, -1, v5
	s_and_b64 exec, exec, vcc
	s_cbranch_execz .LBB24_29
; %bb.23:
	s_add_i32 s0, s23, s22
	v_add_u32_e32 v6, s0, v0
	s_lshl_b32 s4, s22, 1
	s_mov_b64 s[0:1], 0
	v_mov_b32_e32 v7, s17
	v_mov_b32_e32 v8, s11
	;; [unrolled: 1-line block ×3, first 2 shown]
	s_branch .LBB24_25
.LBB24_24:                              ;   in Loop: Header=BB24_25 Depth=1
	s_or_b64 exec, exec, s[2:3]
	v_sub_u32_e32 v5, v5, v1
	v_cmp_gt_i32_e32 vcc, 0, v5
	s_or_b64 s[0:1], vcc, s[0:1]
	s_andn2_b64 exec, exec, s[0:1]
	s_cbranch_execz .LBB24_29
.LBB24_25:                              ; =>This Inner Loop Header: Depth=1
	v_add_u32_e32 v3, v5, v0
	s_waitcnt vmcnt(0)
	v_ashrrev_i32_e32 v4, 31, v3
	v_lshlrev_b64 v[9:10], 2, v[3:4]
	v_add_co_u32_e32 v11, vcc, s16, v9
	v_addc_co_u32_e32 v12, vcc, v7, v10, vcc
	v_add_co_u32_e32 v9, vcc, s10, v9
	global_load_dword v1, v[11:12], off
	v_addc_co_u32_e32 v10, vcc, v8, v10, vcc
	global_load_dword v4, v[9:10], off
	s_waitcnt vmcnt(1)
	v_cmp_ne_u32_e32 vcc, 1, v1
	s_and_saveexec_b64 s[2:3], vcc
	s_xor_b64 s[2:3], exec, s[2:3]
	s_cbranch_execz .LBB24_27
; %bb.26:                               ;   in Loop: Header=BB24_25 Depth=1
	v_add_u32_e32 v1, v6, v5
	v_lshlrev_b64 v[9:10], 2, v[1:2]
	v_mov_b32_e32 v1, s9
	v_add_co_u32_e32 v9, vcc, s8, v9
	v_addc_co_u32_e32 v10, vcc, v1, v10, vcc
	v_add_u32_e32 v1, s23, v3
	v_lshlrev_b64 v[11:12], 2, v[1:2]
	v_mov_b32_e32 v1, s9
	v_add_co_u32_e32 v11, vcc, s8, v11
	v_addc_co_u32_e32 v12, vcc, v1, v12, vcc
	global_load_dword v15, v[9:10], off
	global_load_dword v3, v[11:12], off
	v_subrev_u32_e32 v1, s22, v5
	v_add_u32_e32 v9, v1, v0
	v_ashrrev_i32_e32 v10, 31, v9
	v_add_u32_e32 v1, s23, v9
	v_lshlrev_b64 v[9:10], 2, v[9:10]
	v_lshlrev_b64 v[13:14], 2, v[1:2]
	v_add_co_u32_e32 v9, vcc, s10, v9
	v_addc_co_u32_e32 v10, vcc, v8, v10, vcc
	v_mov_b32_e32 v16, s9
	global_load_dword v1, v[9:10], off
	s_waitcnt vmcnt(1)
	v_fma_f32 v3, -v4, v15, v3
	global_store_dword v[11:12], v3, off
	v_add_co_u32_e32 v3, vcc, s8, v13
	v_addc_co_u32_e32 v4, vcc, v16, v14, vcc
	global_load_dword v9, v[3:4], off
	s_waitcnt vmcnt(0)
	v_fma_f32 v1, -v1, v15, v9
	global_store_dword v[3:4], v1, off
                                        ; implicit-def: $vgpr3
                                        ; implicit-def: $vgpr4
.LBB24_27:                              ;   in Loop: Header=BB24_25 Depth=1
	s_or_saveexec_b64 s[2:3], s[2:3]
	v_mov_b32_e32 v1, s4
	s_xor_b64 exec, exec, s[2:3]
	s_cbranch_execz .LBB24_24
; %bb.28:                               ;   in Loop: Header=BB24_25 Depth=1
	v_add_u32_e32 v1, v6, v5
	v_lshlrev_b64 v[9:10], 2, v[1:2]
	v_mov_b32_e32 v1, s9
	v_add_co_u32_e32 v9, vcc, s8, v9
	v_addc_co_u32_e32 v10, vcc, v1, v10, vcc
	v_add_u32_e32 v1, s23, v3
	v_lshlrev_b64 v[11:12], 2, v[1:2]
	v_mov_b32_e32 v1, s9
	v_add_co_u32_e32 v11, vcc, s8, v11
	v_addc_co_u32_e32 v12, vcc, v1, v12, vcc
	global_load_dword v1, v[9:10], off
	global_load_dword v3, v[11:12], off
	s_waitcnt vmcnt(0)
	v_fma_f32 v1, -v4, v1, v3
	global_store_dword v[11:12], v1, off
	v_mov_b32_e32 v1, s22
	s_branch .LBB24_24
.LBB24_29:
	s_endpgm
	.section	.rodata,"a",@progbits
	.p2align	6, 0x0
	.amdhsa_kernel _ZN9rocsparseL19gtsv_LBM_rhs_kernelILj256ELj4ELj1EfEEviiiPKT2_S3_S3_PS1_S3_PKi
		.amdhsa_group_segment_fixed_size 0
		.amdhsa_private_segment_fixed_size 0
		.amdhsa_kernarg_size 64
		.amdhsa_user_sgpr_count 6
		.amdhsa_user_sgpr_private_segment_buffer 1
		.amdhsa_user_sgpr_dispatch_ptr 0
		.amdhsa_user_sgpr_queue_ptr 0
		.amdhsa_user_sgpr_kernarg_segment_ptr 1
		.amdhsa_user_sgpr_dispatch_id 0
		.amdhsa_user_sgpr_flat_scratch_init 0
		.amdhsa_user_sgpr_private_segment_size 0
		.amdhsa_uses_dynamic_stack 0
		.amdhsa_system_sgpr_private_segment_wavefront_offset 0
		.amdhsa_system_sgpr_workgroup_id_x 1
		.amdhsa_system_sgpr_workgroup_id_y 1
		.amdhsa_system_sgpr_workgroup_id_z 0
		.amdhsa_system_sgpr_workgroup_info 0
		.amdhsa_system_vgpr_workitem_id 0
		.amdhsa_next_free_vgpr 22
		.amdhsa_next_free_sgpr 27
		.amdhsa_reserve_vcc 1
		.amdhsa_reserve_flat_scratch 0
		.amdhsa_float_round_mode_32 0
		.amdhsa_float_round_mode_16_64 0
		.amdhsa_float_denorm_mode_32 3
		.amdhsa_float_denorm_mode_16_64 3
		.amdhsa_dx10_clamp 1
		.amdhsa_ieee_mode 1
		.amdhsa_fp16_overflow 0
		.amdhsa_exception_fp_ieee_invalid_op 0
		.amdhsa_exception_fp_denorm_src 0
		.amdhsa_exception_fp_ieee_div_zero 0
		.amdhsa_exception_fp_ieee_overflow 0
		.amdhsa_exception_fp_ieee_underflow 0
		.amdhsa_exception_fp_ieee_inexact 0
		.amdhsa_exception_int_div_zero 0
	.end_amdhsa_kernel
	.section	.text._ZN9rocsparseL19gtsv_LBM_rhs_kernelILj256ELj4ELj1EfEEviiiPKT2_S3_S3_PS1_S3_PKi,"axG",@progbits,_ZN9rocsparseL19gtsv_LBM_rhs_kernelILj256ELj4ELj1EfEEviiiPKT2_S3_S3_PS1_S3_PKi,comdat
.Lfunc_end24:
	.size	_ZN9rocsparseL19gtsv_LBM_rhs_kernelILj256ELj4ELj1EfEEviiiPKT2_S3_S3_PS1_S3_PKi, .Lfunc_end24-_ZN9rocsparseL19gtsv_LBM_rhs_kernelILj256ELj4ELj1EfEEviiiPKT2_S3_S3_PS1_S3_PKi
                                        ; -- End function
	.set _ZN9rocsparseL19gtsv_LBM_rhs_kernelILj256ELj4ELj1EfEEviiiPKT2_S3_S3_PS1_S3_PKi.num_vgpr, 22
	.set _ZN9rocsparseL19gtsv_LBM_rhs_kernelILj256ELj4ELj1EfEEviiiPKT2_S3_S3_PS1_S3_PKi.num_agpr, 0
	.set _ZN9rocsparseL19gtsv_LBM_rhs_kernelILj256ELj4ELj1EfEEviiiPKT2_S3_S3_PS1_S3_PKi.numbered_sgpr, 27
	.set _ZN9rocsparseL19gtsv_LBM_rhs_kernelILj256ELj4ELj1EfEEviiiPKT2_S3_S3_PS1_S3_PKi.num_named_barrier, 0
	.set _ZN9rocsparseL19gtsv_LBM_rhs_kernelILj256ELj4ELj1EfEEviiiPKT2_S3_S3_PS1_S3_PKi.private_seg_size, 0
	.set _ZN9rocsparseL19gtsv_LBM_rhs_kernelILj256ELj4ELj1EfEEviiiPKT2_S3_S3_PS1_S3_PKi.uses_vcc, 1
	.set _ZN9rocsparseL19gtsv_LBM_rhs_kernelILj256ELj4ELj1EfEEviiiPKT2_S3_S3_PS1_S3_PKi.uses_flat_scratch, 0
	.set _ZN9rocsparseL19gtsv_LBM_rhs_kernelILj256ELj4ELj1EfEEviiiPKT2_S3_S3_PS1_S3_PKi.has_dyn_sized_stack, 0
	.set _ZN9rocsparseL19gtsv_LBM_rhs_kernelILj256ELj4ELj1EfEEviiiPKT2_S3_S3_PS1_S3_PKi.has_recursion, 0
	.set _ZN9rocsparseL19gtsv_LBM_rhs_kernelILj256ELj4ELj1EfEEviiiPKT2_S3_S3_PS1_S3_PKi.has_indirect_call, 0
	.section	.AMDGPU.csdata,"",@progbits
; Kernel info:
; codeLenInByte = 1536
; TotalNumSgprs: 31
; NumVgprs: 22
; ScratchSize: 0
; MemoryBound: 0
; FloatMode: 240
; IeeeMode: 1
; LDSByteSize: 0 bytes/workgroup (compile time only)
; SGPRBlocks: 3
; VGPRBlocks: 5
; NumSGPRsForWavesPerEU: 31
; NumVGPRsForWavesPerEU: 22
; Occupancy: 10
; WaveLimiterHint : 0
; COMPUTE_PGM_RSRC2:SCRATCH_EN: 0
; COMPUTE_PGM_RSRC2:USER_SGPR: 6
; COMPUTE_PGM_RSRC2:TRAP_HANDLER: 0
; COMPUTE_PGM_RSRC2:TGID_X_EN: 1
; COMPUTE_PGM_RSRC2:TGID_Y_EN: 1
; COMPUTE_PGM_RSRC2:TGID_Z_EN: 0
; COMPUTE_PGM_RSRC2:TIDIG_COMP_CNT: 0
	.section	.text._ZN9rocsparseL29gtsv_spike_block_level_kernelILj256ELj4EfEEviiiPT1_PKS1_S4_S2_S2_S2_S2_S2_,"axG",@progbits,_ZN9rocsparseL29gtsv_spike_block_level_kernelILj256ELj4EfEEviiiPT1_PKS1_S4_S2_S2_S2_S2_S2_,comdat
	.globl	_ZN9rocsparseL29gtsv_spike_block_level_kernelILj256ELj4EfEEviiiPT1_PKS1_S4_S2_S2_S2_S2_S2_ ; -- Begin function _ZN9rocsparseL29gtsv_spike_block_level_kernelILj256ELj4EfEEviiiPT1_PKS1_S4_S2_S2_S2_S2_S2_
	.p2align	8
	.type	_ZN9rocsparseL29gtsv_spike_block_level_kernelILj256ELj4EfEEviiiPT1_PKS1_S4_S2_S2_S2_S2_S2_,@function
_ZN9rocsparseL29gtsv_spike_block_level_kernelILj256ELj4EfEEviiiPT1_PKS1_S4_S2_S2_S2_S2_S2_: ; @_ZN9rocsparseL29gtsv_spike_block_level_kernelILj256ELj4EfEEviiiPT1_PKS1_S4_S2_S2_S2_S2_S2_
; %bb.0:
	s_load_dword s14, s[4:5], 0x0
	s_load_dwordx2 s[8:9], s[4:5], 0x18
	v_lshl_or_b32 v1, s6, 8, v0
	v_mov_b32_e32 v3, 0
	v_mov_b32_e32 v2, 0
	s_waitcnt lgkmcnt(0)
	s_lshr_b32 s18, s14, 2
	v_cmp_gt_i32_e64 s[0:1], s18, v1
	s_and_saveexec_b64 s[2:3], s[0:1]
	s_cbranch_execz .LBB25_2
; %bb.1:
	v_ashrrev_i32_e32 v2, 31, v1
	v_lshlrev_b64 v[4:5], 2, v[1:2]
	v_mov_b32_e32 v2, s9
	v_add_co_u32_e32 v4, vcc, s8, v4
	v_addc_co_u32_e32 v5, vcc, v2, v5, vcc
	global_load_dword v2, v[4:5], off
.LBB25_2:
	s_or_b64 exec, exec, s[2:3]
	s_load_dwordx2 s[2:3], s[4:5], 0x20
	v_lshlrev_b32_e32 v5, 2, v0
	v_or_b32_e32 v6, 0x800, v5
	s_waitcnt vmcnt(0)
	ds_write_b32 v5, v2 offset:2048
	s_and_saveexec_b64 s[10:11], s[0:1]
	s_cbranch_execz .LBB25_4
; %bb.3:
	v_mad_u64_u32 v[2:3], s[12:13], s18, 3, v[1:2]
	v_mov_b32_e32 v3, 0
	v_mov_b32_e32 v4, s9
	v_lshlrev_b64 v[2:3], 2, v[2:3]
	v_add_co_u32_e32 v2, vcc, s8, v2
	v_addc_co_u32_e32 v3, vcc, v4, v3, vcc
	global_load_dword v3, v[2:3], off
.LBB25_4:
	s_or_b64 exec, exec, s[10:11]
	s_waitcnt vmcnt(0)
	ds_write_b32 v6, v3 offset:1024
	v_mov_b32_e32 v3, 0
	v_mov_b32_e32 v2, 0
	s_and_saveexec_b64 s[8:9], s[0:1]
	s_cbranch_execz .LBB25_6
; %bb.5:
	v_ashrrev_i32_e32 v2, 31, v1
	v_lshlrev_b64 v[7:8], 2, v[1:2]
	s_waitcnt lgkmcnt(0)
	v_mov_b32_e32 v2, s3
	v_add_co_u32_e32 v7, vcc, s2, v7
	v_addc_co_u32_e32 v8, vcc, v2, v8, vcc
	global_load_dword v2, v[7:8], off
.LBB25_6:
	s_or_b64 exec, exec, s[8:9]
	s_load_dwordx2 s[12:13], s[4:5], 0x10
	s_waitcnt vmcnt(0)
	ds_write_b32 v5, v2
	s_and_saveexec_b64 s[8:9], s[0:1]
	s_cbranch_execz .LBB25_8
; %bb.7:
	v_mad_u64_u32 v[2:3], s[10:11], s18, 3, v[1:2]
	v_mov_b32_e32 v3, 0
	s_waitcnt lgkmcnt(0)
	v_mov_b32_e32 v4, s3
	v_lshlrev_b64 v[2:3], 2, v[2:3]
	v_add_co_u32_e32 v2, vcc, s2, v2
	v_addc_co_u32_e32 v3, vcc, v4, v3, vcc
	global_load_dword v3, v[2:3], off
.LBB25_8:
	s_or_b64 exec, exec, s[8:9]
	s_mul_i32 s14, s14, s7
	s_waitcnt vmcnt(0)
	ds_write_b32 v5, v3 offset:1024
	v_mov_b32_e32 v2, 0
	v_add_u32_e32 v3, s14, v1
	v_mov_b32_e32 v7, 0
	s_waitcnt lgkmcnt(0)
	s_and_saveexec_b64 s[2:3], s[0:1]
	s_cbranch_execz .LBB25_10
; %bb.9:
	v_ashrrev_i32_e32 v4, 31, v3
	v_lshlrev_b64 v[7:8], 2, v[3:4]
	v_mov_b32_e32 v4, s13
	v_add_co_u32_e32 v7, vcc, s12, v7
	v_addc_co_u32_e32 v8, vcc, v4, v8, vcc
	global_load_dword v7, v[7:8], off
.LBB25_10:
	s_or_b64 exec, exec, s[2:3]
	v_or_b32_e32 v4, 0x1000, v5
	s_mul_i32 s19, s18, 3
	s_waitcnt vmcnt(0)
	ds_write_b32 v5, v7 offset:4096
	s_and_saveexec_b64 s[2:3], s[0:1]
	s_cbranch_execz .LBB25_12
; %bb.11:
	s_mul_i32 s8, s18, 3
	s_add_i32 s8, s8, s14
	v_add_u32_e32 v7, s8, v1
	v_mov_b32_e32 v8, 0
	v_lshlrev_b64 v[7:8], 2, v[7:8]
	v_mov_b32_e32 v2, s13
	v_add_co_u32_e32 v7, vcc, s12, v7
	v_addc_co_u32_e32 v8, vcc, v2, v8, vcc
	global_load_dword v2, v[7:8], off
.LBB25_12:
	s_or_b64 exec, exec, s[2:3]
	s_movk_i32 s2, 0x80
	v_cmp_gt_u32_e32 vcc, s2, v0
	s_waitcnt vmcnt(0)
	ds_write_b32 v4, v2 offset:1024
	s_waitcnt lgkmcnt(0)
	s_barrier
	s_and_saveexec_b64 s[2:3], vcc
	s_cbranch_execz .LBB25_14
; %bb.13:
	v_add_u32_e32 v2, v6, v5
	v_add_u32_e32 v21, v5, v5
	ds_read2st64_b64 v[7:10], v2 offset1:2
	ds_read2st64_b64 v[11:14], v21 offset1:2
	v_add_u32_e32 v22, v4, v5
	s_waitcnt lgkmcnt(0)
	v_fma_f32 v19, -v8, v13, 1.0
	v_div_scale_f32 v15, s[8:9], v19, v19, 1.0
	v_div_scale_f32 v16, vcc, 1.0, v19, 1.0
	v_rcp_f32_e32 v17, v15
	v_fma_f32 v18, -v15, v17, 1.0
	v_fmac_f32_e32 v17, v18, v17
	v_mul_f32_e32 v18, v16, v17
	v_fma_f32 v20, -v15, v18, v16
	v_fmac_f32_e32 v18, v20, v17
	v_fma_f32 v15, -v15, v18, v16
	v_div_fmas_f32 v20, v15, v17, v18
	ds_read2st64_b64 v[15:18], v22 offset1:2
	v_div_fixup_f32 v23, v20, v19, 1.0
	s_waitcnt lgkmcnt(0)
	v_fma_f32 v19, -v8, v17, v16
	v_mul_f32_e32 v20, v19, v23
	v_fma_f32 v19, -v20, v11, v15
	v_fma_f32 v15, -v13, v16, v17
	v_mul_f32_e32 v15, v23, v15
	v_mul_f32_e32 v8, v8, v9
	v_fma_f32 v16, -v10, v15, v18
	v_mul_f32_e64 v8, v8, -v23
	v_mul_f32_e32 v18, v23, v12
	v_fma_f32 v7, -v8, v11, v7
	v_mul_f32_e64 v17, v18, -v11
	v_mul_f32_e32 v11, v13, v12
	v_mul_f32_e64 v11, v11, -v23
	v_mul_f32_e32 v9, v23, v9
	v_fma_f32 v12, -v11, v10, v14
	v_mul_f32_e64 v10, v9, -v10
	ds_write2st64_b64 v22, v[19:20], v[15:16] offset1:2
	ds_write2st64_b64 v21, v[17:18], v[11:12] offset1:2
	;; [unrolled: 1-line block ×3, first 2 shown]
.LBB25_14:
	s_or_b64 exec, exec, s[2:3]
	v_cmp_gt_u32_e32 vcc, 64, v0
	s_waitcnt lgkmcnt(0)
	s_barrier
	s_and_saveexec_b64 s[2:3], vcc
	s_cbranch_execz .LBB25_16
; %bb.15:
	v_lshlrev_b32_e32 v2, 4, v0
	v_add_u32_e32 v18, 0x800, v2
	v_add_u32_e32 v19, 0x400, v2
	ds_read2_b32 v[7:8], v18 offset1:2
	ds_read2_b32 v[9:10], v19 offset0:1 offset1:3
	s_waitcnt lgkmcnt(0)
	v_fma_f32 v11, -v8, v9, 1.0
	v_div_scale_f32 v12, s[8:9], v11, v11, 1.0
	v_rcp_f32_e32 v13, v12
	v_fma_f32 v14, -v12, v13, 1.0
	v_fmac_f32_e32 v13, v14, v13
	v_div_scale_f32 v14, vcc, 1.0, v11, 1.0
	v_mul_f32_e32 v15, v14, v13
	v_fma_f32 v16, -v12, v15, v14
	v_fmac_f32_e32 v15, v16, v13
	v_fma_f32 v12, -v12, v15, v14
	v_div_fmas_f32 v12, v12, v13, v15
	v_mad_u32_u24 v16, v0, 12, v4
	v_add_u32_e32 v21, 0x400, v16
	v_div_fixup_f32 v20, v12, v11, 1.0
	ds_read2_b32 v[11:12], v21 offset0:1 offset1:3
	ds_read2_b32 v[13:14], v16 offset1:2
	s_waitcnt lgkmcnt(0)
	v_fma_f32 v15, -v9, v14, v11
	v_mul_f32_e32 v22, v20, v15
	v_fma_f32 v11, -v8, v11, v14
	ds_read2_b32 v[14:15], v2 offset1:2
	v_mul_f32_e32 v11, v11, v20
	s_waitcnt lgkmcnt(0)
	v_fma_f32 v13, -v11, v14, v13
	ds_write2_b32 v16, v13, v11 offset1:2
	v_add_u32_e32 v11, 0xc00, v2
	ds_read2_b32 v[16:17], v11 offset0:1 offset1:3
	v_mul_f32_e32 v9, v9, v15
	v_mul_f32_e64 v9, v9, -v20
	s_waitcnt lgkmcnt(0)
	v_mul_f32_e32 v8, v8, v16
	v_fma_f32 v12, -v17, v22, v12
	v_mul_f32_e64 v8, v8, -v20
	ds_write2_b32 v21, v22, v12 offset0:1 offset1:3
	v_mul_f32_e32 v12, v20, v15
	v_fma_f32 v7, -v8, v14, v7
	ds_write2_b32 v18, v7, v8 offset1:2
	v_mul_f32_e64 v7, v12, -v14
	v_mul_f32_e32 v13, v20, v16
	ds_write2_b32 v2, v7, v12 offset1:2
	v_fma_f32 v2, -v9, v17, v10
	ds_write2_b32 v19, v9, v2 offset0:1 offset1:3
	v_mul_f32_e64 v2, v13, -v17
	ds_write2_b32 v11, v13, v2 offset0:1 offset1:3
.LBB25_16:
	s_or_b64 exec, exec, s[2:3]
	v_cmp_gt_u32_e32 vcc, 32, v0
	s_waitcnt lgkmcnt(0)
	s_barrier
	s_and_saveexec_b64 s[2:3], vcc
	s_cbranch_execz .LBB25_18
; %bb.17:
	v_lshlrev_b32_e32 v2, 5, v0
	v_add_u32_e32 v18, 0x800, v2
	v_add_u32_e32 v19, 0x400, v2
	ds_read2_b32 v[7:8], v18 offset1:4
	ds_read2_b32 v[9:10], v19 offset0:3 offset1:7
	v_add_u32_e32 v21, 0x1400, v2
	s_waitcnt lgkmcnt(0)
	v_fma_f32 v11, -v8, v9, 1.0
	v_div_scale_f32 v12, s[8:9], v11, v11, 1.0
	v_rcp_f32_e32 v13, v12
	v_fma_f32 v14, -v12, v13, 1.0
	v_fmac_f32_e32 v13, v14, v13
	v_div_scale_f32 v14, vcc, 1.0, v11, 1.0
	v_mul_f32_e32 v15, v14, v13
	v_fma_f32 v16, -v12, v15, v14
	v_fmac_f32_e32 v15, v16, v13
	v_fma_f32 v12, -v12, v15, v14
	v_div_fmas_f32 v12, v12, v13, v15
	v_add_u32_e32 v16, 0x1000, v2
	ds_read2_b32 v[13:14], v16 offset1:4
	v_div_fixup_f32 v20, v12, v11, 1.0
	ds_read2_b32 v[11:12], v21 offset0:3 offset1:7
	s_waitcnt lgkmcnt(0)
	v_fma_f32 v15, -v9, v14, v11
	v_mul_f32_e32 v22, v20, v15
	v_fma_f32 v11, -v8, v11, v14
	ds_read2_b32 v[14:15], v2 offset1:4
	v_mul_f32_e32 v11, v11, v20
	s_waitcnt lgkmcnt(0)
	v_fma_f32 v13, -v11, v14, v13
	ds_write2_b32 v16, v13, v11 offset1:4
	v_add_u32_e32 v11, 0xc00, v2
	ds_read2_b32 v[16:17], v11 offset0:3 offset1:7
	v_mul_f32_e32 v9, v9, v15
	v_mul_f32_e64 v9, v9, -v20
	s_waitcnt lgkmcnt(0)
	v_mul_f32_e32 v8, v8, v16
	v_fma_f32 v12, -v17, v22, v12
	v_mul_f32_e64 v8, v8, -v20
	ds_write2_b32 v21, v22, v12 offset0:3 offset1:7
	v_mul_f32_e32 v12, v20, v15
	v_fma_f32 v7, -v8, v14, v7
	ds_write2_b32 v18, v7, v8 offset1:4
	v_mul_f32_e64 v7, v12, -v14
	v_mul_f32_e32 v13, v20, v16
	ds_write2_b32 v2, v7, v12 offset1:4
	v_fma_f32 v2, -v9, v17, v10
	ds_write2_b32 v19, v9, v2 offset0:3 offset1:7
	v_mul_f32_e64 v2, v13, -v17
	ds_write2_b32 v11, v13, v2 offset0:3 offset1:7
.LBB25_18:
	s_or_b64 exec, exec, s[2:3]
	v_cmp_gt_u32_e32 vcc, 16, v0
	s_waitcnt lgkmcnt(0)
	s_barrier
	s_and_saveexec_b64 s[2:3], vcc
	s_cbranch_execz .LBB25_20
; %bb.19:
	v_lshlrev_b32_e32 v2, 6, v0
	v_add_u32_e32 v18, 0x800, v2
	v_add_u32_e32 v19, 0x400, v2
	ds_read2_b32 v[7:8], v18 offset1:8
	ds_read2_b32 v[9:10], v19 offset0:7 offset1:15
	v_add_u32_e32 v21, 0x1400, v2
	s_waitcnt lgkmcnt(0)
	v_fma_f32 v11, -v8, v9, 1.0
	v_div_scale_f32 v12, s[8:9], v11, v11, 1.0
	v_rcp_f32_e32 v13, v12
	v_fma_f32 v14, -v12, v13, 1.0
	v_fmac_f32_e32 v13, v14, v13
	v_div_scale_f32 v14, vcc, 1.0, v11, 1.0
	v_mul_f32_e32 v15, v14, v13
	v_fma_f32 v16, -v12, v15, v14
	v_fmac_f32_e32 v15, v16, v13
	v_fma_f32 v12, -v12, v15, v14
	v_div_fmas_f32 v12, v12, v13, v15
	v_add_u32_e32 v16, 0x1000, v2
	ds_read2_b32 v[13:14], v16 offset1:8
	v_div_fixup_f32 v20, v12, v11, 1.0
	ds_read2_b32 v[11:12], v21 offset0:7 offset1:15
	s_waitcnt lgkmcnt(0)
	v_fma_f32 v15, -v9, v14, v11
	v_mul_f32_e32 v22, v20, v15
	v_fma_f32 v11, -v8, v11, v14
	ds_read2_b32 v[14:15], v2 offset1:8
	v_mul_f32_e32 v11, v11, v20
	s_waitcnt lgkmcnt(0)
	v_fma_f32 v13, -v11, v14, v13
	ds_write2_b32 v16, v13, v11 offset1:8
	v_add_u32_e32 v11, 0xc00, v2
	ds_read2_b32 v[16:17], v11 offset0:7 offset1:15
	v_mul_f32_e32 v9, v9, v15
	v_mul_f32_e64 v9, v9, -v20
	s_waitcnt lgkmcnt(0)
	v_mul_f32_e32 v8, v8, v16
	v_fma_f32 v12, -v17, v22, v12
	v_mul_f32_e64 v8, v8, -v20
	ds_write2_b32 v21, v22, v12 offset0:7 offset1:15
	v_mul_f32_e32 v12, v20, v15
	v_fma_f32 v7, -v8, v14, v7
	ds_write2_b32 v18, v7, v8 offset1:8
	v_mul_f32_e64 v7, v12, -v14
	v_mul_f32_e32 v13, v20, v16
	ds_write2_b32 v2, v7, v12 offset1:8
	v_fma_f32 v2, -v9, v17, v10
	ds_write2_b32 v19, v9, v2 offset0:7 offset1:15
	v_mul_f32_e64 v2, v13, -v17
	ds_write2_b32 v11, v13, v2 offset0:7 offset1:15
.LBB25_20:
	;; [unrolled: 58-line block ×4, first 2 shown]
	s_or_b64 exec, exec, s[2:3]
	v_cmp_gt_u32_e32 vcc, 2, v0
	s_waitcnt lgkmcnt(0)
	s_barrier
	s_and_saveexec_b64 s[2:3], vcc
	s_cbranch_execz .LBB25_26
; %bb.25:
	v_lshlrev_b32_e32 v2, 9, v0
	v_add_u32_e32 v19, 0xfc, v2
	ds_read2st64_b32 v[7:8], v19 offset0:4 offset1:5
	ds_read2st64_b32 v[9:10], v2 offset0:8 offset1:9
	;; [unrolled: 1-line block ×3, first 2 shown]
	ds_read2st64_b32 v[13:14], v2 offset1:1
	ds_read2st64_b32 v[15:16], v19 offset0:12 offset1:13
	s_waitcnt lgkmcnt(3)
	v_fma_f32 v20, -v10, v7, 1.0
	v_div_scale_f32 v17, s[8:9], v20, v20, 1.0
	v_div_scale_f32 v18, vcc, 1.0, v20, 1.0
	v_rcp_f32_e32 v21, v17
	v_fma_f32 v22, -v17, v21, 1.0
	v_fmac_f32_e32 v21, v22, v21
	v_mul_f32_e32 v22, v18, v21
	v_fma_f32 v23, -v17, v22, v18
	v_fmac_f32_e32 v22, v23, v21
	v_fma_f32 v17, -v17, v22, v18
	v_div_fmas_f32 v21, v17, v21, v22
	ds_read2st64_b32 v[17:18], v19 offset0:20 offset1:21
	s_waitcnt lgkmcnt(0)
	v_fma_f32 v22, -v7, v12, v17
	v_fma_f32 v12, -v10, v17, v12
	v_mul_f32_e32 v7, v7, v14
	v_mul_f32_e32 v10, v10, v15
	v_div_fixup_f32 v17, v21, v20, 1.0
	v_mul_f32_e32 v12, v12, v17
	v_mul_f32_e32 v20, v17, v22
	v_mul_f32_e64 v7, v7, -v17
	v_fma_f32 v11, -v12, v13, v11
	v_mul_f32_e32 v14, v17, v14
	v_mul_f32_e64 v10, v10, -v17
	v_mul_f32_e32 v15, v17, v15
	v_fma_f32 v17, -v16, v20, v18
	v_fma_f32 v9, -v10, v13, v9
	v_mul_f32_e64 v13, v14, -v13
	v_fma_f32 v8, -v7, v16, v8
	v_mul_f32_e64 v16, v15, -v16
	ds_write2st64_b32 v2, v11, v12 offset0:16 offset1:17
	ds_write2st64_b32 v19, v20, v17 offset0:20 offset1:21
	;; [unrolled: 1-line block ×3, first 2 shown]
	ds_write2st64_b32 v2, v13, v14 offset1:1
	ds_write2st64_b32 v19, v7, v8 offset0:4 offset1:5
	ds_write2st64_b32 v19, v15, v16 offset0:12 offset1:13
.LBB25_26:
	s_or_b64 exec, exec, s[2:3]
	v_cmp_eq_u32_e64 s[2:3], 0, v0
	s_waitcnt lgkmcnt(0)
	s_barrier
	s_and_saveexec_b64 s[8:9], s[2:3]
	s_cbranch_execz .LBB25_28
; %bb.27:
	s_movk_i32 s10, 0xa00
	v_add_u32_e64 v2, s10, 0
	v_mov_b32_e32 v0, 0
	ds_read2_b32 v[7:8], v2 offset1:255
	ds_read_b32 v13, v0 offset:1532
	v_mov_b32_e32 v17, 0xffc
	s_waitcnt lgkmcnt(0)
	v_fma_f32 v9, -v7, v13, 1.0
	v_div_scale_f32 v10, s[10:11], v9, v9, 1.0
	s_movk_i32 s10, 0x1200
	v_rcp_f32_e32 v11, v10
	v_fma_f32 v12, -v10, v11, 1.0
	v_fmac_f32_e32 v11, v12, v11
	v_div_scale_f32 v12, vcc, 1.0, v9, 1.0
	v_mul_f32_e32 v14, v12, v11
	v_fma_f32 v15, -v10, v14, v12
	v_fmac_f32_e32 v14, v15, v11
	v_fma_f32 v10, -v10, v14, v12
	v_div_fmas_f32 v10, v10, v11, v14
	v_add_u32_e64 v11, s10, 0
	v_div_fixup_f32 v14, v10, v9, 1.0
	ds_read2_b32 v[9:10], v11 offset1:255
	s_waitcnt lgkmcnt(0)
	v_fma_f32 v12, -v13, v9, v10
	v_fma_f32 v9, -v7, v10, v9
	v_mul_f32_e32 v15, v14, v12
	v_mul_f32_e32 v16, v9, v14
	ds_write2_b32 v11, v16, v15 offset1:255
	ds_read2_b32 v[9:10], v17 offset1:1
	ds_read2st64_b32 v[11:12], v0 offset1:2
	v_mul_f32_e32 v7, v7, v8
	s_waitcnt lgkmcnt(0)
	v_fma_f32 v10, -v16, v11, v10
	ds_read_b32 v16, v0 offset:6140
	v_mul_f32_e32 v13, v13, v12
	v_mul_f32_e64 v13, v13, -v14
	v_mul_f32_e32 v12, v14, v12
	ds_write_b32 v0, v13 offset:1532
	s_waitcnt lgkmcnt(1)
	v_fma_f32 v15, -v9, v15, v16
	ds_write_b32 v0, v15 offset:6140
	v_mul_f32_e64 v15, v7, -v14
	v_mul_f32_e32 v14, v14, v8
	ds_write2_b32 v2, v15, v14 offset1:255
	v_mov_b32_e32 v2, 0x7fc
	ds_read2_b32 v[7:8], v2 offset1:1
	s_waitcnt lgkmcnt(0)
	v_fma_f32 v8, -v15, v11, v8
	v_mul_f32_e64 v11, v12, -v11
	ds_write2st64_b32 v0, v11, v12 offset1:2
	v_fma_f32 v0, -v13, v9, v7
	ds_write2_b32 v2, v0, v8 offset1:1
	v_mul_f32_e64 v0, v14, -v9
	ds_write2_b32 v17, v0, v10 offset1:1
.LBB25_28:
	s_or_b64 exec, exec, s[8:9]
	s_load_dwordx2 s[14:15], s[4:5], 0x48
	s_load_dwordx4 s[8:11], s[4:5], 0x38
	s_waitcnt lgkmcnt(0)
	s_barrier
	s_and_saveexec_b64 s[16:17], s[0:1]
	s_cbranch_execnz .LBB25_31
; %bb.29:
	s_or_b64 exec, exec, s[16:17]
	s_and_saveexec_b64 s[0:1], s[2:3]
	s_cbranch_execnz .LBB25_35
.LBB25_30:
	s_endpgm
.LBB25_31:
	s_cmp_eq_u32 s7, 0
	s_cbranch_scc1 .LBB25_39
; %bb.32:
	s_mul_i32 s18, s18, 3
	s_cbranch_execnz .LBB25_34
.LBB25_33:
	s_load_dwordx4 s[20:23], s[4:5], 0x28
	v_ashrrev_i32_e32 v2, 31, v1
	v_lshlrev_b64 v[8:9], 2, v[1:2]
	ds_read2st64_b32 v[6:7], v6 offset1:4
	s_mov_b32 s18, s19
	s_waitcnt lgkmcnt(0)
	v_mov_b32_e32 v0, s21
	v_add_co_u32_e32 v10, vcc, s20, v8
	v_addc_co_u32_e32 v11, vcc, v0, v9, vcc
	v_add_u32_e32 v0, s19, v1
	v_mov_b32_e32 v1, 0
	v_lshlrev_b64 v[0:1], 2, v[0:1]
	global_store_dword v[10:11], v6, off
	v_mov_b32_e32 v2, s21
	v_add_co_u32_e32 v10, vcc, s20, v0
	v_addc_co_u32_e32 v11, vcc, v2, v1, vcc
	ds_read2st64_b32 v[5:6], v5 offset1:4
	global_store_dword v[10:11], v7, off
	v_mov_b32_e32 v2, s23
	v_add_co_u32_e32 v7, vcc, s22, v8
	v_addc_co_u32_e32 v8, vcc, v2, v9, vcc
	v_add_co_u32_e32 v0, vcc, s22, v0
	v_addc_co_u32_e32 v1, vcc, v2, v1, vcc
	s_waitcnt lgkmcnt(0)
	global_store_dword v[7:8], v5, off
	global_store_dword v[0:1], v6, off
.LBB25_34:
	ds_read2st64_b32 v[0:1], v4 offset1:4
	v_ashrrev_i32_e32 v4, 31, v3
	v_lshlrev_b64 v[4:5], 2, v[3:4]
	v_mov_b32_e32 v2, s13
	v_add_co_u32_e32 v4, vcc, s12, v4
	v_addc_co_u32_e32 v5, vcc, v2, v5, vcc
	v_add_u32_e32 v2, s18, v3
	v_mov_b32_e32 v3, 0
	v_lshlrev_b64 v[2:3], 2, v[2:3]
	s_waitcnt lgkmcnt(0)
	global_store_dword v[4:5], v0, off
	v_mov_b32_e32 v0, s13
	v_add_co_u32_e32 v2, vcc, s12, v2
	v_addc_co_u32_e32 v3, vcc, v0, v3, vcc
	global_store_dword v[2:3], v1, off
	s_or_b64 exec, exec, s[16:17]
	s_and_saveexec_b64 s[0:1], s[2:3]
	s_cbranch_execz .LBB25_30
.LBB25_35:
	s_cmp_eq_u32 s7, 0
	s_cbranch_scc1 .LBB25_40
; %bb.36:
	s_load_dword s2, s[4:5], 0x50
	s_cbranch_execnz .LBB25_38
.LBB25_37:
	v_mov_b32_e32 v0, 0x7fc
	ds_read2_b32 v[0:1], v0 offset1:1
	s_waitcnt lgkmcnt(0)
	s_load_dword s2, s[4:5], 0x50
	s_mov_b32 s0, s7
	s_ashr_i32 s7, s6, 31
	s_lshl_b64 s[12:13], s[6:7], 2
	s_mov_b32 s7, s0
	s_add_u32 s0, s10, s12
	s_addc_u32 s1, s11, s13
	v_mov_b32_e32 v2, 0
	ds_read_b32 v3, v2 offset:4092
	ds_read_b32 v4, v2
	global_store_dword v2, v1, s[0:1]
	s_waitcnt lgkmcnt(0)
	s_add_i32 s0, s2, s6
	s_mov_b32 s1, 0
	s_lshl_b64 s[0:1], s[0:1], 2
	s_add_u32 s4, s10, s0
	s_addc_u32 s5, s11, s1
	global_store_dword v2, v3, s[4:5]
	s_add_u32 s4, s14, s12
	s_addc_u32 s5, s15, s13
	s_add_u32 s0, s14, s0
	s_addc_u32 s1, s15, s1
	global_store_dword v2, v4, s[4:5]
	global_store_dword v2, v0, s[0:1]
.LBB25_38:
	s_waitcnt lgkmcnt(0)
	s_mul_i32 s0, s2, s7
	s_lshl_b32 s0, s0, 1
	s_add_i32 s0, s0, s6
	s_mov_b32 s1, 0
	v_mov_b32_e32 v0, 0
	s_lshl_b64 s[4:5], s[0:1], 2
	ds_read_b32 v1, v0 offset:4096
	ds_read_b32 v2, v0 offset:6140
	s_add_u32 s4, s8, s4
	s_addc_u32 s5, s9, s5
	s_add_i32 s0, s0, s2
	s_lshl_b64 s[0:1], s[0:1], 2
	s_add_u32 s0, s8, s0
	s_addc_u32 s1, s9, s1
	s_waitcnt lgkmcnt(1)
	global_store_dword v0, v1, s[4:5]
	s_waitcnt lgkmcnt(0)
	global_store_dword v0, v2, s[0:1]
	s_endpgm
.LBB25_39:
                                        ; implicit-def: $sgpr18
	s_branch .LBB25_33
.LBB25_40:
                                        ; implicit-def: $sgpr2
	s_branch .LBB25_37
	.section	.rodata,"a",@progbits
	.p2align	6, 0x0
	.amdhsa_kernel _ZN9rocsparseL29gtsv_spike_block_level_kernelILj256ELj4EfEEviiiPT1_PKS1_S4_S2_S2_S2_S2_S2_
		.amdhsa_group_segment_fixed_size 6144
		.amdhsa_private_segment_fixed_size 0
		.amdhsa_kernarg_size 336
		.amdhsa_user_sgpr_count 6
		.amdhsa_user_sgpr_private_segment_buffer 1
		.amdhsa_user_sgpr_dispatch_ptr 0
		.amdhsa_user_sgpr_queue_ptr 0
		.amdhsa_user_sgpr_kernarg_segment_ptr 1
		.amdhsa_user_sgpr_dispatch_id 0
		.amdhsa_user_sgpr_flat_scratch_init 0
		.amdhsa_user_sgpr_private_segment_size 0
		.amdhsa_uses_dynamic_stack 0
		.amdhsa_system_sgpr_private_segment_wavefront_offset 0
		.amdhsa_system_sgpr_workgroup_id_x 1
		.amdhsa_system_sgpr_workgroup_id_y 1
		.amdhsa_system_sgpr_workgroup_id_z 0
		.amdhsa_system_sgpr_workgroup_info 0
		.amdhsa_system_vgpr_workitem_id 0
		.amdhsa_next_free_vgpr 24
		.amdhsa_next_free_sgpr 24
		.amdhsa_reserve_vcc 1
		.amdhsa_reserve_flat_scratch 0
		.amdhsa_float_round_mode_32 0
		.amdhsa_float_round_mode_16_64 0
		.amdhsa_float_denorm_mode_32 3
		.amdhsa_float_denorm_mode_16_64 3
		.amdhsa_dx10_clamp 1
		.amdhsa_ieee_mode 1
		.amdhsa_fp16_overflow 0
		.amdhsa_exception_fp_ieee_invalid_op 0
		.amdhsa_exception_fp_denorm_src 0
		.amdhsa_exception_fp_ieee_div_zero 0
		.amdhsa_exception_fp_ieee_overflow 0
		.amdhsa_exception_fp_ieee_underflow 0
		.amdhsa_exception_fp_ieee_inexact 0
		.amdhsa_exception_int_div_zero 0
	.end_amdhsa_kernel
	.section	.text._ZN9rocsparseL29gtsv_spike_block_level_kernelILj256ELj4EfEEviiiPT1_PKS1_S4_S2_S2_S2_S2_S2_,"axG",@progbits,_ZN9rocsparseL29gtsv_spike_block_level_kernelILj256ELj4EfEEviiiPT1_PKS1_S4_S2_S2_S2_S2_S2_,comdat
.Lfunc_end25:
	.size	_ZN9rocsparseL29gtsv_spike_block_level_kernelILj256ELj4EfEEviiiPT1_PKS1_S4_S2_S2_S2_S2_S2_, .Lfunc_end25-_ZN9rocsparseL29gtsv_spike_block_level_kernelILj256ELj4EfEEviiiPT1_PKS1_S4_S2_S2_S2_S2_S2_
                                        ; -- End function
	.set _ZN9rocsparseL29gtsv_spike_block_level_kernelILj256ELj4EfEEviiiPT1_PKS1_S4_S2_S2_S2_S2_S2_.num_vgpr, 24
	.set _ZN9rocsparseL29gtsv_spike_block_level_kernelILj256ELj4EfEEviiiPT1_PKS1_S4_S2_S2_S2_S2_S2_.num_agpr, 0
	.set _ZN9rocsparseL29gtsv_spike_block_level_kernelILj256ELj4EfEEviiiPT1_PKS1_S4_S2_S2_S2_S2_S2_.numbered_sgpr, 24
	.set _ZN9rocsparseL29gtsv_spike_block_level_kernelILj256ELj4EfEEviiiPT1_PKS1_S4_S2_S2_S2_S2_S2_.num_named_barrier, 0
	.set _ZN9rocsparseL29gtsv_spike_block_level_kernelILj256ELj4EfEEviiiPT1_PKS1_S4_S2_S2_S2_S2_S2_.private_seg_size, 0
	.set _ZN9rocsparseL29gtsv_spike_block_level_kernelILj256ELj4EfEEviiiPT1_PKS1_S4_S2_S2_S2_S2_S2_.uses_vcc, 1
	.set _ZN9rocsparseL29gtsv_spike_block_level_kernelILj256ELj4EfEEviiiPT1_PKS1_S4_S2_S2_S2_S2_S2_.uses_flat_scratch, 0
	.set _ZN9rocsparseL29gtsv_spike_block_level_kernelILj256ELj4EfEEviiiPT1_PKS1_S4_S2_S2_S2_S2_S2_.has_dyn_sized_stack, 0
	.set _ZN9rocsparseL29gtsv_spike_block_level_kernelILj256ELj4EfEEviiiPT1_PKS1_S4_S2_S2_S2_S2_S2_.has_recursion, 0
	.set _ZN9rocsparseL29gtsv_spike_block_level_kernelILj256ELj4EfEEviiiPT1_PKS1_S4_S2_S2_S2_S2_S2_.has_indirect_call, 0
	.section	.AMDGPU.csdata,"",@progbits
; Kernel info:
; codeLenInByte = 3864
; TotalNumSgprs: 28
; NumVgprs: 24
; ScratchSize: 0
; MemoryBound: 0
; FloatMode: 240
; IeeeMode: 1
; LDSByteSize: 6144 bytes/workgroup (compile time only)
; SGPRBlocks: 3
; VGPRBlocks: 5
; NumSGPRsForWavesPerEU: 28
; NumVGPRsForWavesPerEU: 24
; Occupancy: 10
; WaveLimiterHint : 0
; COMPUTE_PGM_RSRC2:SCRATCH_EN: 0
; COMPUTE_PGM_RSRC2:USER_SGPR: 6
; COMPUTE_PGM_RSRC2:TRAP_HANDLER: 0
; COMPUTE_PGM_RSRC2:TGID_X_EN: 1
; COMPUTE_PGM_RSRC2:TGID_Y_EN: 1
; COMPUTE_PGM_RSRC2:TGID_Z_EN: 0
; COMPUTE_PGM_RSRC2:TIDIG_COMP_CNT: 0
	.section	.text._ZN9rocsparseL33gtsv_solve_spike_propagate_kernelILj256ELj4EfEEviiiPT1_PKS1_S4_S4_,"axG",@progbits,_ZN9rocsparseL33gtsv_solve_spike_propagate_kernelILj256ELj4EfEEviiiPT1_PKS1_S4_S4_,comdat
	.globl	_ZN9rocsparseL33gtsv_solve_spike_propagate_kernelILj256ELj4EfEEviiiPT1_PKS1_S4_S4_ ; -- Begin function _ZN9rocsparseL33gtsv_solve_spike_propagate_kernelILj256ELj4EfEEviiiPT1_PKS1_S4_S4_
	.p2align	8
	.type	_ZN9rocsparseL33gtsv_solve_spike_propagate_kernelILj256ELj4EfEEviiiPT1_PKS1_S4_S4_,@function
_ZN9rocsparseL33gtsv_solve_spike_propagate_kernelILj256ELj4EfEEviiiPT1_PKS1_S4_S4_: ; @_ZN9rocsparseL33gtsv_solve_spike_propagate_kernelILj256ELj4EfEEviiiPT1_PKS1_S4_S4_
; %bb.0:
	s_load_dword s10, s[4:5], 0x0
	v_lshl_or_b32 v1, s6, 8, v0
	v_mov_b32_e32 v4, 0
	v_ashrrev_i32_e32 v2, 31, v1
	v_mov_b32_e32 v5, 0
	s_waitcnt lgkmcnt(0)
	s_lshr_b32 s12, s10, 2
	v_cmp_le_i32_e64 s[0:1], s12, v1
	v_cmp_gt_i32_e32 vcc, s12, v1
	s_and_saveexec_b64 s[8:9], vcc
	s_cbranch_execz .LBB26_2
; %bb.1:
	s_load_dwordx2 s[14:15], s[4:5], 0x18
	v_lshlrev_b64 v[3:4], 2, v[1:2]
	v_mad_u64_u32 v[5:6], s[2:3], s12, 3, v[1:2]
	s_waitcnt lgkmcnt(0)
	v_mov_b32_e32 v6, s15
	v_add_co_u32_e64 v7, s[2:3], s14, v3
	v_addc_co_u32_e64 v8, s[2:3], v6, v4, s[2:3]
	v_mov_b32_e32 v6, 0
	v_lshlrev_b64 v[3:4], 2, v[5:6]
	v_mov_b32_e32 v5, s15
	v_add_co_u32_e64 v9, s[2:3], s14, v3
	v_addc_co_u32_e64 v10, s[2:3], v5, v4, s[2:3]
	global_load_dword v4, v[7:8], off
	global_load_dword v5, v[9:10], off
.LBB26_2:
	s_or_b64 exec, exec, s[8:9]
	s_load_dwordx2 s[2:3], s[4:5], 0x10
	v_lshlrev_b32_e32 v3, 2, v0
	v_add_u32_e32 v6, 16, v3
	s_waitcnt vmcnt(0)
	ds_write2st64_b32 v6, v4, v5 offset0:16 offset1:20
	s_and_saveexec_b64 s[8:9], s[0:1]
	s_xor_b64 s[0:1], exec, s[8:9]
; %bb.3:
	v_mov_b32_e32 v2, 0
	ds_write2st64_b32 v6, v2, v2 offset0:8 offset1:12
; %bb.4:
	s_or_saveexec_b64 s[8:9], s[0:1]
	v_mov_b32_e32 v4, 0
	s_mul_i32 s10, s10, s7
	v_mov_b32_e32 v5, 0
	s_xor_b64 exec, exec, s[8:9]
	s_cbranch_execz .LBB26_6
; %bb.5:
	s_load_dwordx2 s[14:15], s[4:5], 0x20
	v_mad_u64_u32 v[7:8], s[0:1], s12, 3, v[1:2]
	v_lshlrev_b64 v[5:6], 2, v[1:2]
	v_mov_b32_e32 v8, 0
	s_waitcnt lgkmcnt(0)
	v_mov_b32_e32 v2, s15
	v_add_co_u32_e64 v5, s[0:1], s14, v5
	v_lshlrev_b64 v[9:10], 2, v[7:8]
	v_addc_co_u32_e64 v6, s[0:1], v2, v6, s[0:1]
	v_add_co_u32_e64 v9, s[0:1], s14, v9
	v_add_u32_e32 v7, s10, v7
	v_addc_co_u32_e64 v10, s[0:1], v2, v10, s[0:1]
	global_load_dword v2, v[5:6], off
	global_load_dword v11, v[9:10], off
	v_lshlrev_b64 v[5:6], 2, v[7:8]
	v_mov_b32_e32 v7, s3
	v_add_co_u32_e64 v5, s[0:1], s2, v5
	v_addc_co_u32_e64 v6, s[0:1], v7, v6, s[0:1]
	global_load_dword v5, v[5:6], off
	v_add_u32_e32 v6, 16, v3
	s_waitcnt vmcnt(1)
	ds_write2st64_b32 v6, v2, v11 offset0:8 offset1:12
.LBB26_6:
	s_or_b64 exec, exec, s[8:9]
	v_add_u32_e32 v1, s10, v1
	s_waitcnt vmcnt(0)
	ds_write_b32 v3, v5 offset:4
	s_and_saveexec_b64 s[8:9], vcc
	s_cbranch_execz .LBB26_8
; %bb.7:
	v_ashrrev_i32_e32 v2, 31, v1
	v_lshlrev_b64 v[4:5], 2, v[1:2]
	s_waitcnt lgkmcnt(0)
	v_mov_b32_e32 v2, s3
	v_add_co_u32_e64 v4, s[0:1], s2, v4
	v_addc_co_u32_e64 v5, s[0:1], v2, v5, s[0:1]
	global_load_dword v4, v[4:5], off
.LBB26_8:
	s_or_b64 exec, exec, s[8:9]
	s_mov_b32 s14, 0
	v_cmp_eq_u32_e64 s[0:1], 0, v0
	s_waitcnt vmcnt(0)
	ds_write_b32 v3, v4 offset:1028
	s_waitcnt lgkmcnt(0)
	s_barrier
	s_and_saveexec_b64 s[8:9], s[0:1]
	s_cbranch_execz .LBB26_14
; %bb.9:
	s_load_dword s13, s[4:5], 0x30
	s_load_dwordx2 s[10:11], s[4:5], 0x28
	s_cmp_lt_i32 s6, 1
	s_waitcnt lgkmcnt(0)
	s_mul_i32 s7, s7, s13
	s_cbranch_scc1 .LBB26_11
; %bb.10:
	s_lshl_b32 s4, s7, 1
	s_add_i32 s5, s6, s13
	s_add_i32 s4, s5, s4
	s_add_i32 s4, s4, -1
	s_mov_b32 s5, 0
	s_lshl_b64 s[4:5], s[4:5], 2
	s_add_u32 s4, s10, s4
	s_addc_u32 s5, s11, s5
	s_load_dword s14, s[4:5], 0x0
.LBB26_11:
	s_add_i32 s4, s13, -1
	v_mov_b32_e32 v2, 0
	s_waitcnt lgkmcnt(0)
	v_mov_b32_e32 v4, s14
	s_mov_b32 s5, 0
	s_cmp_ge_u32 s6, s4
	s_mov_b32 s14, 0
	ds_write_b32 v2, v4
	s_cbranch_scc1 .LBB26_13
; %bb.12:
	s_lshl_b32 s4, s7, 1
	s_add_i32 s4, s6, s4
	s_add_i32 s14, s4, 1
	s_mov_b32 s15, 0
	s_lshl_b64 s[14:15], s[14:15], 2
	s_add_u32 s14, s10, s14
	s_addc_u32 s15, s11, s15
	s_load_dword s14, s[14:15], 0x0
.LBB26_13:
	s_lshl_b32 s4, s7, 1
	s_add_i32 s4, s4, s6
	s_lshl_b64 s[6:7], s[4:5], 2
	s_add_u32 s6, s10, s6
	s_addc_u32 s7, s11, s7
	s_add_i32 s4, s4, s13
	s_lshl_b64 s[4:5], s[4:5], 2
	s_add_u32 s4, s10, s4
	s_addc_u32 s5, s11, s5
	s_load_dword s10, s[4:5], 0x0
	s_load_dword s11, s[6:7], 0x0
	s_waitcnt lgkmcnt(0)
	v_mov_b32_e32 v4, s14
	ds_write_b32 v2, v4 offset:2052
	v_mov_b32_e32 v4, s10
	v_mov_b32_e32 v5, s11
	ds_write_b64 v2, v[4:5] offset:1024
.LBB26_14:
	s_or_b64 exec, exec, s[8:9]
	s_waitcnt lgkmcnt(0)
	s_barrier
	s_and_saveexec_b64 s[4:5], s[0:1]
	s_cbranch_execz .LBB26_16
; %bb.15:
	s_movk_i32 s0, 0xa10
	v_mov_b32_e32 v2, 0
	v_add_u32_e64 v6, s0, 0
	v_add_u32_e64 v8, 4, 0
	s_movk_i32 s0, 0x1210
	ds_read2st64_b32 v[4:5], v2 offset1:2
	ds_read2_b32 v[6:7], v6 offset1:255
	ds_read2st64_b32 v[8:9], v8 offset0:6 offset1:8
	v_add_u32_e64 v10, s0, 0
	ds_read2_b32 v[10:11], v10 offset1:255
	s_waitcnt lgkmcnt(1)
	v_fma_f32 v5, -v7, v9, v5
	s_waitcnt lgkmcnt(0)
	v_fma_f32 v5, -v11, v4, v5
	ds_write_b32 v2, v5 offset:512
	v_fma_f32 v5, -v6, v9, v8
	v_fma_f32 v4, -v10, v4, v5
	ds_write_b32 v2, v4 offset:1540
.LBB26_16:
	s_or_b64 exec, exec, s[4:5]
	v_cmp_gt_u32_e64 s[0:1], 2, v0
	s_waitcnt lgkmcnt(0)
	s_barrier
	s_and_saveexec_b64 s[4:5], s[0:1]
	s_cbranch_execz .LBB26_18
; %bb.17:
	s_movk_i32 s0, 0x1fc
	v_mad_u32_u24 v2, v0, s0, v3
	v_lshlrev_b32_e32 v10, 9, v0
	v_add_u32_e32 v6, 0x910, v10
	v_add_u32_e32 v8, 4, v2
	ds_read2st64_b32 v[4:5], v2 offset1:1
	ds_read2_b32 v[6:7], v6 offset1:255
	ds_read2st64_b32 v[8:9], v8 offset0:5 offset1:6
	v_add_u32_e32 v10, 0x1110, v10
	ds_read2_b32 v[10:11], v10 offset1:255
	s_waitcnt lgkmcnt(1)
	v_fma_f32 v5, -v7, v9, v5
	s_waitcnt lgkmcnt(0)
	v_fma_f32 v5, -v11, v4, v5
	ds_write_b32 v2, v5 offset:256
	v_fma_f32 v5, -v6, v9, v8
	v_fma_f32 v4, -v10, v4, v5
	ds_write_b32 v2, v4 offset:1284
.LBB26_18:
	s_or_b64 exec, exec, s[4:5]
	v_cmp_gt_u32_e64 s[0:1], 4, v0
	s_waitcnt lgkmcnt(0)
	s_barrier
	s_and_saveexec_b64 s[4:5], s[0:1]
	s_cbranch_execz .LBB26_20
; %bb.19:
	v_lshlrev_b32_e32 v2, 8, v0
	v_add_u32_e32 v6, 0x890, v2
	v_add_u32_e32 v8, 0x400, v2
	ds_read2_b32 v[4:5], v2 offset1:32
	ds_read2_b32 v[6:7], v6 offset1:255
	ds_read2_b32 v[8:9], v8 offset0:33 offset1:65
	v_add_u32_e32 v10, 0x1090, v2
	ds_read2_b32 v[10:11], v10 offset1:255
	s_waitcnt lgkmcnt(1)
	v_fma_f32 v5, -v7, v9, v5
	s_waitcnt lgkmcnt(0)
	v_fma_f32 v5, -v11, v4, v5
	ds_write_b32 v2, v5 offset:128
	v_fma_f32 v5, -v6, v9, v8
	v_fma_f32 v4, -v10, v4, v5
	ds_write_b32 v2, v4 offset:1156
.LBB26_20:
	s_or_b64 exec, exec, s[4:5]
	v_cmp_gt_u32_e64 s[0:1], 8, v0
	s_waitcnt lgkmcnt(0)
	s_barrier
	s_and_saveexec_b64 s[4:5], s[0:1]
	s_cbranch_execz .LBB26_22
; %bb.21:
	v_lshlrev_b32_e32 v2, 7, v0
	v_add_u32_e32 v6, 0x850, v2
	v_add_u32_e32 v8, 0x400, v2
	ds_read2_b32 v[4:5], v2 offset1:16
	ds_read2_b32 v[6:7], v6 offset1:255
	ds_read2_b32 v[8:9], v8 offset0:17 offset1:33
	v_add_u32_e32 v10, 0x1050, v2
	ds_read2_b32 v[10:11], v10 offset1:255
	s_waitcnt lgkmcnt(1)
	v_fma_f32 v5, -v7, v9, v5
	s_waitcnt lgkmcnt(0)
	v_fma_f32 v5, -v11, v4, v5
	ds_write_b32 v2, v5 offset:64
	v_fma_f32 v5, -v6, v9, v8
	v_fma_f32 v4, -v10, v4, v5
	ds_write_b32 v2, v4 offset:1092
.LBB26_22:
	s_or_b64 exec, exec, s[4:5]
	v_cmp_gt_u32_e64 s[0:1], 16, v0
	s_waitcnt lgkmcnt(0)
	s_barrier
	s_and_saveexec_b64 s[4:5], s[0:1]
	s_cbranch_execz .LBB26_24
; %bb.23:
	v_lshlrev_b32_e32 v2, 6, v0
	v_add_u32_e32 v6, 0x830, v2
	v_add_u32_e32 v8, 0x400, v2
	ds_read2_b32 v[4:5], v2 offset1:8
	ds_read2_b32 v[6:7], v6 offset1:255
	ds_read2_b32 v[8:9], v8 offset0:9 offset1:17
	v_add_u32_e32 v10, 0x1030, v2
	ds_read2_b32 v[10:11], v10 offset1:255
	s_waitcnt lgkmcnt(1)
	v_fma_f32 v5, -v7, v9, v5
	s_waitcnt lgkmcnt(0)
	v_fma_f32 v5, -v11, v4, v5
	ds_write_b32 v2, v5 offset:32
	v_fma_f32 v5, -v6, v9, v8
	v_fma_f32 v4, -v10, v4, v5
	ds_write_b32 v2, v4 offset:1060
.LBB26_24:
	s_or_b64 exec, exec, s[4:5]
	v_cmp_gt_u32_e64 s[0:1], 32, v0
	s_waitcnt lgkmcnt(0)
	s_barrier
	s_and_saveexec_b64 s[4:5], s[0:1]
	s_cbranch_execz .LBB26_26
; %bb.25:
	v_lshlrev_b32_e32 v2, 5, v0
	v_add_u32_e32 v6, 0x820, v2
	v_add_u32_e32 v8, 0x400, v2
	ds_read2_b32 v[4:5], v2 offset1:4
	ds_read2_b32 v[6:7], v6 offset1:255
	ds_read2_b32 v[8:9], v8 offset0:5 offset1:9
	v_add_u32_e32 v10, 0x1020, v2
	ds_read2_b32 v[10:11], v10 offset1:255
	s_waitcnt lgkmcnt(1)
	v_fma_f32 v5, -v7, v9, v5
	s_waitcnt lgkmcnt(0)
	v_fma_f32 v5, -v11, v4, v5
	ds_write_b32 v2, v5 offset:16
	v_fma_f32 v5, -v6, v9, v8
	v_fma_f32 v4, -v10, v4, v5
	ds_write_b32 v2, v4 offset:1044
.LBB26_26:
	s_or_b64 exec, exec, s[4:5]
	v_cmp_gt_u32_e64 s[0:1], 64, v0
	s_waitcnt lgkmcnt(0)
	s_barrier
	s_and_saveexec_b64 s[4:5], s[0:1]
	s_cbranch_execz .LBB26_28
; %bb.27:
	v_lshlrev_b32_e32 v2, 4, v0
	v_add_u32_e32 v6, 0x818, v2
	v_add_u32_e32 v8, 0x400, v2
	ds_read2_b32 v[4:5], v2 offset1:2
	ds_read2_b32 v[6:7], v6 offset1:255
	ds_read2_b32 v[8:9], v8 offset0:3 offset1:5
	v_add_u32_e32 v10, 0x1018, v2
	ds_read2_b32 v[10:11], v10 offset1:255
	s_waitcnt lgkmcnt(1)
	v_fma_f32 v5, -v7, v9, v5
	s_waitcnt lgkmcnt(0)
	v_fma_f32 v5, -v11, v4, v5
	ds_write_b32 v2, v5 offset:8
	v_fma_f32 v5, -v6, v9, v8
	v_fma_f32 v4, -v10, v4, v5
	ds_write_b32 v2, v4 offset:1036
.LBB26_28:
	s_or_b64 exec, exec, s[4:5]
	s_movk_i32 s0, 0x80
	v_cmp_gt_u32_e64 s[0:1], s0, v0
	s_waitcnt lgkmcnt(0)
	s_barrier
	s_and_saveexec_b64 s[4:5], s[0:1]
	s_cbranch_execz .LBB26_30
; %bb.29:
	v_lshlrev_b32_e32 v0, 3, v0
	v_add_u32_e32 v2, 0x814, v0
	ds_read2_b64 v[4:7], v0 offset1:129
	ds_read2_b32 v[8:9], v2 offset1:255
	v_add_u32_e32 v2, 0x1014, v0
	ds_read2_b32 v[10:11], v2 offset1:255
	s_waitcnt lgkmcnt(1)
	v_fma_f32 v2, -v9, v7, v5
	v_fma_f32 v5, -v8, v7, v6
	s_waitcnt lgkmcnt(0)
	v_fma_f32 v2, -v11, v4, v2
	ds_write_b32 v0, v2 offset:4
	v_fma_f32 v2, -v10, v4, v5
	ds_write_b32 v0, v2 offset:1032
.LBB26_30:
	s_or_b64 exec, exec, s[4:5]
	s_waitcnt lgkmcnt(0)
	s_barrier
	s_and_saveexec_b64 s[0:1], vcc
	s_cbranch_execz .LBB26_32
; %bb.31:
	v_add_u32_e32 v0, 4, v3
	ds_read2st64_b32 v[3:4], v0 offset1:4
	v_ashrrev_i32_e32 v2, 31, v1
	v_lshlrev_b64 v[5:6], 2, v[1:2]
	v_mov_b32_e32 v2, s3
	v_mad_u64_u32 v[0:1], s[0:1], s12, 3, v[1:2]
	v_add_co_u32_e32 v1, vcc, s2, v5
	v_addc_co_u32_e32 v2, vcc, v2, v6, vcc
	s_waitcnt lgkmcnt(0)
	global_store_dword v[1:2], v4, off
	v_mov_b32_e32 v1, 0
	v_lshlrev_b64 v[0:1], 2, v[0:1]
	v_mov_b32_e32 v2, s3
	v_add_co_u32_e32 v0, vcc, s2, v0
	v_addc_co_u32_e32 v1, vcc, v2, v1, vcc
	global_store_dword v[0:1], v3, off
.LBB26_32:
	s_endpgm
	.section	.rodata,"a",@progbits
	.p2align	6, 0x0
	.amdhsa_kernel _ZN9rocsparseL33gtsv_solve_spike_propagate_kernelILj256ELj4EfEEviiiPT1_PKS1_S4_S4_
		.amdhsa_group_segment_fixed_size 6160
		.amdhsa_private_segment_fixed_size 0
		.amdhsa_kernarg_size 304
		.amdhsa_user_sgpr_count 6
		.amdhsa_user_sgpr_private_segment_buffer 1
		.amdhsa_user_sgpr_dispatch_ptr 0
		.amdhsa_user_sgpr_queue_ptr 0
		.amdhsa_user_sgpr_kernarg_segment_ptr 1
		.amdhsa_user_sgpr_dispatch_id 0
		.amdhsa_user_sgpr_flat_scratch_init 0
		.amdhsa_user_sgpr_private_segment_size 0
		.amdhsa_uses_dynamic_stack 0
		.amdhsa_system_sgpr_private_segment_wavefront_offset 0
		.amdhsa_system_sgpr_workgroup_id_x 1
		.amdhsa_system_sgpr_workgroup_id_y 1
		.amdhsa_system_sgpr_workgroup_id_z 0
		.amdhsa_system_sgpr_workgroup_info 0
		.amdhsa_system_vgpr_workitem_id 0
		.amdhsa_next_free_vgpr 12
		.amdhsa_next_free_sgpr 16
		.amdhsa_reserve_vcc 1
		.amdhsa_reserve_flat_scratch 0
		.amdhsa_float_round_mode_32 0
		.amdhsa_float_round_mode_16_64 0
		.amdhsa_float_denorm_mode_32 3
		.amdhsa_float_denorm_mode_16_64 3
		.amdhsa_dx10_clamp 1
		.amdhsa_ieee_mode 1
		.amdhsa_fp16_overflow 0
		.amdhsa_exception_fp_ieee_invalid_op 0
		.amdhsa_exception_fp_denorm_src 0
		.amdhsa_exception_fp_ieee_div_zero 0
		.amdhsa_exception_fp_ieee_overflow 0
		.amdhsa_exception_fp_ieee_underflow 0
		.amdhsa_exception_fp_ieee_inexact 0
		.amdhsa_exception_int_div_zero 0
	.end_amdhsa_kernel
	.section	.text._ZN9rocsparseL33gtsv_solve_spike_propagate_kernelILj256ELj4EfEEviiiPT1_PKS1_S4_S4_,"axG",@progbits,_ZN9rocsparseL33gtsv_solve_spike_propagate_kernelILj256ELj4EfEEviiiPT1_PKS1_S4_S4_,comdat
.Lfunc_end26:
	.size	_ZN9rocsparseL33gtsv_solve_spike_propagate_kernelILj256ELj4EfEEviiiPT1_PKS1_S4_S4_, .Lfunc_end26-_ZN9rocsparseL33gtsv_solve_spike_propagate_kernelILj256ELj4EfEEviiiPT1_PKS1_S4_S4_
                                        ; -- End function
	.set _ZN9rocsparseL33gtsv_solve_spike_propagate_kernelILj256ELj4EfEEviiiPT1_PKS1_S4_S4_.num_vgpr, 12
	.set _ZN9rocsparseL33gtsv_solve_spike_propagate_kernelILj256ELj4EfEEviiiPT1_PKS1_S4_S4_.num_agpr, 0
	.set _ZN9rocsparseL33gtsv_solve_spike_propagate_kernelILj256ELj4EfEEviiiPT1_PKS1_S4_S4_.numbered_sgpr, 16
	.set _ZN9rocsparseL33gtsv_solve_spike_propagate_kernelILj256ELj4EfEEviiiPT1_PKS1_S4_S4_.num_named_barrier, 0
	.set _ZN9rocsparseL33gtsv_solve_spike_propagate_kernelILj256ELj4EfEEviiiPT1_PKS1_S4_S4_.private_seg_size, 0
	.set _ZN9rocsparseL33gtsv_solve_spike_propagate_kernelILj256ELj4EfEEviiiPT1_PKS1_S4_S4_.uses_vcc, 1
	.set _ZN9rocsparseL33gtsv_solve_spike_propagate_kernelILj256ELj4EfEEviiiPT1_PKS1_S4_S4_.uses_flat_scratch, 0
	.set _ZN9rocsparseL33gtsv_solve_spike_propagate_kernelILj256ELj4EfEEviiiPT1_PKS1_S4_S4_.has_dyn_sized_stack, 0
	.set _ZN9rocsparseL33gtsv_solve_spike_propagate_kernelILj256ELj4EfEEviiiPT1_PKS1_S4_S4_.has_recursion, 0
	.set _ZN9rocsparseL33gtsv_solve_spike_propagate_kernelILj256ELj4EfEEviiiPT1_PKS1_S4_S4_.has_indirect_call, 0
	.section	.AMDGPU.csdata,"",@progbits
; Kernel info:
; codeLenInByte = 1984
; TotalNumSgprs: 20
; NumVgprs: 12
; ScratchSize: 0
; MemoryBound: 0
; FloatMode: 240
; IeeeMode: 1
; LDSByteSize: 6160 bytes/workgroup (compile time only)
; SGPRBlocks: 2
; VGPRBlocks: 2
; NumSGPRsForWavesPerEU: 20
; NumVGPRsForWavesPerEU: 12
; Occupancy: 10
; WaveLimiterHint : 0
; COMPUTE_PGM_RSRC2:SCRATCH_EN: 0
; COMPUTE_PGM_RSRC2:USER_SGPR: 6
; COMPUTE_PGM_RSRC2:TRAP_HANDLER: 0
; COMPUTE_PGM_RSRC2:TGID_X_EN: 1
; COMPUTE_PGM_RSRC2:TGID_Y_EN: 1
; COMPUTE_PGM_RSRC2:TGID_Z_EN: 0
; COMPUTE_PGM_RSRC2:TIDIG_COMP_CNT: 0
	.section	.text._ZN9rocsparseL39gtsv_spike_backward_substitution_kernelILj256ELj4EfEEviiiPT1_PKS1_S4_,"axG",@progbits,_ZN9rocsparseL39gtsv_spike_backward_substitution_kernelILj256ELj4EfEEviiiPT1_PKS1_S4_,comdat
	.globl	_ZN9rocsparseL39gtsv_spike_backward_substitution_kernelILj256ELj4EfEEviiiPT1_PKS1_S4_ ; -- Begin function _ZN9rocsparseL39gtsv_spike_backward_substitution_kernelILj256ELj4EfEEviiiPT1_PKS1_S4_
	.p2align	8
	.type	_ZN9rocsparseL39gtsv_spike_backward_substitution_kernelILj256ELj4EfEEviiiPT1_PKS1_S4_,@function
_ZN9rocsparseL39gtsv_spike_backward_substitution_kernelILj256ELj4EfEEviiiPT1_PKS1_S4_: ; @_ZN9rocsparseL39gtsv_spike_backward_substitution_kernelILj256ELj4EfEEviiiPT1_PKS1_S4_
; %bb.0:
	s_load_dword s11, s[4:5], 0x0
	v_lshl_or_b32 v2, s6, 8, v0
	s_waitcnt lgkmcnt(0)
	s_lshr_b32 s6, s11, 2
	v_cmp_gt_i32_e32 vcc, s6, v2
	s_and_saveexec_b64 s[0:1], vcc
	s_cbranch_execz .LBB27_6
; %bb.1:
	s_load_dwordx2 s[8:9], s[4:5], 0x10
	v_cmp_lt_i32_e32 vcc, 0, v2
	v_mov_b32_e32 v0, 0
	s_mul_i32 s10, s11, s7
	s_and_saveexec_b64 s[0:1], vcc
	s_cbranch_execz .LBB27_3
; %bb.2:
	s_mul_i32 s2, s6, 3
	s_mul_i32 s3, s11, s7
	s_add_i32 s2, s2, s3
	v_add3_u32 v0, v2, s2, -1
	v_mov_b32_e32 v1, 0
	v_lshlrev_b64 v[0:1], 2, v[0:1]
	s_waitcnt lgkmcnt(0)
	v_mov_b32_e32 v3, s9
	v_add_co_u32_e32 v0, vcc, s8, v0
	v_addc_co_u32_e32 v1, vcc, v3, v1, vcc
	global_load_dword v0, v[0:1], off
.LBB27_3:
	s_or_b64 exec, exec, s[0:1]
	s_load_dwordx4 s[0:3], s[4:5], 0x18
	v_add_u32_e32 v1, 4, v2
	v_cmp_le_u32_e32 vcc, s11, v1
	s_and_saveexec_b64 s[4:5], vcc
	s_xor_b64 s[4:5], exec, s[4:5]
	s_or_saveexec_b64 s[4:5], s[4:5]
	v_mov_b32_e32 v1, 0
	v_mov_b32_e32 v3, s10
	s_xor_b64 exec, exec, s[4:5]
	s_cbranch_execz .LBB27_5
; %bb.4:
	s_ashr_i32 s7, s10, 31
	v_ashrrev_i32_e32 v1, 31, v2
	v_mov_b32_e32 v4, s7
	v_add_co_u32_e32 v3, vcc, s10, v2
	v_addc_co_u32_e32 v4, vcc, v1, v4, vcc
	v_lshlrev_b64 v[3:4], 2, v[3:4]
	s_waitcnt lgkmcnt(0)
	v_mov_b32_e32 v1, s9
	v_add_co_u32_e32 v3, vcc, s8, v3
	v_addc_co_u32_e32 v4, vcc, v1, v4, vcc
	global_load_dword v1, v[3:4], off offset:4
	v_mov_b32_e32 v3, s10
.LBB27_5:
	s_or_b64 exec, exec, s[4:5]
	v_add_u32_e32 v4, s6, v2
	v_add_u32_e32 v5, v4, v3
	v_ashrrev_i32_e32 v6, 31, v5
	v_lshlrev_b64 v[5:6], 2, v[5:6]
	s_waitcnt lgkmcnt(0)
	v_mov_b32_e32 v2, s9
	v_add_co_u32_e32 v7, vcc, s8, v5
	v_ashrrev_i32_e32 v5, 31, v4
	v_addc_co_u32_e32 v8, vcc, v2, v6, vcc
	v_lshlrev_b64 v[5:6], 2, v[4:5]
	v_mov_b32_e32 v2, s1
	v_add_co_u32_e32 v9, vcc, s0, v5
	v_addc_co_u32_e32 v10, vcc, v2, v6, vcc
	v_mov_b32_e32 v2, s3
	v_add_co_u32_e32 v5, vcc, s2, v5
	global_load_dword v11, v[7:8], off
	global_load_dword v12, v[9:10], off
	v_addc_co_u32_e32 v6, vcc, v2, v6, vcc
	global_load_dword v6, v[5:6], off
	v_add_u32_e32 v2, s6, v4
	v_add_u32_e32 v4, v2, v3
	v_ashrrev_i32_e32 v3, 31, v2
	v_lshlrev_b64 v[2:3], 2, v[2:3]
	v_ashrrev_i32_e32 v5, 31, v4
	v_mov_b32_e32 v10, s1
	v_lshlrev_b64 v[4:5], 2, v[4:5]
	v_add_co_u32_e32 v9, vcc, s0, v2
	v_addc_co_u32_e32 v10, vcc, v10, v3, vcc
	v_mov_b32_e32 v13, s9
	v_add_co_u32_e32 v4, vcc, s8, v4
	global_load_dword v9, v[9:10], off
	v_addc_co_u32_e32 v5, vcc, v13, v5, vcc
	v_mov_b32_e32 v14, s3
	v_add_co_u32_e32 v2, vcc, s2, v2
	v_addc_co_u32_e32 v3, vcc, v14, v3, vcc
	global_load_dword v2, v[2:3], off
	s_waitcnt vmcnt(3)
	v_fma_f32 v10, -v0, v12, v11
	s_waitcnt vmcnt(2)
	v_fma_f32 v6, -v1, v6, v10
	global_store_dword v[7:8], v6, off
	global_load_dword v6, v[4:5], off
	s_waitcnt vmcnt(0)
	v_fma_f32 v0, -v0, v9, v6
	v_fma_f32 v0, -v1, v2, v0
	global_store_dword v[4:5], v0, off
.LBB27_6:
	s_endpgm
	.section	.rodata,"a",@progbits
	.p2align	6, 0x0
	.amdhsa_kernel _ZN9rocsparseL39gtsv_spike_backward_substitution_kernelILj256ELj4EfEEviiiPT1_PKS1_S4_
		.amdhsa_group_segment_fixed_size 0
		.amdhsa_private_segment_fixed_size 0
		.amdhsa_kernarg_size 40
		.amdhsa_user_sgpr_count 6
		.amdhsa_user_sgpr_private_segment_buffer 1
		.amdhsa_user_sgpr_dispatch_ptr 0
		.amdhsa_user_sgpr_queue_ptr 0
		.amdhsa_user_sgpr_kernarg_segment_ptr 1
		.amdhsa_user_sgpr_dispatch_id 0
		.amdhsa_user_sgpr_flat_scratch_init 0
		.amdhsa_user_sgpr_private_segment_size 0
		.amdhsa_uses_dynamic_stack 0
		.amdhsa_system_sgpr_private_segment_wavefront_offset 0
		.amdhsa_system_sgpr_workgroup_id_x 1
		.amdhsa_system_sgpr_workgroup_id_y 1
		.amdhsa_system_sgpr_workgroup_id_z 0
		.amdhsa_system_sgpr_workgroup_info 0
		.amdhsa_system_vgpr_workitem_id 0
		.amdhsa_next_free_vgpr 15
		.amdhsa_next_free_sgpr 12
		.amdhsa_reserve_vcc 1
		.amdhsa_reserve_flat_scratch 0
		.amdhsa_float_round_mode_32 0
		.amdhsa_float_round_mode_16_64 0
		.amdhsa_float_denorm_mode_32 3
		.amdhsa_float_denorm_mode_16_64 3
		.amdhsa_dx10_clamp 1
		.amdhsa_ieee_mode 1
		.amdhsa_fp16_overflow 0
		.amdhsa_exception_fp_ieee_invalid_op 0
		.amdhsa_exception_fp_denorm_src 0
		.amdhsa_exception_fp_ieee_div_zero 0
		.amdhsa_exception_fp_ieee_overflow 0
		.amdhsa_exception_fp_ieee_underflow 0
		.amdhsa_exception_fp_ieee_inexact 0
		.amdhsa_exception_int_div_zero 0
	.end_amdhsa_kernel
	.section	.text._ZN9rocsparseL39gtsv_spike_backward_substitution_kernelILj256ELj4EfEEviiiPT1_PKS1_S4_,"axG",@progbits,_ZN9rocsparseL39gtsv_spike_backward_substitution_kernelILj256ELj4EfEEviiiPT1_PKS1_S4_,comdat
.Lfunc_end27:
	.size	_ZN9rocsparseL39gtsv_spike_backward_substitution_kernelILj256ELj4EfEEviiiPT1_PKS1_S4_, .Lfunc_end27-_ZN9rocsparseL39gtsv_spike_backward_substitution_kernelILj256ELj4EfEEviiiPT1_PKS1_S4_
                                        ; -- End function
	.set _ZN9rocsparseL39gtsv_spike_backward_substitution_kernelILj256ELj4EfEEviiiPT1_PKS1_S4_.num_vgpr, 15
	.set _ZN9rocsparseL39gtsv_spike_backward_substitution_kernelILj256ELj4EfEEviiiPT1_PKS1_S4_.num_agpr, 0
	.set _ZN9rocsparseL39gtsv_spike_backward_substitution_kernelILj256ELj4EfEEviiiPT1_PKS1_S4_.numbered_sgpr, 12
	.set _ZN9rocsparseL39gtsv_spike_backward_substitution_kernelILj256ELj4EfEEviiiPT1_PKS1_S4_.num_named_barrier, 0
	.set _ZN9rocsparseL39gtsv_spike_backward_substitution_kernelILj256ELj4EfEEviiiPT1_PKS1_S4_.private_seg_size, 0
	.set _ZN9rocsparseL39gtsv_spike_backward_substitution_kernelILj256ELj4EfEEviiiPT1_PKS1_S4_.uses_vcc, 1
	.set _ZN9rocsparseL39gtsv_spike_backward_substitution_kernelILj256ELj4EfEEviiiPT1_PKS1_S4_.uses_flat_scratch, 0
	.set _ZN9rocsparseL39gtsv_spike_backward_substitution_kernelILj256ELj4EfEEviiiPT1_PKS1_S4_.has_dyn_sized_stack, 0
	.set _ZN9rocsparseL39gtsv_spike_backward_substitution_kernelILj256ELj4EfEEviiiPT1_PKS1_S4_.has_recursion, 0
	.set _ZN9rocsparseL39gtsv_spike_backward_substitution_kernelILj256ELj4EfEEviiiPT1_PKS1_S4_.has_indirect_call, 0
	.section	.AMDGPU.csdata,"",@progbits
; Kernel info:
; codeLenInByte = 480
; TotalNumSgprs: 16
; NumVgprs: 15
; ScratchSize: 0
; MemoryBound: 0
; FloatMode: 240
; IeeeMode: 1
; LDSByteSize: 0 bytes/workgroup (compile time only)
; SGPRBlocks: 1
; VGPRBlocks: 3
; NumSGPRsForWavesPerEU: 16
; NumVGPRsForWavesPerEU: 15
; Occupancy: 10
; WaveLimiterHint : 0
; COMPUTE_PGM_RSRC2:SCRATCH_EN: 0
; COMPUTE_PGM_RSRC2:USER_SGPR: 6
; COMPUTE_PGM_RSRC2:TRAP_HANDLER: 0
; COMPUTE_PGM_RSRC2:TGID_X_EN: 1
; COMPUTE_PGM_RSRC2:TGID_Y_EN: 1
; COMPUTE_PGM_RSRC2:TGID_Z_EN: 0
; COMPUTE_PGM_RSRC2:TIDIG_COMP_CNT: 0
	.section	.text._ZN9rocsparseL32gtsv_transpose_back_array_kernelILj256ELj4EfEEviiiPKT1_PS1_,"axG",@progbits,_ZN9rocsparseL32gtsv_transpose_back_array_kernelILj256ELj4EfEEviiiPKT1_PS1_,comdat
	.globl	_ZN9rocsparseL32gtsv_transpose_back_array_kernelILj256ELj4EfEEviiiPKT1_PS1_ ; -- Begin function _ZN9rocsparseL32gtsv_transpose_back_array_kernelILj256ELj4EfEEviiiPKT1_PS1_
	.p2align	8
	.type	_ZN9rocsparseL32gtsv_transpose_back_array_kernelILj256ELj4EfEEviiiPKT1_PS1_,@function
_ZN9rocsparseL32gtsv_transpose_back_array_kernelILj256ELj4EfEEviiiPKT1_PS1_: ; @_ZN9rocsparseL32gtsv_transpose_back_array_kernelILj256ELj4EfEEviiiPKT1_PS1_
; %bb.0:
	s_load_dwordx4 s[0:3], s[4:5], 0x0
	v_lshl_or_b32 v0, s6, 8, v0
	v_lshlrev_b32_e32 v3, 2, v0
	s_waitcnt lgkmcnt(0)
	v_cvt_f32_u32_e32 v1, s1
	s_sub_i32 s3, 0, s1
	v_rcp_iflag_f32_e32 v1, v1
	v_mul_f32_e32 v1, 0x4f7ffffe, v1
	v_cvt_u32_f32_e32 v1, v1
	v_mul_lo_u32 v2, s3, v1
	v_mul_hi_u32 v2, v1, v2
	v_add_u32_e32 v1, v1, v2
	v_mul_hi_u32 v1, v3, v1
	v_mul_lo_u32 v2, v1, s1
	v_add_u32_e32 v4, 1, v1
	v_sub_u32_e32 v2, v3, v2
	v_cmp_le_u32_e32 vcc, s1, v2
	v_cndmask_b32_e32 v1, v1, v4, vcc
	v_subrev_u32_e32 v4, s1, v2
	v_cndmask_b32_e32 v2, v2, v4, vcc
	v_add_u32_e32 v4, 1, v1
	v_cmp_le_u32_e32 vcc, s1, v2
	v_cndmask_b32_e32 v1, v1, v4, vcc
	v_mul_lo_u32 v2, v1, s1
	v_sub_u32_e32 v2, v3, v2
	v_add_u32_e32 v1, v1, v2
	v_cmp_gt_i32_e32 vcc, s0, v1
	s_and_saveexec_b64 s[8:9], vcc
	s_cbranch_execz .LBB28_2
; %bb.1:
	s_load_dwordx4 s[8:11], s[4:5], 0x10
	s_mul_i32 s0, s1, s7
	v_add_u32_e32 v2, s0, v0
	v_ashrrev_i32_e32 v3, 31, v2
	v_lshlrev_b64 v[2:3], 2, v[2:3]
	s_waitcnt lgkmcnt(0)
	v_mov_b32_e32 v0, s9
	v_add_co_u32_e32 v2, vcc, s8, v2
	v_addc_co_u32_e32 v3, vcc, v0, v3, vcc
	global_load_dword v2, v[2:3], off
	s_mul_i32 s0, s2, s7
	v_add_u32_e32 v0, s0, v1
	v_ashrrev_i32_e32 v1, 31, v0
	v_lshlrev_b64 v[0:1], 2, v[0:1]
	v_mov_b32_e32 v3, s11
	v_add_co_u32_e32 v0, vcc, s10, v0
	v_addc_co_u32_e32 v1, vcc, v3, v1, vcc
	s_waitcnt vmcnt(0)
	global_store_dword v[0:1], v2, off
.LBB28_2:
	s_endpgm
	.section	.rodata,"a",@progbits
	.p2align	6, 0x0
	.amdhsa_kernel _ZN9rocsparseL32gtsv_transpose_back_array_kernelILj256ELj4EfEEviiiPKT1_PS1_
		.amdhsa_group_segment_fixed_size 0
		.amdhsa_private_segment_fixed_size 0
		.amdhsa_kernarg_size 32
		.amdhsa_user_sgpr_count 6
		.amdhsa_user_sgpr_private_segment_buffer 1
		.amdhsa_user_sgpr_dispatch_ptr 0
		.amdhsa_user_sgpr_queue_ptr 0
		.amdhsa_user_sgpr_kernarg_segment_ptr 1
		.amdhsa_user_sgpr_dispatch_id 0
		.amdhsa_user_sgpr_flat_scratch_init 0
		.amdhsa_user_sgpr_private_segment_size 0
		.amdhsa_uses_dynamic_stack 0
		.amdhsa_system_sgpr_private_segment_wavefront_offset 0
		.amdhsa_system_sgpr_workgroup_id_x 1
		.amdhsa_system_sgpr_workgroup_id_y 1
		.amdhsa_system_sgpr_workgroup_id_z 0
		.amdhsa_system_sgpr_workgroup_info 0
		.amdhsa_system_vgpr_workitem_id 0
		.amdhsa_next_free_vgpr 5
		.amdhsa_next_free_sgpr 12
		.amdhsa_reserve_vcc 1
		.amdhsa_reserve_flat_scratch 0
		.amdhsa_float_round_mode_32 0
		.amdhsa_float_round_mode_16_64 0
		.amdhsa_float_denorm_mode_32 3
		.amdhsa_float_denorm_mode_16_64 3
		.amdhsa_dx10_clamp 1
		.amdhsa_ieee_mode 1
		.amdhsa_fp16_overflow 0
		.amdhsa_exception_fp_ieee_invalid_op 0
		.amdhsa_exception_fp_denorm_src 0
		.amdhsa_exception_fp_ieee_div_zero 0
		.amdhsa_exception_fp_ieee_overflow 0
		.amdhsa_exception_fp_ieee_underflow 0
		.amdhsa_exception_fp_ieee_inexact 0
		.amdhsa_exception_int_div_zero 0
	.end_amdhsa_kernel
	.section	.text._ZN9rocsparseL32gtsv_transpose_back_array_kernelILj256ELj4EfEEviiiPKT1_PS1_,"axG",@progbits,_ZN9rocsparseL32gtsv_transpose_back_array_kernelILj256ELj4EfEEviiiPKT1_PS1_,comdat
.Lfunc_end28:
	.size	_ZN9rocsparseL32gtsv_transpose_back_array_kernelILj256ELj4EfEEviiiPKT1_PS1_, .Lfunc_end28-_ZN9rocsparseL32gtsv_transpose_back_array_kernelILj256ELj4EfEEviiiPKT1_PS1_
                                        ; -- End function
	.set _ZN9rocsparseL32gtsv_transpose_back_array_kernelILj256ELj4EfEEviiiPKT1_PS1_.num_vgpr, 5
	.set _ZN9rocsparseL32gtsv_transpose_back_array_kernelILj256ELj4EfEEviiiPKT1_PS1_.num_agpr, 0
	.set _ZN9rocsparseL32gtsv_transpose_back_array_kernelILj256ELj4EfEEviiiPKT1_PS1_.numbered_sgpr, 12
	.set _ZN9rocsparseL32gtsv_transpose_back_array_kernelILj256ELj4EfEEviiiPKT1_PS1_.num_named_barrier, 0
	.set _ZN9rocsparseL32gtsv_transpose_back_array_kernelILj256ELj4EfEEviiiPKT1_PS1_.private_seg_size, 0
	.set _ZN9rocsparseL32gtsv_transpose_back_array_kernelILj256ELj4EfEEviiiPKT1_PS1_.uses_vcc, 1
	.set _ZN9rocsparseL32gtsv_transpose_back_array_kernelILj256ELj4EfEEviiiPKT1_PS1_.uses_flat_scratch, 0
	.set _ZN9rocsparseL32gtsv_transpose_back_array_kernelILj256ELj4EfEEviiiPKT1_PS1_.has_dyn_sized_stack, 0
	.set _ZN9rocsparseL32gtsv_transpose_back_array_kernelILj256ELj4EfEEviiiPKT1_PS1_.has_recursion, 0
	.set _ZN9rocsparseL32gtsv_transpose_back_array_kernelILj256ELj4EfEEviiiPKT1_PS1_.has_indirect_call, 0
	.section	.AMDGPU.csdata,"",@progbits
; Kernel info:
; codeLenInByte = 248
; TotalNumSgprs: 16
; NumVgprs: 5
; ScratchSize: 0
; MemoryBound: 0
; FloatMode: 240
; IeeeMode: 1
; LDSByteSize: 0 bytes/workgroup (compile time only)
; SGPRBlocks: 1
; VGPRBlocks: 1
; NumSGPRsForWavesPerEU: 16
; NumVGPRsForWavesPerEU: 5
; Occupancy: 10
; WaveLimiterHint : 0
; COMPUTE_PGM_RSRC2:SCRATCH_EN: 0
; COMPUTE_PGM_RSRC2:USER_SGPR: 6
; COMPUTE_PGM_RSRC2:TRAP_HANDLER: 0
; COMPUTE_PGM_RSRC2:TGID_X_EN: 1
; COMPUTE_PGM_RSRC2:TGID_Y_EN: 1
; COMPUTE_PGM_RSRC2:TGID_Z_EN: 0
; COMPUTE_PGM_RSRC2:TIDIG_COMP_CNT: 0
	.section	.text._ZN9rocsparseL42gtsv_transpose_and_pad_array_shared_kernelILj256ELj8EfEEviiiPKT1_PS1_S1_,"axG",@progbits,_ZN9rocsparseL42gtsv_transpose_and_pad_array_shared_kernelILj256ELj8EfEEviiiPKT1_PS1_S1_,comdat
	.globl	_ZN9rocsparseL42gtsv_transpose_and_pad_array_shared_kernelILj256ELj8EfEEviiiPKT1_PS1_S1_ ; -- Begin function _ZN9rocsparseL42gtsv_transpose_and_pad_array_shared_kernelILj256ELj8EfEEviiiPKT1_PS1_S1_
	.p2align	8
	.type	_ZN9rocsparseL42gtsv_transpose_and_pad_array_shared_kernelILj256ELj8EfEEviiiPKT1_PS1_S1_,@function
_ZN9rocsparseL42gtsv_transpose_and_pad_array_shared_kernelILj256ELj8EfEEviiiPKT1_PS1_S1_: ; @_ZN9rocsparseL42gtsv_transpose_and_pad_array_shared_kernelILj256ELj8EfEEviiiPKT1_PS1_S1_
; %bb.0:
	s_load_dwordx4 s[0:3], s[4:5], 0x0
	s_waitcnt lgkmcnt(0)
	s_load_dword s3, s[4:5], 0x20
	v_lshl_or_b32 v2, s6, 8, v0
	v_cmp_gt_i32_e32 vcc, s0, v2
	s_waitcnt lgkmcnt(0)
	v_mov_b32_e32 v1, s3
	s_and_saveexec_b64 s[8:9], vcc
	s_cbranch_execz .LBB29_2
; %bb.1:
	s_load_dwordx2 s[10:11], s[4:5], 0x10
	s_mul_i32 s0, s2, s7
	v_add_u32_e32 v1, s0, v2
	v_ashrrev_i32_e32 v2, 31, v1
	v_lshlrev_b64 v[1:2], 2, v[1:2]
	s_waitcnt lgkmcnt(0)
	v_mov_b32_e32 v3, s11
	v_add_co_u32_e32 v1, vcc, s10, v1
	v_addc_co_u32_e32 v2, vcc, v3, v2, vcc
	global_load_dword v1, v[1:2], off
.LBB29_2:
	s_or_b64 exec, exec, s[8:9]
	v_lshrrev_b32_e32 v2, 5, v0
	v_and_b32_e32 v3, 31, v0
	v_lshlrev_b32_e32 v0, 2, v0
	s_waitcnt vmcnt(0)
	ds_write_b32 v0, v1
	s_lshr_b32 s0, s1, 3
	v_lshl_or_b32 v0, s6, 5, v3
	v_mad_u64_u32 v[0:1], s[2:3], s0, v2, v[0:1]
	s_waitcnt lgkmcnt(0)
	s_barrier
	v_cmp_gt_i32_e32 vcc, s1, v0
	s_and_saveexec_b64 s[2:3], vcc
	s_cbranch_execz .LBB29_4
; %bb.3:
	s_load_dwordx2 s[2:3], s[4:5], 0x18
	v_lshlrev_b32_e32 v1, 2, v2
	s_mul_i32 s0, s1, s7
	v_lshl_or_b32 v1, v3, 5, v1
	v_add_u32_e32 v0, s0, v0
	ds_read_b32 v2, v1
	v_ashrrev_i32_e32 v1, 31, v0
	v_lshlrev_b64 v[0:1], 2, v[0:1]
	s_waitcnt lgkmcnt(0)
	v_mov_b32_e32 v3, s3
	v_add_co_u32_e32 v0, vcc, s2, v0
	v_addc_co_u32_e32 v1, vcc, v3, v1, vcc
	global_store_dword v[0:1], v2, off
.LBB29_4:
	s_endpgm
	.section	.rodata,"a",@progbits
	.p2align	6, 0x0
	.amdhsa_kernel _ZN9rocsparseL42gtsv_transpose_and_pad_array_shared_kernelILj256ELj8EfEEviiiPKT1_PS1_S1_
		.amdhsa_group_segment_fixed_size 1024
		.amdhsa_private_segment_fixed_size 0
		.amdhsa_kernarg_size 36
		.amdhsa_user_sgpr_count 6
		.amdhsa_user_sgpr_private_segment_buffer 1
		.amdhsa_user_sgpr_dispatch_ptr 0
		.amdhsa_user_sgpr_queue_ptr 0
		.amdhsa_user_sgpr_kernarg_segment_ptr 1
		.amdhsa_user_sgpr_dispatch_id 0
		.amdhsa_user_sgpr_flat_scratch_init 0
		.amdhsa_user_sgpr_private_segment_size 0
		.amdhsa_uses_dynamic_stack 0
		.amdhsa_system_sgpr_private_segment_wavefront_offset 0
		.amdhsa_system_sgpr_workgroup_id_x 1
		.amdhsa_system_sgpr_workgroup_id_y 1
		.amdhsa_system_sgpr_workgroup_id_z 0
		.amdhsa_system_sgpr_workgroup_info 0
		.amdhsa_system_vgpr_workitem_id 0
		.amdhsa_next_free_vgpr 4
		.amdhsa_next_free_sgpr 12
		.amdhsa_reserve_vcc 1
		.amdhsa_reserve_flat_scratch 0
		.amdhsa_float_round_mode_32 0
		.amdhsa_float_round_mode_16_64 0
		.amdhsa_float_denorm_mode_32 3
		.amdhsa_float_denorm_mode_16_64 3
		.amdhsa_dx10_clamp 1
		.amdhsa_ieee_mode 1
		.amdhsa_fp16_overflow 0
		.amdhsa_exception_fp_ieee_invalid_op 0
		.amdhsa_exception_fp_denorm_src 0
		.amdhsa_exception_fp_ieee_div_zero 0
		.amdhsa_exception_fp_ieee_overflow 0
		.amdhsa_exception_fp_ieee_underflow 0
		.amdhsa_exception_fp_ieee_inexact 0
		.amdhsa_exception_int_div_zero 0
	.end_amdhsa_kernel
	.section	.text._ZN9rocsparseL42gtsv_transpose_and_pad_array_shared_kernelILj256ELj8EfEEviiiPKT1_PS1_S1_,"axG",@progbits,_ZN9rocsparseL42gtsv_transpose_and_pad_array_shared_kernelILj256ELj8EfEEviiiPKT1_PS1_S1_,comdat
.Lfunc_end29:
	.size	_ZN9rocsparseL42gtsv_transpose_and_pad_array_shared_kernelILj256ELj8EfEEviiiPKT1_PS1_S1_, .Lfunc_end29-_ZN9rocsparseL42gtsv_transpose_and_pad_array_shared_kernelILj256ELj8EfEEviiiPKT1_PS1_S1_
                                        ; -- End function
	.set _ZN9rocsparseL42gtsv_transpose_and_pad_array_shared_kernelILj256ELj8EfEEviiiPKT1_PS1_S1_.num_vgpr, 4
	.set _ZN9rocsparseL42gtsv_transpose_and_pad_array_shared_kernelILj256ELj8EfEEviiiPKT1_PS1_S1_.num_agpr, 0
	.set _ZN9rocsparseL42gtsv_transpose_and_pad_array_shared_kernelILj256ELj8EfEEviiiPKT1_PS1_S1_.numbered_sgpr, 12
	.set _ZN9rocsparseL42gtsv_transpose_and_pad_array_shared_kernelILj256ELj8EfEEviiiPKT1_PS1_S1_.num_named_barrier, 0
	.set _ZN9rocsparseL42gtsv_transpose_and_pad_array_shared_kernelILj256ELj8EfEEviiiPKT1_PS1_S1_.private_seg_size, 0
	.set _ZN9rocsparseL42gtsv_transpose_and_pad_array_shared_kernelILj256ELj8EfEEviiiPKT1_PS1_S1_.uses_vcc, 1
	.set _ZN9rocsparseL42gtsv_transpose_and_pad_array_shared_kernelILj256ELj8EfEEviiiPKT1_PS1_S1_.uses_flat_scratch, 0
	.set _ZN9rocsparseL42gtsv_transpose_and_pad_array_shared_kernelILj256ELj8EfEEviiiPKT1_PS1_S1_.has_dyn_sized_stack, 0
	.set _ZN9rocsparseL42gtsv_transpose_and_pad_array_shared_kernelILj256ELj8EfEEviiiPKT1_PS1_S1_.has_recursion, 0
	.set _ZN9rocsparseL42gtsv_transpose_and_pad_array_shared_kernelILj256ELj8EfEEviiiPKT1_PS1_S1_.has_indirect_call, 0
	.section	.AMDGPU.csdata,"",@progbits
; Kernel info:
; codeLenInByte = 244
; TotalNumSgprs: 16
; NumVgprs: 4
; ScratchSize: 0
; MemoryBound: 0
; FloatMode: 240
; IeeeMode: 1
; LDSByteSize: 1024 bytes/workgroup (compile time only)
; SGPRBlocks: 1
; VGPRBlocks: 0
; NumSGPRsForWavesPerEU: 16
; NumVGPRsForWavesPerEU: 4
; Occupancy: 10
; WaveLimiterHint : 0
; COMPUTE_PGM_RSRC2:SCRATCH_EN: 0
; COMPUTE_PGM_RSRC2:USER_SGPR: 6
; COMPUTE_PGM_RSRC2:TRAP_HANDLER: 0
; COMPUTE_PGM_RSRC2:TGID_X_EN: 1
; COMPUTE_PGM_RSRC2:TGID_Y_EN: 1
; COMPUTE_PGM_RSRC2:TGID_Z_EN: 0
; COMPUTE_PGM_RSRC2:TIDIG_COMP_CNT: 0
	.section	.text._ZN9rocsparseL18gtsv_LBM_wv_kernelILj256ELj8EfEEviiiPKT1_S3_S3_PS1_S4_S4_Pi,"axG",@progbits,_ZN9rocsparseL18gtsv_LBM_wv_kernelILj256ELj8EfEEviiiPKT1_S3_S3_PS1_S4_S4_Pi,comdat
	.globl	_ZN9rocsparseL18gtsv_LBM_wv_kernelILj256ELj8EfEEviiiPKT1_S3_S3_PS1_S4_S4_Pi ; -- Begin function _ZN9rocsparseL18gtsv_LBM_wv_kernelILj256ELj8EfEEviiiPKT1_S3_S3_PS1_S4_S4_Pi
	.p2align	8
	.type	_ZN9rocsparseL18gtsv_LBM_wv_kernelILj256ELj8EfEEviiiPKT1_S3_S3_PS1_S4_S4_Pi,@function
_ZN9rocsparseL18gtsv_LBM_wv_kernelILj256ELj8EfEEviiiPKT1_S3_S3_PS1_S4_S4_Pi: ; @_ZN9rocsparseL18gtsv_LBM_wv_kernelILj256ELj8EfEEviiiPKT1_S3_S3_PS1_S4_S4_Pi
; %bb.0:
	s_load_dword s27, s[4:5], 0x0
	v_lshl_or_b32 v0, s6, 8, v0
	s_waitcnt lgkmcnt(0)
	s_lshr_b32 s26, s27, 3
	v_cmp_gt_i32_e32 vcc, s26, v0
	s_and_saveexec_b64 s[0:1], vcc
	s_cbranch_execz .LBB30_30
; %bb.1:
	s_load_dwordx2 s[16:17], s[4:5], 0x10
	s_load_dwordx8 s[8:15], s[4:5], 0x20
	v_ashrrev_i32_e32 v1, 31, v0
	v_lshlrev_b64 v[4:5], 2, v[0:1]
	s_mul_i32 s28, s26, 7
	s_waitcnt lgkmcnt(0)
	v_mov_b32_e32 v2, s17
	v_add_co_u32_e32 v1, vcc, s16, v4
	v_addc_co_u32_e32 v2, vcc, v2, v5, vcc
	global_load_dword v8, v[1:2], off
	v_add_u32_e32 v2, s28, v0
	v_mov_b32_e32 v3, 0
	v_lshlrev_b64 v[6:7], 2, v[2:3]
	v_mov_b32_e32 v2, s9
	v_add_co_u32_e32 v1, vcc, s8, v6
	v_addc_co_u32_e32 v2, vcc, v2, v7, vcc
	global_load_dword v9, v[1:2], off
	s_load_dwordx2 s[6:7], s[4:5], 0x40
	v_mov_b32_e32 v2, s11
	v_add_co_u32_e32 v1, vcc, s10, v4
	v_addc_co_u32_e32 v2, vcc, v2, v5, vcc
	s_cmp_lt_i32 s27, 1
	v_add_u32_e32 v10, s26, v0
	v_mov_b32_e32 v11, s13
	v_add_co_u32_e32 v6, vcc, s12, v6
	v_addc_co_u32_e32 v7, vcc, v11, v7, vcc
	s_waitcnt vmcnt(1)
	global_store_dword v[1:2], v8, off
	s_waitcnt vmcnt(1)
	global_store_dword v[6:7], v9, off
	s_cbranch_scc1 .LBB30_23
; %bb.2:
	s_load_dwordx2 s[18:19], s[4:5], 0x18
	s_mov_b32 s22, 0x372fe950
	s_mul_i32 s29, s26, 6
	s_lshl_b32 s30, s26, 1
	v_add_u32_e32 v11, s26, v10
	s_waitcnt lgkmcnt(0)
	v_mov_b32_e32 v6, s19
	v_add_co_u32_e32 v3, vcc, s18, v4
	v_addc_co_u32_e32 v4, vcc, v6, v5, vcc
	global_load_dword v15, v[3:4], off
	v_mov_b32_e32 v3, 0
	s_mov_b64 s[20:21], 0
	s_mov_b32 s23, 0x3fe3c6ef
	v_mov_b32_e32 v12, 2
	v_mov_b32_e32 v13, 1
	;; [unrolled: 1-line block ×3, first 2 shown]
	s_branch .LBB30_5
.LBB30_3:                               ;   in Loop: Header=BB30_5 Depth=1
	s_or_b64 exec, exec, s[4:5]
	v_fma_f32 v15, -v5, v7, v17
	v_mov_b32_e32 v4, s26
.LBB30_4:                               ;   in Loop: Header=BB30_5 Depth=1
	s_or_b64 exec, exec, s[2:3]
	v_add_u32_e32 v3, v4, v3
	v_cmp_le_i32_e32 vcc, s27, v3
	s_or_b64 s[20:21], vcc, s[20:21]
	s_andn2_b64 exec, exec, s[20:21]
	s_cbranch_execz .LBB30_22
.LBB30_5:                               ; =>This Inner Loop Header: Depth=1
	v_add_u32_e32 v4, v3, v0
	v_ashrrev_i32_e32 v5, 31, v4
	v_lshlrev_b64 v[5:6], 2, v[4:5]
	v_cmp_gt_u32_e64 s[0:1], s28, v3
	v_add_co_u32_e32 v7, vcc, s8, v5
	v_addc_co_u32_e32 v8, vcc, v14, v6, vcc
	global_load_dword v18, v[7:8], off
	v_mov_b32_e32 v16, 0
	s_and_saveexec_b64 s[2:3], s[0:1]
	s_cbranch_execz .LBB30_7
; %bb.6:                                ;   in Loop: Header=BB30_5 Depth=1
	v_add_u32_e32 v7, v10, v3
	v_ashrrev_i32_e32 v8, 31, v7
	v_lshlrev_b64 v[7:8], 2, v[7:8]
	v_mov_b32_e32 v4, s17
	v_add_co_u32_e32 v7, vcc, s16, v7
	v_addc_co_u32_e32 v8, vcc, v4, v8, vcc
	global_load_dword v16, v[7:8], off
.LBB30_7:                               ;   in Loop: Header=BB30_5 Depth=1
	s_or_b64 exec, exec, s[2:3]
	v_mov_b32_e32 v19, 0
	v_mov_b32_e32 v17, 0
	s_and_saveexec_b64 s[2:3], s[0:1]
	s_cbranch_execz .LBB30_9
; %bb.8:                                ;   in Loop: Header=BB30_5 Depth=1
	v_add_u32_e32 v7, v10, v3
	v_ashrrev_i32_e32 v8, 31, v7
	v_lshlrev_b64 v[7:8], 2, v[7:8]
	v_mov_b32_e32 v4, s19
	v_add_co_u32_e32 v7, vcc, s18, v7
	v_addc_co_u32_e32 v8, vcc, v4, v8, vcc
	global_load_dword v17, v[7:8], off
.LBB30_9:                               ;   in Loop: Header=BB30_5 Depth=1
	s_or_b64 exec, exec, s[2:3]
	s_and_saveexec_b64 s[2:3], s[0:1]
	s_cbranch_execz .LBB30_11
; %bb.10:                               ;   in Loop: Header=BB30_5 Depth=1
	v_add_u32_e32 v7, v10, v3
	v_ashrrev_i32_e32 v8, 31, v7
	v_lshlrev_b64 v[7:8], 2, v[7:8]
	v_mov_b32_e32 v4, s9
	v_add_co_u32_e32 v7, vcc, s8, v7
	v_addc_co_u32_e32 v8, vcc, v4, v8, vcc
	global_load_dword v19, v[7:8], off
.LBB30_11:                              ;   in Loop: Header=BB30_5 Depth=1
	s_or_b64 exec, exec, s[2:3]
	v_cmp_gt_u32_e64 s[2:3], s29, v3
	v_mov_b32_e32 v20, 0
	s_and_saveexec_b64 s[4:5], s[2:3]
	s_cbranch_execz .LBB30_13
; %bb.12:                               ;   in Loop: Header=BB30_5 Depth=1
	v_add_u32_e32 v7, v11, v3
	v_ashrrev_i32_e32 v8, 31, v7
	v_lshlrev_b64 v[7:8], 2, v[7:8]
	v_mov_b32_e32 v4, s17
	v_add_co_u32_e32 v7, vcc, s16, v7
	v_addc_co_u32_e32 v8, vcc, v4, v8, vcc
	global_load_dword v20, v[7:8], off
.LBB30_13:                              ;   in Loop: Header=BB30_5 Depth=1
	s_or_b64 exec, exec, s[4:5]
	s_waitcnt vmcnt(0)
	v_cmp_gt_f32_e32 vcc, 0, v16
	v_cndmask_b32_e64 v4, v16, -v16, vcc
	v_cmp_gt_f32_e32 vcc, 0, v20
	v_cndmask_b32_e64 v7, v20, -v20, vcc
	v_cmp_lt_f32_e32 vcc, v4, v7
	v_cndmask_b32_e32 v4, v4, v7, vcc
	v_cmp_gt_f32_e32 vcc, 0, v17
	v_cndmask_b32_e64 v7, v17, -v17, vcc
	v_cmp_lt_f32_e32 vcc, v7, v4
	v_cndmask_b32_e32 v4, v7, v4, vcc
	;; [unrolled: 4-line block ×4, first 2 shown]
	v_cmp_gt_f32_e32 vcc, 0, v15
	v_cvt_f64_f32_e32 v[7:8], v4
	v_cndmask_b32_e64 v4, v15, -v15, vcc
	v_cvt_f64_f32_e32 v[21:22], v4
	v_cmp_ne_u32_e64 s[4:5], s28, v3
	v_mul_f64 v[8:9], v[21:22], v[7:8]
	v_mul_f32_e32 v7, v18, v16
	v_cmp_gt_f32_e32 vcc, 0, v7
	v_cndmask_b32_e64 v4, v7, -v7, vcc
	v_cvt_f64_f32_e32 v[21:22], v4
	v_mul_f64 v[21:22], v[21:22], s[22:23]
	v_cmp_nge_f64_e32 vcc, v[8:9], v[21:22]
	s_and_b64 s[4:5], s[4:5], vcc
	s_and_saveexec_b64 s[24:25], s[4:5]
	s_xor_b64 s[4:5], exec, s[24:25]
	s_cbranch_execz .LBB30_19
; %bb.14:                               ;   in Loop: Header=BB30_5 Depth=1
	v_mov_b32_e32 v4, s13
	v_add_co_u32_e32 v25, vcc, s12, v5
	v_addc_co_u32_e32 v26, vcc, v4, v6, vcc
	v_mov_b32_e32 v4, s15
	v_add_co_u32_e32 v8, vcc, s14, v5
	v_addc_co_u32_e32 v9, vcc, v4, v6, vcc
	;; [unrolled: 3-line block ×3, first 2 shown]
	v_fma_f32 v4, v15, v17, -v7
	v_div_scale_f32 v5, s[24:25], v4, v4, 1.0
	v_rcp_f32_e32 v6, v5
	v_fma_f32 v7, -v5, v6, 1.0
	v_fmac_f32_e32 v6, v7, v6
	v_div_scale_f32 v7, vcc, 1.0, v4, 1.0
	v_mul_f32_e32 v21, v7, v6
	v_fma_f32 v22, -v5, v21, v7
	v_fmac_f32_e32 v21, v22, v6
	v_fma_f32 v5, -v5, v21, v7
	v_div_fmas_f32 v5, v5, v6, v21
	v_mov_b32_e32 v7, s11
	v_div_fixup_f32 v21, v5, v4, 1.0
	v_mul_f32_e64 v4, v19, -v18
	v_mul_f32_e32 v4, v21, v4
	global_store_dword v[8:9], v4, off
	v_ashrrev_i32_e32 v4, 31, v3
	v_lshlrev_b64 v[4:5], 2, v[3:4]
	v_add_co_u32_e32 v8, vcc, v1, v4
	v_add_u32_e32 v4, v10, v3
	v_addc_co_u32_e32 v9, vcc, v2, v5, vcc
	v_ashrrev_i32_e32 v5, 31, v4
	v_lshlrev_b64 v[4:5], 2, v[4:5]
	v_add_co_u32_e32 v6, vcc, s10, v4
	v_addc_co_u32_e32 v7, vcc, v7, v5, vcc
	global_load_dword v23, v[6:7], off
	global_load_dword v22, v[8:9], off
	s_waitcnt vmcnt(1)
	v_mul_f32_e32 v24, v18, v23
	s_waitcnt vmcnt(0)
	v_fma_f32 v24, v17, v22, -v24
	v_mul_f32_e32 v24, v21, v24
	global_store_dword v[8:9], v24, off
	v_mov_b32_e32 v9, s13
	v_add_co_u32_e32 v8, vcc, s12, v4
	v_addc_co_u32_e32 v9, vcc, v9, v5, vcc
	global_load_dword v24, v[8:9], off
	s_waitcnt vmcnt(0)
	v_mul_f32_e32 v29, v18, v24
	global_load_dword v18, v[25:26], off
	s_waitcnt vmcnt(0)
	v_fma_f32 v17, v17, v18, -v29
	v_mul_f32_e32 v17, v21, v17
	global_store_dword v[25:26], v17, off
	global_store_dword v[27:28], v12, off
	s_and_saveexec_b64 s[24:25], s[0:1]
	s_cbranch_execz .LBB30_16
; %bb.15:                               ;   in Loop: Header=BB30_5 Depth=1
	v_mul_f32_e32 v17, v16, v22
	v_fma_f32 v17, v15, v23, -v17
	v_mul_f32_e32 v17, v21, v17
	global_store_dword v[6:7], v17, off
	v_mul_f32_e32 v6, v16, v18
	v_fma_f32 v6, v15, v24, -v6
	v_mul_f32_e32 v6, v21, v6
	global_store_dword v[8:9], v6, off
	v_mul_f32_e32 v6, v15, v19
	v_mul_f32_e32 v8, v21, v6
	v_mov_b32_e32 v7, s15
	v_add_co_u32_e32 v6, vcc, s14, v4
	v_addc_co_u32_e32 v7, vcc, v7, v5, vcc
	global_store_dword v[6:7], v8, off
	v_mov_b32_e32 v6, s7
	v_add_co_u32_e32 v4, vcc, s6, v4
	v_addc_co_u32_e32 v5, vcc, v6, v5, vcc
	global_store_dword v[4:5], v12, off
.LBB30_16:                              ;   in Loop: Header=BB30_5 Depth=1
	s_or_b64 exec, exec, s[24:25]
	v_mov_b32_e32 v4, 0
	s_and_saveexec_b64 s[24:25], s[2:3]
	s_cbranch_execz .LBB30_18
; %bb.17:                               ;   in Loop: Header=BB30_5 Depth=1
	v_add_u32_e32 v4, v11, v3
	v_ashrrev_i32_e32 v5, 31, v4
	v_lshlrev_b64 v[4:5], 2, v[4:5]
	v_mov_b32_e32 v7, s11
	v_add_co_u32_e32 v6, vcc, s10, v4
	v_addc_co_u32_e32 v7, vcc, v7, v5, vcc
	v_mov_b32_e32 v9, s19
	v_add_co_u32_e32 v4, vcc, s18, v4
	v_addc_co_u32_e32 v5, vcc, v9, v5, vcc
	global_load_dword v8, v[6:7], off
	v_mul_f32_e32 v9, v15, v20
	global_load_dword v4, v[4:5], off
	v_mul_f32_e32 v5, v20, v16
	v_mul_f32_e32 v15, v21, v9
	v_mul_f32_e32 v5, v5, v21
	v_mul_f32_e32 v15, v15, v23
	v_mul_f32_e32 v9, v19, v9
	v_fma_f32 v5, v5, v22, -v15
	s_waitcnt vmcnt(1)
	v_add_f32_e32 v5, v5, v8
	global_store_dword v[6:7], v5, off
	s_waitcnt vmcnt(1)
	v_fma_f32 v4, -v21, v9, v4
.LBB30_18:                              ;   in Loop: Header=BB30_5 Depth=1
	s_or_b64 exec, exec, s[24:25]
	v_mov_b32_e32 v15, v4
                                        ; implicit-def: $vgpr7
                                        ; implicit-def: $vgpr17
                                        ; implicit-def: $vgpr18
                                        ; implicit-def: $vgpr5_vgpr6
                                        ; implicit-def: $vgpr16
.LBB30_19:                              ;   in Loop: Header=BB30_5 Depth=1
	s_or_saveexec_b64 s[2:3], s[4:5]
	v_mov_b32_e32 v4, s30
	s_xor_b64 exec, exec, s[2:3]
	s_cbranch_execz .LBB30_4
; %bb.20:                               ;   in Loop: Header=BB30_5 Depth=1
	v_ashrrev_i32_e32 v4, 31, v3
	v_lshlrev_b64 v[8:9], 2, v[3:4]
	v_mov_b32_e32 v4, s13
	v_add_co_u32_e32 v19, vcc, s12, v5
	v_addc_co_u32_e32 v20, vcc, v4, v6, vcc
	v_add_co_u32_e32 v8, vcc, v1, v8
	global_load_dword v25, v[19:20], off
	v_addc_co_u32_e32 v9, vcc, v2, v9, vcc
	global_load_dword v4, v[8:9], off
	v_div_scale_f32 v21, s[4:5], v15, v15, 1.0
	v_div_scale_f32 v22, vcc, 1.0, v15, 1.0
	v_rcp_f32_e32 v23, v21
	v_fma_f32 v24, -v21, v23, 1.0
	v_fmac_f32_e32 v23, v24, v23
	v_mul_f32_e32 v24, v22, v23
	v_fma_f32 v26, -v21, v24, v22
	v_fmac_f32_e32 v24, v26, v23
	v_fma_f32 v21, -v21, v24, v22
	v_div_fmas_f32 v26, v21, v23, v24
	v_mov_b32_e32 v22, s15
	v_add_co_u32_e32 v21, vcc, s14, v5
	v_addc_co_u32_e32 v22, vcc, v22, v6, vcc
	v_mov_b32_e32 v24, s7
	v_add_co_u32_e32 v23, vcc, s6, v5
	v_addc_co_u32_e32 v24, vcc, v24, v6, vcc
	v_div_fixup_f32 v5, v26, v15, 1.0
	v_mul_f32_e32 v6, v5, v18
	global_store_dword v[21:22], v6, off
	s_waitcnt vmcnt(2)
	v_mul_f32_e32 v6, v5, v25
	global_store_dword v[19:20], v6, off
	s_waitcnt vmcnt(2)
	v_mul_f32_e32 v6, v5, v4
	global_store_dword v[8:9], v6, off
	global_store_dword v[23:24], v13, off
	s_and_saveexec_b64 s[4:5], s[0:1]
	s_cbranch_execz .LBB30_3
; %bb.21:                               ;   in Loop: Header=BB30_5 Depth=1
	v_add_u32_e32 v8, v10, v3
	v_ashrrev_i32_e32 v9, 31, v8
	v_lshlrev_b64 v[8:9], 2, v[8:9]
	v_mov_b32_e32 v6, s11
	v_add_co_u32_e32 v8, vcc, s10, v8
	v_addc_co_u32_e32 v9, vcc, v6, v9, vcc
	global_load_dword v6, v[8:9], off
	v_mul_f32_e32 v15, v16, v5
	s_waitcnt vmcnt(0)
	v_fma_f32 v4, -v15, v4, v6
	global_store_dword v[8:9], v4, off
	s_branch .LBB30_3
.LBB30_22:
	s_or_b64 exec, exec, s[20:21]
.LBB30_23:
	v_subrev_u32_e32 v5, s26, v3
	v_add_u32_e32 v3, v5, v0
	v_ashrrev_i32_e32 v4, 31, v3
	v_lshlrev_b64 v[3:4], 2, v[3:4]
	s_waitcnt lgkmcnt(0)
	v_mov_b32_e32 v6, s7
	v_add_co_u32_e32 v3, vcc, s6, v3
	v_addc_co_u32_e32 v4, vcc, v6, v4, vcc
	s_waitcnt vmcnt(0)
	buffer_wbinvl1_vol
	global_load_dword v3, v[3:4], off
	s_waitcnt vmcnt(0)
	v_mul_lo_u32 v3, v3, s26
	v_sub_u32_e32 v3, v5, v3
	v_cmp_lt_i32_e32 vcc, -1, v3
	s_and_b64 exec, exec, vcc
	s_cbranch_execz .LBB30_30
; %bb.24:
	v_subrev_u32_e32 v7, s26, v0
	s_lshl_b32 s4, s26, 1
	s_mov_b64 s[0:1], 0
	v_mov_b32_e32 v8, s7
	v_mov_b32_e32 v9, s15
	s_branch .LBB30_26
.LBB30_25:                              ;   in Loop: Header=BB30_26 Depth=1
	s_or_b64 exec, exec, s[2:3]
	v_sub_u32_e32 v3, v3, v4
	v_cmp_gt_i32_e32 vcc, 0, v3
	s_or_b64 s[0:1], vcc, s[0:1]
	s_andn2_b64 exec, exec, s[0:1]
	s_cbranch_execz .LBB30_30
.LBB30_26:                              ; =>This Inner Loop Header: Depth=1
	v_add_u32_e32 v4, v3, v0
	v_ashrrev_i32_e32 v5, 31, v4
	v_lshlrev_b64 v[5:6], 2, v[4:5]
	s_waitcnt vmcnt(0)
	v_add_co_u32_e32 v11, vcc, s6, v5
	v_addc_co_u32_e32 v12, vcc, v8, v6, vcc
	global_load_dword v4, v[11:12], off
	v_add_co_u32_e32 v11, vcc, s14, v5
	v_addc_co_u32_e32 v12, vcc, v9, v6, vcc
	global_load_dword v11, v[11:12], off
	s_waitcnt vmcnt(1)
	v_cmp_ne_u32_e32 vcc, 1, v4
	s_and_saveexec_b64 s[2:3], vcc
	s_xor_b64 s[2:3], exec, s[2:3]
	s_cbranch_execz .LBB30_28
; %bb.27:                               ;   in Loop: Header=BB30_26 Depth=1
	v_add_u32_e32 v12, v10, v3
	v_ashrrev_i32_e32 v13, 31, v12
	v_lshlrev_b64 v[12:13], 2, v[12:13]
	v_mov_b32_e32 v4, s11
	v_add_co_u32_e32 v14, vcc, s10, v12
	v_addc_co_u32_e32 v15, vcc, v4, v13, vcc
	v_ashrrev_i32_e32 v4, 31, v3
	v_lshlrev_b64 v[16:17], 2, v[3:4]
	v_mov_b32_e32 v4, s13
	v_add_co_u32_e32 v16, vcc, v1, v16
	v_addc_co_u32_e32 v17, vcc, v2, v17, vcc
	v_add_co_u32_e32 v12, vcc, s12, v12
	v_addc_co_u32_e32 v13, vcc, v4, v13, vcc
	global_load_dword v24, v[14:15], off
	global_load_dword v25, v[16:17], off
	v_mov_b32_e32 v18, s13
	v_add_co_u32_e32 v4, vcc, s12, v5
	v_addc_co_u32_e32 v5, vcc, v18, v6, vcc
	global_load_dword v6, v[12:13], off
	global_load_dword v26, v[4:5], off
	v_add_u32_e32 v18, v7, v3
	v_ashrrev_i32_e32 v19, 31, v18
	v_lshlrev_b64 v[18:19], 2, v[18:19]
	v_mov_b32_e32 v21, s11
	v_add_co_u32_e32 v20, vcc, s10, v18
	v_addc_co_u32_e32 v21, vcc, v21, v19, vcc
	v_mov_b32_e32 v23, s13
	v_add_co_u32_e32 v22, vcc, s12, v18
	v_addc_co_u32_e32 v23, vcc, v23, v19, vcc
	v_add_co_u32_e32 v18, vcc, s14, v18
	v_addc_co_u32_e32 v19, vcc, v9, v19, vcc
	global_load_dword v18, v[18:19], off
	s_waitcnt vmcnt(3)
	v_fma_f32 v19, -v11, v24, v25
	s_waitcnt vmcnt(1)
	v_fma_f32 v6, -v11, v6, v26
	global_store_dword v[16:17], v19, off
	global_store_dword v[4:5], v6, off
	global_load_dword v4, v[14:15], off
	s_nop 0
	global_load_dword v5, v[20:21], off
	global_load_dword v6, v[12:13], off
	;; [unrolled: 1-line block ×3, first 2 shown]
	s_waitcnt vmcnt(2)
	v_fma_f32 v4, -v18, v4, v5
	s_waitcnt vmcnt(0)
	v_fma_f32 v5, -v18, v6, v11
	global_store_dword v[20:21], v4, off
	global_store_dword v[22:23], v5, off
                                        ; implicit-def: $vgpr11
                                        ; implicit-def: $vgpr5_vgpr6
.LBB30_28:                              ;   in Loop: Header=BB30_26 Depth=1
	s_or_saveexec_b64 s[2:3], s[2:3]
	v_mov_b32_e32 v4, s4
	s_xor_b64 exec, exec, s[2:3]
	s_cbranch_execz .LBB30_25
; %bb.29:                               ;   in Loop: Header=BB30_26 Depth=1
	v_add_u32_e32 v12, v10, v3
	v_ashrrev_i32_e32 v13, 31, v12
	v_lshlrev_b64 v[12:13], 2, v[12:13]
	v_mov_b32_e32 v4, s11
	v_add_co_u32_e32 v14, vcc, s10, v12
	v_addc_co_u32_e32 v15, vcc, v4, v13, vcc
	v_ashrrev_i32_e32 v4, 31, v3
	v_lshlrev_b64 v[16:17], 2, v[3:4]
	v_mov_b32_e32 v4, s13
	v_add_co_u32_e32 v16, vcc, v1, v16
	v_addc_co_u32_e32 v17, vcc, v2, v17, vcc
	v_add_co_u32_e32 v12, vcc, s12, v12
	v_addc_co_u32_e32 v13, vcc, v4, v13, vcc
	global_load_dword v18, v[14:15], off
	global_load_dword v19, v[16:17], off
	v_mov_b32_e32 v14, s13
	v_add_co_u32_e32 v4, vcc, s12, v5
	v_addc_co_u32_e32 v5, vcc, v14, v6, vcc
	global_load_dword v6, v[12:13], off
	global_load_dword v14, v[4:5], off
	s_waitcnt vmcnt(2)
	v_fma_f32 v12, -v11, v18, v19
	s_waitcnt vmcnt(0)
	v_fma_f32 v6, -v11, v6, v14
	global_store_dword v[16:17], v12, off
	global_store_dword v[4:5], v6, off
	v_mov_b32_e32 v4, s26
	s_branch .LBB30_25
.LBB30_30:
	s_endpgm
	.section	.rodata,"a",@progbits
	.p2align	6, 0x0
	.amdhsa_kernel _ZN9rocsparseL18gtsv_LBM_wv_kernelILj256ELj8EfEEviiiPKT1_S3_S3_PS1_S4_S4_Pi
		.amdhsa_group_segment_fixed_size 0
		.amdhsa_private_segment_fixed_size 0
		.amdhsa_kernarg_size 72
		.amdhsa_user_sgpr_count 6
		.amdhsa_user_sgpr_private_segment_buffer 1
		.amdhsa_user_sgpr_dispatch_ptr 0
		.amdhsa_user_sgpr_queue_ptr 0
		.amdhsa_user_sgpr_kernarg_segment_ptr 1
		.amdhsa_user_sgpr_dispatch_id 0
		.amdhsa_user_sgpr_flat_scratch_init 0
		.amdhsa_user_sgpr_private_segment_size 0
		.amdhsa_uses_dynamic_stack 0
		.amdhsa_system_sgpr_private_segment_wavefront_offset 0
		.amdhsa_system_sgpr_workgroup_id_x 1
		.amdhsa_system_sgpr_workgroup_id_y 0
		.amdhsa_system_sgpr_workgroup_id_z 0
		.amdhsa_system_sgpr_workgroup_info 0
		.amdhsa_system_vgpr_workitem_id 0
		.amdhsa_next_free_vgpr 30
		.amdhsa_next_free_sgpr 31
		.amdhsa_reserve_vcc 1
		.amdhsa_reserve_flat_scratch 0
		.amdhsa_float_round_mode_32 0
		.amdhsa_float_round_mode_16_64 0
		.amdhsa_float_denorm_mode_32 3
		.amdhsa_float_denorm_mode_16_64 3
		.amdhsa_dx10_clamp 1
		.amdhsa_ieee_mode 1
		.amdhsa_fp16_overflow 0
		.amdhsa_exception_fp_ieee_invalid_op 0
		.amdhsa_exception_fp_denorm_src 0
		.amdhsa_exception_fp_ieee_div_zero 0
		.amdhsa_exception_fp_ieee_overflow 0
		.amdhsa_exception_fp_ieee_underflow 0
		.amdhsa_exception_fp_ieee_inexact 0
		.amdhsa_exception_int_div_zero 0
	.end_amdhsa_kernel
	.section	.text._ZN9rocsparseL18gtsv_LBM_wv_kernelILj256ELj8EfEEviiiPKT1_S3_S3_PS1_S4_S4_Pi,"axG",@progbits,_ZN9rocsparseL18gtsv_LBM_wv_kernelILj256ELj8EfEEviiiPKT1_S3_S3_PS1_S4_S4_Pi,comdat
.Lfunc_end30:
	.size	_ZN9rocsparseL18gtsv_LBM_wv_kernelILj256ELj8EfEEviiiPKT1_S3_S3_PS1_S4_S4_Pi, .Lfunc_end30-_ZN9rocsparseL18gtsv_LBM_wv_kernelILj256ELj8EfEEviiiPKT1_S3_S3_PS1_S4_S4_Pi
                                        ; -- End function
	.set _ZN9rocsparseL18gtsv_LBM_wv_kernelILj256ELj8EfEEviiiPKT1_S3_S3_PS1_S4_S4_Pi.num_vgpr, 30
	.set _ZN9rocsparseL18gtsv_LBM_wv_kernelILj256ELj8EfEEviiiPKT1_S3_S3_PS1_S4_S4_Pi.num_agpr, 0
	.set _ZN9rocsparseL18gtsv_LBM_wv_kernelILj256ELj8EfEEviiiPKT1_S3_S3_PS1_S4_S4_Pi.numbered_sgpr, 31
	.set _ZN9rocsparseL18gtsv_LBM_wv_kernelILj256ELj8EfEEviiiPKT1_S3_S3_PS1_S4_S4_Pi.num_named_barrier, 0
	.set _ZN9rocsparseL18gtsv_LBM_wv_kernelILj256ELj8EfEEviiiPKT1_S3_S3_PS1_S4_S4_Pi.private_seg_size, 0
	.set _ZN9rocsparseL18gtsv_LBM_wv_kernelILj256ELj8EfEEviiiPKT1_S3_S3_PS1_S4_S4_Pi.uses_vcc, 1
	.set _ZN9rocsparseL18gtsv_LBM_wv_kernelILj256ELj8EfEEviiiPKT1_S3_S3_PS1_S4_S4_Pi.uses_flat_scratch, 0
	.set _ZN9rocsparseL18gtsv_LBM_wv_kernelILj256ELj8EfEEviiiPKT1_S3_S3_PS1_S4_S4_Pi.has_dyn_sized_stack, 0
	.set _ZN9rocsparseL18gtsv_LBM_wv_kernelILj256ELj8EfEEviiiPKT1_S3_S3_PS1_S4_S4_Pi.has_recursion, 0
	.set _ZN9rocsparseL18gtsv_LBM_wv_kernelILj256ELj8EfEEviiiPKT1_S3_S3_PS1_S4_S4_Pi.has_indirect_call, 0
	.section	.AMDGPU.csdata,"",@progbits
; Kernel info:
; codeLenInByte = 2240
; TotalNumSgprs: 35
; NumVgprs: 30
; ScratchSize: 0
; MemoryBound: 0
; FloatMode: 240
; IeeeMode: 1
; LDSByteSize: 0 bytes/workgroup (compile time only)
; SGPRBlocks: 4
; VGPRBlocks: 7
; NumSGPRsForWavesPerEU: 35
; NumVGPRsForWavesPerEU: 30
; Occupancy: 8
; WaveLimiterHint : 0
; COMPUTE_PGM_RSRC2:SCRATCH_EN: 0
; COMPUTE_PGM_RSRC2:USER_SGPR: 6
; COMPUTE_PGM_RSRC2:TRAP_HANDLER: 0
; COMPUTE_PGM_RSRC2:TGID_X_EN: 1
; COMPUTE_PGM_RSRC2:TGID_Y_EN: 0
; COMPUTE_PGM_RSRC2:TGID_Z_EN: 0
; COMPUTE_PGM_RSRC2:TIDIG_COMP_CNT: 0
	.section	.text._ZN9rocsparseL19gtsv_LBM_rhs_kernelILj256ELj8ELj8EfEEviiiPKT2_S3_S3_PS1_S3_PKi,"axG",@progbits,_ZN9rocsparseL19gtsv_LBM_rhs_kernelILj256ELj8ELj8EfEEviiiPKT2_S3_S3_PS1_S3_PKi,comdat
	.globl	_ZN9rocsparseL19gtsv_LBM_rhs_kernelILj256ELj8ELj8EfEEviiiPKT2_S3_S3_PS1_S3_PKi ; -- Begin function _ZN9rocsparseL19gtsv_LBM_rhs_kernelILj256ELj8ELj8EfEEviiiPKT2_S3_S3_PS1_S3_PKi
	.p2align	8
	.type	_ZN9rocsparseL19gtsv_LBM_rhs_kernelILj256ELj8ELj8EfEEviiiPKT2_S3_S3_PS1_S3_PKi,@function
_ZN9rocsparseL19gtsv_LBM_rhs_kernelILj256ELj8ELj8EfEEviiiPKT2_S3_S3_PS1_S3_PKi: ; @_ZN9rocsparseL19gtsv_LBM_rhs_kernelILj256ELj8ELj8EfEEviiiPKT2_S3_S3_PS1_S3_PKi
; %bb.0:
	s_load_dword s23, s[4:5], 0x0
	v_lshl_or_b32 v0, s6, 8, v0
	s_waitcnt lgkmcnt(0)
	s_lshr_b32 s22, s23, 3
	v_cmp_gt_i32_e32 vcc, s22, v0
	s_and_saveexec_b64 s[0:1], vcc
	s_cbranch_execz .LBB31_29
; %bb.1:
	s_load_dwordx4 s[8:11], s[4:5], 0x28
	s_load_dwordx2 s[16:17], s[4:5], 0x38
	s_cmp_lt_i32 s23, 1
	v_add_u32_e32 v19, s22, v0
	s_mul_i32 s24, s7, s23
	s_cbranch_scc1 .LBB31_21
; %bb.2:
	s_load_dwordx4 s[12:15], s[4:5], 0x10
	s_load_dwordx2 s[6:7], s[4:5], 0x20
	v_ashrrev_i32_e32 v1, 31, v0
	v_lshlrev_b64 v[1:2], 2, v[0:1]
	s_lshl_b32 s28, s24, 3
	s_waitcnt lgkmcnt(0)
	v_mov_b32_e32 v3, s15
	v_add_co_u32_e32 v1, vcc, s14, v1
	v_addc_co_u32_e32 v2, vcc, v3, v2, vcc
	global_load_dword v24, v[1:2], off
	s_add_i32 s29, s28, s23
	s_add_i32 s30, s29, s23
	;; [unrolled: 1-line block ×6, first 2 shown]
	s_mul_i32 s25, s22, 7
	s_mul_i32 s26, s22, 6
	s_lshl_b32 s27, s22, 1
	v_add_u32_e32 v20, s22, v19
	s_add_i32 s36, s35, s23
	v_mov_b32_e32 v2, 0
	s_mov_b64 s[18:19], 0
	v_mov_b32_e32 v22, s7
	v_mov_b32_e32 v21, 0
	s_branch .LBB31_5
.LBB31_3:                               ;   in Loop: Header=BB31_5 Depth=1
	s_or_b64 exec, exec, s[4:5]
	v_fma_f32 v24, -v24, v29, v25
	v_mov_b32_e32 v1, s22
.LBB31_4:                               ;   in Loop: Header=BB31_5 Depth=1
	s_or_b64 exec, exec, s[2:3]
	v_add_u32_e32 v21, v1, v21
	v_cmp_le_i32_e32 vcc, s23, v21
	s_or_b64 s[18:19], vcc, s[18:19]
	s_andn2_b64 exec, exec, s[18:19]
	s_cbranch_execz .LBB31_20
.LBB31_5:                               ; =>This Inner Loop Header: Depth=1
	v_add_u32_e32 v15, v21, v0
	v_ashrrev_i32_e32 v16, 31, v15
	v_lshlrev_b64 v[3:4], 2, v[15:16]
	v_cmp_gt_u32_e64 s[0:1], s25, v21
	v_add_co_u32_e32 v5, vcc, s6, v3
	v_addc_co_u32_e32 v6, vcc, v22, v4, vcc
	global_load_dword v27, v[5:6], off
	v_mov_b32_e32 v23, 0
	s_and_saveexec_b64 s[2:3], s[0:1]
	s_cbranch_execz .LBB31_7
; %bb.6:                                ;   in Loop: Header=BB31_5 Depth=1
	v_add_u32_e32 v5, v19, v21
	v_ashrrev_i32_e32 v6, 31, v5
	v_lshlrev_b64 v[5:6], 2, v[5:6]
	v_mov_b32_e32 v1, s13
	v_add_co_u32_e32 v5, vcc, s12, v5
	v_addc_co_u32_e32 v6, vcc, v1, v6, vcc
	global_load_dword v23, v[5:6], off
.LBB31_7:                               ;   in Loop: Header=BB31_5 Depth=1
	s_or_b64 exec, exec, s[2:3]
	v_mov_b32_e32 v26, 0
	v_mov_b32_e32 v25, 0
	s_and_saveexec_b64 s[2:3], s[0:1]
	s_cbranch_execz .LBB31_9
; %bb.8:                                ;   in Loop: Header=BB31_5 Depth=1
	v_add_u32_e32 v5, v19, v21
	v_ashrrev_i32_e32 v6, 31, v5
	v_lshlrev_b64 v[5:6], 2, v[5:6]
	v_mov_b32_e32 v1, s15
	v_add_co_u32_e32 v5, vcc, s14, v5
	v_addc_co_u32_e32 v6, vcc, v1, v6, vcc
	global_load_dword v25, v[5:6], off
.LBB31_9:                               ;   in Loop: Header=BB31_5 Depth=1
	s_or_b64 exec, exec, s[2:3]
	s_and_saveexec_b64 s[2:3], s[0:1]
	s_cbranch_execz .LBB31_11
; %bb.10:                               ;   in Loop: Header=BB31_5 Depth=1
	v_add_u32_e32 v5, v19, v21
	v_ashrrev_i32_e32 v6, 31, v5
	v_lshlrev_b64 v[5:6], 2, v[5:6]
	v_mov_b32_e32 v1, s7
	v_add_co_u32_e32 v5, vcc, s6, v5
	v_addc_co_u32_e32 v6, vcc, v1, v6, vcc
	global_load_dword v26, v[5:6], off
.LBB31_11:                              ;   in Loop: Header=BB31_5 Depth=1
	s_or_b64 exec, exec, s[2:3]
	v_cmp_gt_u32_e64 s[2:3], s26, v21
	v_mov_b32_e32 v28, 0
	s_and_saveexec_b64 s[4:5], s[2:3]
	s_cbranch_execz .LBB31_13
; %bb.12:                               ;   in Loop: Header=BB31_5 Depth=1
	v_add_u32_e32 v5, v20, v21
	v_ashrrev_i32_e32 v6, 31, v5
	v_lshlrev_b64 v[5:6], 2, v[5:6]
	v_mov_b32_e32 v1, s13
	v_add_co_u32_e32 v5, vcc, s12, v5
	v_addc_co_u32_e32 v6, vcc, v1, v6, vcc
	global_load_dword v28, v[5:6], off
.LBB31_13:                              ;   in Loop: Header=BB31_5 Depth=1
	s_or_b64 exec, exec, s[4:5]
	v_mov_b32_e32 v1, s17
	v_add_co_u32_e32 v3, vcc, s16, v3
	v_addc_co_u32_e32 v4, vcc, v1, v4, vcc
	v_add_u32_e32 v1, s28, v15
	global_load_dword v29, v[3:4], off
	v_lshlrev_b64 v[3:4], 2, v[1:2]
	s_waitcnt vmcnt(2)
	v_mov_b32_e32 v30, s9
	v_add_co_u32_e32 v17, vcc, s8, v3
	v_add_u32_e32 v1, s29, v15
	v_addc_co_u32_e32 v18, vcc, v30, v4, vcc
	v_lshlrev_b64 v[3:4], 2, v[1:2]
	v_add_u32_e32 v1, s30, v15
	v_add_co_u32_e32 v7, vcc, s8, v3
	v_addc_co_u32_e32 v8, vcc, v30, v4, vcc
	v_lshlrev_b64 v[3:4], 2, v[1:2]
	v_add_u32_e32 v1, s31, v15
	v_add_co_u32_e32 v11, vcc, s8, v3
	;; [unrolled: 4-line block ×3, first 2 shown]
	v_lshlrev_b64 v[5:6], 2, v[1:2]
	v_addc_co_u32_e32 v4, vcc, v30, v4, vcc
	v_add_u32_e32 v1, s34, v15
	v_add_co_u32_e32 v5, vcc, s8, v5
	v_lshlrev_b64 v[9:10], 2, v[1:2]
	v_addc_co_u32_e32 v6, vcc, v30, v6, vcc
	v_add_u32_e32 v1, s35, v15
	v_add_co_u32_e32 v9, vcc, s8, v9
	;; [unrolled: 4-line block ×3, first 2 shown]
	v_lshlrev_b64 v[15:16], 2, v[1:2]
	v_addc_co_u32_e32 v14, vcc, v30, v14, vcc
	v_add_co_u32_e32 v15, vcc, s8, v15
	v_addc_co_u32_e32 v16, vcc, v30, v16, vcc
	global_load_dword v37, v[17:18], off
	global_load_dword v36, v[7:8], off
	;; [unrolled: 1-line block ×8, first 2 shown]
	v_cmp_ne_u32_e64 s[4:5], s25, v21
	s_waitcnt vmcnt(8)
	v_cmp_ne_u32_e32 vcc, 1, v29
	s_and_b64 s[4:5], s[4:5], vcc
	v_mul_f32_e32 v29, v27, v23
	s_and_saveexec_b64 s[20:21], s[4:5]
	s_xor_b64 s[4:5], exec, s[20:21]
	s_cbranch_execz .LBB31_17
; %bb.14:                               ;   in Loop: Header=BB31_5 Depth=1
	v_add_u32_e32 v54, v19, v21
	v_add_u32_e32 v1, s28, v54
	v_lshlrev_b64 v[38:39], 2, v[1:2]
	v_mov_b32_e32 v55, s9
	v_add_co_u32_e32 v40, vcc, s8, v38
	v_add_u32_e32 v1, s29, v54
	v_addc_co_u32_e32 v41, vcc, v55, v39, vcc
	v_lshlrev_b64 v[38:39], 2, v[1:2]
	v_add_u32_e32 v1, s30, v54
	v_add_co_u32_e32 v42, vcc, s8, v38
	v_addc_co_u32_e32 v43, vcc, v55, v39, vcc
	v_lshlrev_b64 v[38:39], 2, v[1:2]
	v_add_u32_e32 v1, s31, v54
	v_add_co_u32_e32 v44, vcc, s8, v38
	;; [unrolled: 4-line block ×6, first 2 shown]
	v_addc_co_u32_e32 v53, vcc, v55, v39, vcc
	v_lshlrev_b64 v[38:39], 2, v[1:2]
	v_fma_f32 v1, v24, v25, -v29
	v_div_scale_f32 v29, s[20:21], v1, v1, 1.0
	v_add_co_u32_e32 v54, vcc, s8, v38
	v_addc_co_u32_e32 v55, vcc, v55, v39, vcc
	v_rcp_f32_e32 v38, v29
	v_fma_f32 v39, -v29, v38, 1.0
	v_fmac_f32_e32 v38, v39, v38
	v_div_scale_f32 v39, vcc, 1.0, v1, 1.0
	v_mul_f32_e32 v56, v39, v38
	v_fma_f32 v57, -v29, v56, v39
	v_fmac_f32_e32 v56, v57, v38
	v_fma_f32 v29, -v29, v56, v39
	v_div_fmas_f32 v29, v29, v38, v56
	v_div_fixup_f32 v29, v29, v1, 1.0
	global_load_dword v1, v[40:41], off
	global_load_dword v39, v[42:43], off
	;; [unrolled: 1-line block ×8, first 2 shown]
	s_waitcnt vmcnt(15)
	v_mul_f32_e32 v37, v29, v37
	s_waitcnt vmcnt(13)
	v_mul_f32_e32 v35, v29, v35
	;; [unrolled: 2-line block ×3, first 2 shown]
	v_mul_f32_e32 v1, v27, v38
	v_fma_f32 v1, v25, v37, -v1
	global_store_dword v[17:18], v1, off
	v_mul_f32_e32 v18, v29, v36
	s_waitcnt vmcnt(7)
	v_mul_f32_e32 v36, v29, v39
	v_mul_f32_e32 v1, v27, v36
	v_fma_f32 v1, v25, v18, -v1
	s_waitcnt vmcnt(6)
	v_mul_f32_e32 v39, v29, v56
	global_store_dword v[7:8], v1, off
	v_mul_f32_e32 v1, v27, v39
	v_fma_f32 v1, v25, v35, -v1
	global_store_dword v[11:12], v1, off
	s_waitcnt vmcnt(7)
	v_mul_f32_e32 v12, v29, v57
	v_mul_f32_e32 v7, v29, v34
	v_mul_f32_e32 v1, v27, v12
	v_fma_f32 v1, v25, v7, -v1
	v_mul_f32_e32 v17, v29, v33
	s_waitcnt vmcnt(6)
	v_mul_f32_e32 v33, v29, v58
	global_store_dword v[3:4], v1, off
	v_mul_f32_e32 v1, v27, v33
	v_fma_f32 v1, v25, v17, -v1
	s_waitcnt vmcnt(6)
	v_mul_f32_e32 v11, v29, v59
	global_store_dword v[5:6], v1, off
	v_mul_f32_e32 v8, v29, v32
	v_mul_f32_e32 v1, v27, v11
	v_fma_f32 v1, v25, v8, -v1
	s_waitcnt vmcnt(6)
	v_mul_f32_e32 v6, v29, v60
	global_store_dword v[9:10], v1, off
	v_mul_f32_e32 v5, v29, v31
	;; [unrolled: 6-line block ×3, first 2 shown]
	v_mul_f32_e32 v1, v27, v4
	v_fma_f32 v1, v25, v3, -v1
	global_store_dword v[15:16], v1, off
	v_mul_f32_e32 v1, v23, v37
	v_fma_f32 v1, v24, v38, -v1
	global_store_dword v[40:41], v1, off
	;; [unrolled: 3-line block ×9, first 2 shown]
	v_mov_b32_e32 v1, 0
	s_and_saveexec_b64 s[20:21], s[2:3]
	s_cbranch_execz .LBB31_16
; %bb.15:                               ;   in Loop: Header=BB31_5 Depth=1
	v_add_u32_e32 v9, v20, v21
	v_add_u32_e32 v1, s28, v9
	v_lshlrev_b64 v[13:14], 2, v[1:2]
	v_mov_b32_e32 v25, s9
	v_add_co_u32_e32 v13, vcc, s8, v13
	v_addc_co_u32_e32 v14, vcc, v25, v14, vcc
	global_load_dword v10, v[13:14], off
	v_mul_f32_e32 v31, v24, v28
	v_mul_f32_e32 v30, v23, v28
	;; [unrolled: 1-line block ×3, first 2 shown]
	v_fma_f32 v27, v30, v37, -v1
	v_add_u32_e32 v1, s29, v9
	v_lshlrev_b64 v[15:16], 2, v[1:2]
	v_add_u32_e32 v1, s30, v9
	v_lshlrev_b64 v[23:24], 2, v[1:2]
	v_add_co_u32_e32 v15, vcc, s8, v15
	v_addc_co_u32_e32 v16, vcc, v25, v16, vcc
	global_load_dword v32, v[15:16], off
	v_add_co_u32_e32 v23, vcc, s8, v23
	v_addc_co_u32_e32 v24, vcc, v25, v24, vcc
	v_mul_f32_e32 v4, v31, v4
	v_fma_f32 v3, v30, v3, -v4
	s_waitcnt vmcnt(1)
	v_add_f32_e32 v1, v27, v10
	global_store_dword v[13:14], v1, off
	global_load_dword v10, v[23:24], off
	v_mul_f32_e32 v1, v31, v36
	v_mul_f32_e32 v13, v31, v39
	v_fma_f32 v18, v30, v18, -v1
	v_add_u32_e32 v1, s31, v9
	v_fma_f32 v34, v30, v35, -v13
	v_lshlrev_b64 v[13:14], 2, v[1:2]
	v_add_u32_e32 v1, s33, v9
	v_lshlrev_b64 v[27:28], 2, v[1:2]
	v_add_co_u32_e32 v13, vcc, s8, v13
	s_waitcnt vmcnt(2)
	v_add_f32_e32 v1, v18, v32
	v_addc_co_u32_e32 v14, vcc, v25, v14, vcc
	global_store_dword v[15:16], v1, off
	v_add_co_u32_e32 v27, vcc, s8, v27
	global_load_dword v18, v[13:14], off
	v_addc_co_u32_e32 v28, vcc, v25, v28, vcc
	s_waitcnt vmcnt(2)
	v_add_f32_e32 v1, v34, v10
	global_store_dword v[23:24], v1, off
	global_load_dword v10, v[27:28], off
	v_mul_f32_e32 v1, v31, v12
	v_fma_f32 v7, v30, v7, -v1
	v_add_u32_e32 v1, s34, v9
	v_mul_f32_e32 v12, v31, v33
	v_lshlrev_b64 v[15:16], 2, v[1:2]
	v_fma_f32 v12, v30, v17, -v12
	v_add_co_u32_e32 v15, vcc, s8, v15
	v_addc_co_u32_e32 v16, vcc, v25, v16, vcc
	s_waitcnt vmcnt(2)
	v_add_f32_e32 v1, v7, v18
	global_store_dword v[13:14], v1, off
	s_waitcnt vmcnt(1)
	v_add_f32_e32 v1, v12, v10
	global_store_dword v[27:28], v1, off
	global_load_dword v10, v[15:16], off
	v_mul_f32_e32 v1, v31, v11
	v_fma_f32 v11, v30, v8, -v1
	v_add_u32_e32 v1, s35, v9
	v_lshlrev_b64 v[7:8], 2, v[1:2]
	v_mov_b32_e32 v12, s15
	v_add_co_u32_e32 v7, vcc, s8, v7
	v_addc_co_u32_e32 v8, vcc, v25, v8, vcc
	s_waitcnt vmcnt(0)
	v_add_f32_e32 v1, v11, v10
	global_store_dword v[15:16], v1, off
	global_load_dword v11, v[7:8], off
	v_mul_f32_e32 v1, v31, v6
	v_ashrrev_i32_e32 v10, 31, v9
	v_fma_f32 v13, v30, v5, -v1
	v_add_u32_e32 v1, s36, v9
	v_lshlrev_b64 v[5:6], 2, v[9:10]
	v_lshlrev_b64 v[9:10], 2, v[1:2]
	v_add_co_u32_e32 v9, vcc, s8, v9
	v_addc_co_u32_e32 v10, vcc, v25, v10, vcc
	v_add_co_u32_e32 v5, vcc, s14, v5
	v_addc_co_u32_e32 v6, vcc, v12, v6, vcc
	global_load_dword v5, v[5:6], off
	v_mul_f32_e32 v6, v26, v31
	s_waitcnt vmcnt(1)
	v_add_f32_e32 v1, v13, v11
	global_store_dword v[7:8], v1, off
	global_load_dword v1, v[9:10], off
	s_waitcnt vmcnt(0)
	v_add_f32_e32 v1, v3, v1
	global_store_dword v[9:10], v1, off
	v_fma_f32 v1, -v29, v6, v5
.LBB31_16:                              ;   in Loop: Header=BB31_5 Depth=1
	s_or_b64 exec, exec, s[20:21]
	v_mov_b32_e32 v24, v1
                                        ; implicit-def: $vgpr23
                                        ; implicit-def: $vgpr25
                                        ; implicit-def: $vgpr29
                                        ; implicit-def: $vgpr17_vgpr18
                                        ; implicit-def: $vgpr37
                                        ; implicit-def: $vgpr7_vgpr8
                                        ; implicit-def: $vgpr36
                                        ; implicit-def: $vgpr11_vgpr12
                                        ; implicit-def: $vgpr35
                                        ; implicit-def: $vgpr3_vgpr4
                                        ; implicit-def: $vgpr34
                                        ; implicit-def: $vgpr5_vgpr6
                                        ; implicit-def: $vgpr33
                                        ; implicit-def: $vgpr9_vgpr10
                                        ; implicit-def: $vgpr32
                                        ; implicit-def: $vgpr13_vgpr14
                                        ; implicit-def: $vgpr31
                                        ; implicit-def: $vgpr15_vgpr16
                                        ; implicit-def: $vgpr30
.LBB31_17:                              ;   in Loop: Header=BB31_5 Depth=1
	s_or_saveexec_b64 s[2:3], s[4:5]
	v_mov_b32_e32 v1, s27
	s_xor_b64 exec, exec, s[2:3]
	s_cbranch_execz .LBB31_4
; %bb.18:                               ;   in Loop: Header=BB31_5 Depth=1
	v_div_scale_f32 v1, s[4:5], v24, v24, 1.0
	v_div_scale_f32 v26, vcc, 1.0, v24, 1.0
	v_rcp_f32_e32 v27, v1
	v_fma_f32 v28, -v1, v27, 1.0
	v_fmac_f32_e32 v27, v28, v27
	v_mul_f32_e32 v28, v26, v27
	v_fma_f32 v38, -v1, v28, v26
	v_fmac_f32_e32 v28, v38, v27
	v_fma_f32 v1, -v1, v28, v26
	v_div_fmas_f32 v1, v1, v27, v28
	v_div_fixup_f32 v24, v1, v24, 1.0
	s_waitcnt vmcnt(7)
	v_mul_f32_e32 v37, v24, v37
	s_waitcnt vmcnt(6)
	v_mul_f32_e32 v36, v24, v36
	;; [unrolled: 2-line block ×8, first 2 shown]
	global_store_dword v[17:18], v37, off
	global_store_dword v[7:8], v36, off
	;; [unrolled: 1-line block ×8, first 2 shown]
	s_and_saveexec_b64 s[4:5], s[0:1]
	s_cbranch_execz .LBB31_3
; %bb.19:                               ;   in Loop: Header=BB31_5 Depth=1
	v_add_u32_e32 v11, v19, v21
	v_add_u32_e32 v1, s28, v11
	v_lshlrev_b64 v[3:4], 2, v[1:2]
	v_mov_b32_e32 v12, s9
	v_add_co_u32_e32 v3, vcc, s8, v3
	v_addc_co_u32_e32 v4, vcc, v12, v4, vcc
	global_load_dword v9, v[3:4], off
	v_add_u32_e32 v1, s29, v11
	v_lshlrev_b64 v[5:6], 2, v[1:2]
	v_add_u32_e32 v1, s30, v11
	v_lshlrev_b64 v[7:8], 2, v[1:2]
	v_add_co_u32_e32 v5, vcc, s8, v5
	v_addc_co_u32_e32 v6, vcc, v12, v6, vcc
	global_load_dword v13, v[5:6], off
	v_add_co_u32_e32 v7, vcc, s8, v7
	v_addc_co_u32_e32 v8, vcc, v12, v8, vcc
	s_waitcnt vmcnt(1)
	v_fma_f32 v1, -v23, v37, v9
	global_store_dword v[3:4], v1, off
	global_load_dword v14, v[7:8], off
	v_add_u32_e32 v1, s31, v11
	v_lshlrev_b64 v[3:4], 2, v[1:2]
	v_add_u32_e32 v1, s33, v11
	v_lshlrev_b64 v[9:10], 2, v[1:2]
	v_add_co_u32_e32 v3, vcc, s8, v3
	s_waitcnt vmcnt(2)
	v_fma_f32 v1, -v23, v36, v13
	v_addc_co_u32_e32 v4, vcc, v12, v4, vcc
	global_store_dword v[5:6], v1, off
	v_add_co_u32_e32 v9, vcc, s8, v9
	global_load_dword v13, v[3:4], off
	v_addc_co_u32_e32 v10, vcc, v12, v10, vcc
	s_waitcnt vmcnt(2)
	v_fma_f32 v1, -v23, v35, v14
	global_store_dword v[7:8], v1, off
	global_load_dword v7, v[9:10], off
	v_add_u32_e32 v1, s34, v11
	v_lshlrev_b64 v[5:6], 2, v[1:2]
	v_add_co_u32_e32 v5, vcc, s8, v5
	v_addc_co_u32_e32 v6, vcc, v12, v6, vcc
	s_waitcnt vmcnt(2)
	v_fma_f32 v1, -v23, v34, v13
	global_store_dword v[3:4], v1, off
	s_waitcnt vmcnt(1)
	v_fma_f32 v1, -v23, v33, v7
	global_store_dword v[9:10], v1, off
	global_load_dword v7, v[5:6], off
	v_add_u32_e32 v1, s35, v11
	v_lshlrev_b64 v[3:4], 2, v[1:2]
	v_add_co_u32_e32 v3, vcc, s8, v3
	v_addc_co_u32_e32 v4, vcc, v12, v4, vcc
	s_waitcnt vmcnt(0)
	v_fma_f32 v1, -v23, v28, v7
	global_store_dword v[5:6], v1, off
	global_load_dword v7, v[3:4], off
	v_add_u32_e32 v1, s36, v11
	v_lshlrev_b64 v[5:6], 2, v[1:2]
	s_waitcnt vmcnt(0)
	v_fma_f32 v1, -v23, v27, v7
	global_store_dword v[3:4], v1, off
	v_add_co_u32_e32 v3, vcc, s8, v5
	v_addc_co_u32_e32 v4, vcc, v12, v6, vcc
	global_load_dword v1, v[3:4], off
	s_waitcnt vmcnt(0)
	v_fma_f32 v1, -v23, v26, v1
	global_store_dword v[3:4], v1, off
	s_branch .LBB31_3
.LBB31_20:
	s_or_b64 exec, exec, s[18:19]
	s_branch .LBB31_22
.LBB31_21:
	v_mov_b32_e32 v21, 0
.LBB31_22:
	v_subrev_u32_e32 v3, s22, v21
	v_add_u32_e32 v1, v3, v0
	v_ashrrev_i32_e32 v2, 31, v1
	v_lshlrev_b64 v[1:2], 2, v[1:2]
	s_waitcnt lgkmcnt(0)
	v_mov_b32_e32 v4, s17
	v_add_co_u32_e32 v1, vcc, s16, v1
	v_addc_co_u32_e32 v2, vcc, v4, v2, vcc
	s_waitcnt vmcnt(0)
	buffer_wbinvl1_vol
	global_load_dword v1, v[1:2], off
	s_waitcnt vmcnt(0)
	v_mul_lo_u32 v1, v1, s22
	v_sub_u32_e32 v5, v3, v1
	v_cmp_lt_i32_e32 vcc, -1, v5
	s_and_b64 exec, exec, vcc
	s_cbranch_execz .LBB31_29
; %bb.23:
	s_lshl_b32 s4, s24, 3
	s_add_i32 s5, s4, s23
	s_add_i32 s6, s5, s23
	;; [unrolled: 1-line block ×7, first 2 shown]
	s_lshl_b32 s18, s22, 1
	s_mov_b64 s[0:1], 0
	v_mov_b32_e32 v6, s17
	v_mov_b32_e32 v7, s11
	;; [unrolled: 1-line block ×3, first 2 shown]
	s_branch .LBB31_25
.LBB31_24:                              ;   in Loop: Header=BB31_25 Depth=1
	s_or_b64 exec, exec, s[2:3]
	v_sub_u32_e32 v5, v5, v1
	v_cmp_gt_i32_e32 vcc, 0, v5
	s_or_b64 s[0:1], vcc, s[0:1]
	s_andn2_b64 exec, exec, s[0:1]
	s_cbranch_execz .LBB31_29
.LBB31_25:                              ; =>This Inner Loop Header: Depth=1
	v_add_u32_e32 v3, v5, v0
	s_waitcnt vmcnt(0)
	v_ashrrev_i32_e32 v4, 31, v3
	v_lshlrev_b64 v[8:9], 2, v[3:4]
	v_add_co_u32_e32 v10, vcc, s16, v8
	v_addc_co_u32_e32 v11, vcc, v6, v9, vcc
	v_add_co_u32_e32 v8, vcc, s10, v8
	global_load_dword v1, v[10:11], off
	v_addc_co_u32_e32 v9, vcc, v7, v9, vcc
	global_load_dword v4, v[8:9], off
	s_waitcnt vmcnt(1)
	v_cmp_ne_u32_e32 vcc, 1, v1
	s_and_saveexec_b64 s[2:3], vcc
	s_xor_b64 s[2:3], exec, s[2:3]
	s_cbranch_execz .LBB31_27
; %bb.26:                               ;   in Loop: Header=BB31_25 Depth=1
	v_add_u32_e32 v18, v19, v5
	v_add_u32_e32 v1, s4, v18
	v_lshlrev_b64 v[8:9], 2, v[1:2]
	v_mov_b32_e32 v1, s9
	v_add_co_u32_e32 v8, vcc, s8, v8
	v_addc_co_u32_e32 v9, vcc, v1, v9, vcc
	v_add_u32_e32 v1, s5, v18
	global_load_dword v28, v[8:9], off
	v_lshlrev_b64 v[8:9], 2, v[1:2]
	v_add_u32_e32 v1, s6, v18
	v_lshlrev_b64 v[10:11], 2, v[1:2]
	v_add_u32_e32 v1, s7, v18
	;; [unrolled: 2-line block ×7, first 2 shown]
	v_lshlrev_b64 v[24:25], 2, v[1:2]
	v_mov_b32_e32 v1, s9
	v_add_co_u32_e32 v24, vcc, s8, v24
	v_addc_co_u32_e32 v25, vcc, v1, v25, vcc
	global_load_dword v18, v[24:25], off
	v_add_co_u32_e32 v8, vcc, s8, v8
	v_addc_co_u32_e32 v9, vcc, v1, v9, vcc
	v_mov_b32_e32 v26, s9
	v_add_co_u32_e32 v10, vcc, s8, v10
	v_addc_co_u32_e32 v11, vcc, v26, v11, vcc
	v_mov_b32_e32 v27, s9
	;; [unrolled: 3-line block ×5, first 2 shown]
	v_add_co_u32_e32 v20, vcc, s8, v20
	v_addc_co_u32_e32 v21, vcc, v31, v21, vcc
	v_add_u32_e32 v1, s5, v3
	v_mov_b32_e32 v32, s9
	v_add_co_u32_e32 v22, vcc, s8, v22
	v_lshlrev_b64 v[26:27], 2, v[1:2]
	v_addc_co_u32_e32 v23, vcc, v32, v23, vcc
	v_mov_b32_e32 v33, s9
	global_load_dword v29, v[8:9], off
	global_load_dword v30, v[10:11], off
	;; [unrolled: 1-line block ×7, first 2 shown]
	v_add_co_u32_e32 v8, vcc, s8, v26
	v_addc_co_u32_e32 v9, vcc, v33, v27, vcc
	v_mov_b32_e32 v13, s9
	s_waitcnt vmcnt(7)
	v_fma_f32 v1, -v4, v28, v18
	global_store_dword v[24:25], v1, off
	global_load_dword v12, v[8:9], off
	v_add_u32_e32 v1, s6, v3
	v_lshlrev_b64 v[10:11], 2, v[1:2]
	v_add_co_u32_e32 v10, vcc, s8, v10
	v_addc_co_u32_e32 v11, vcc, v13, v11, vcc
	s_waitcnt vmcnt(0)
	v_fma_f32 v1, -v4, v29, v12
	global_store_dword v[8:9], v1, off
	global_load_dword v12, v[10:11], off
	v_add_u32_e32 v1, s7, v3
	v_lshlrev_b64 v[8:9], 2, v[1:2]
	v_add_co_u32_e32 v8, vcc, s8, v8
	v_addc_co_u32_e32 v9, vcc, v13, v9, vcc
	;; [unrolled: 8-line block ×6, first 2 shown]
	s_waitcnt vmcnt(0)
	v_fma_f32 v1, -v4, v35, v12
	global_store_dword v[10:11], v1, off
	global_load_dword v3, v[8:9], off
	v_subrev_u32_e32 v1, s22, v5
	v_add_u32_e32 v10, v1, v0
	v_ashrrev_i32_e32 v11, 31, v10
	v_lshlrev_b64 v[11:12], 2, v[10:11]
	v_add_u32_e32 v1, s4, v10
	v_add_co_u32_e32 v11, vcc, s10, v11
	v_addc_co_u32_e32 v12, vcc, v7, v12, vcc
	global_load_dword v14, v[11:12], off
	v_lshlrev_b64 v[11:12], 2, v[1:2]
	v_add_co_u32_e32 v11, vcc, s8, v11
	v_addc_co_u32_e32 v12, vcc, v13, v12, vcc
	s_waitcnt vmcnt(1)
	v_fma_f32 v1, -v4, v36, v3
	global_store_dword v[8:9], v1, off
	global_load_dword v8, v[11:12], off
	v_add_u32_e32 v1, s5, v10
	v_lshlrev_b64 v[3:4], 2, v[1:2]
	v_mov_b32_e32 v9, s9
	v_add_co_u32_e32 v3, vcc, s8, v3
	v_addc_co_u32_e32 v4, vcc, v9, v4, vcc
	s_waitcnt vmcnt(0)
	v_fma_f32 v1, -v14, v28, v8
	global_store_dword v[11:12], v1, off
	global_load_dword v11, v[3:4], off
	v_add_u32_e32 v1, s6, v10
	v_lshlrev_b64 v[8:9], 2, v[1:2]
	v_mov_b32_e32 v12, s9
	v_add_co_u32_e32 v8, vcc, s8, v8
	v_addc_co_u32_e32 v9, vcc, v12, v9, vcc
	s_waitcnt vmcnt(0)
	v_fma_f32 v1, -v14, v29, v11
	global_store_dword v[3:4], v1, off
	global_load_dword v11, v[8:9], off
	v_add_u32_e32 v1, s7, v10
	v_lshlrev_b64 v[3:4], 2, v[1:2]
	v_add_co_u32_e32 v3, vcc, s8, v3
	v_addc_co_u32_e32 v4, vcc, v12, v4, vcc
	s_waitcnt vmcnt(0)
	v_fma_f32 v1, -v14, v30, v11
	global_store_dword v[8:9], v1, off
	global_load_dword v11, v[3:4], off
	v_add_u32_e32 v1, s12, v10
	v_lshlrev_b64 v[8:9], 2, v[1:2]
	v_add_co_u32_e32 v8, vcc, s8, v8
	v_addc_co_u32_e32 v9, vcc, v12, v9, vcc
	s_waitcnt vmcnt(0)
	v_fma_f32 v1, -v14, v31, v11
	global_store_dword v[3:4], v1, off
	global_load_dword v11, v[8:9], off
	v_add_u32_e32 v1, s13, v10
	v_lshlrev_b64 v[3:4], 2, v[1:2]
	v_add_co_u32_e32 v3, vcc, s8, v3
	v_addc_co_u32_e32 v4, vcc, v12, v4, vcc
	s_waitcnt vmcnt(0)
	v_fma_f32 v1, -v14, v32, v11
	global_store_dword v[8:9], v1, off
	global_load_dword v11, v[3:4], off
	v_add_u32_e32 v1, s14, v10
	v_lshlrev_b64 v[8:9], 2, v[1:2]
	v_add_co_u32_e32 v8, vcc, s8, v8
	v_addc_co_u32_e32 v9, vcc, v12, v9, vcc
	s_waitcnt vmcnt(0)
	v_fma_f32 v1, -v14, v34, v11
	global_store_dword v[3:4], v1, off
	global_load_dword v11, v[8:9], off
	v_add_u32_e32 v1, s15, v10
	v_lshlrev_b64 v[3:4], 2, v[1:2]
	v_add_co_u32_e32 v3, vcc, s8, v3
	v_addc_co_u32_e32 v4, vcc, v12, v4, vcc
	s_waitcnt vmcnt(0)
	v_fma_f32 v1, -v14, v35, v11
	global_store_dword v[8:9], v1, off
	global_load_dword v1, v[3:4], off
	s_waitcnt vmcnt(0)
	v_fma_f32 v1, -v14, v36, v1
	global_store_dword v[3:4], v1, off
                                        ; implicit-def: $vgpr3
                                        ; implicit-def: $vgpr4
.LBB31_27:                              ;   in Loop: Header=BB31_25 Depth=1
	s_or_saveexec_b64 s[2:3], s[2:3]
	v_mov_b32_e32 v1, s18
	s_xor_b64 exec, exec, s[2:3]
	s_cbranch_execz .LBB31_24
; %bb.28:                               ;   in Loop: Header=BB31_25 Depth=1
	v_add_u32_e32 v14, v19, v5
	v_add_u32_e32 v1, s4, v14
	v_lshlrev_b64 v[8:9], 2, v[1:2]
	v_mov_b32_e32 v1, s9
	v_add_co_u32_e32 v8, vcc, s8, v8
	v_addc_co_u32_e32 v9, vcc, v1, v9, vcc
	v_add_u32_e32 v1, s4, v3
	v_lshlrev_b64 v[10:11], 2, v[1:2]
	v_mov_b32_e32 v1, s9
	v_add_co_u32_e32 v10, vcc, s8, v10
	v_addc_co_u32_e32 v11, vcc, v1, v11, vcc
	global_load_dword v15, v[8:9], off
	global_load_dword v16, v[10:11], off
	v_add_u32_e32 v1, s5, v14
	v_lshlrev_b64 v[8:9], 2, v[1:2]
	v_add_u32_e32 v1, s5, v3
	v_mov_b32_e32 v17, s9
	v_lshlrev_b64 v[12:13], 2, v[1:2]
	v_add_co_u32_e32 v8, vcc, s8, v8
	v_addc_co_u32_e32 v9, vcc, v17, v9, vcc
	v_mov_b32_e32 v18, s9
	v_add_co_u32_e32 v12, vcc, s8, v12
	v_addc_co_u32_e32 v13, vcc, v18, v13, vcc
	s_waitcnt vmcnt(0)
	v_fma_f32 v1, -v4, v15, v16
	global_store_dword v[10:11], v1, off
	global_load_dword v15, v[8:9], off
	global_load_dword v16, v[12:13], off
	v_add_u32_e32 v1, s6, v14
	v_lshlrev_b64 v[8:9], 2, v[1:2]
	v_add_u32_e32 v1, s6, v3
	v_lshlrev_b64 v[10:11], 2, v[1:2]
	v_add_co_u32_e32 v8, vcc, s8, v8
	v_addc_co_u32_e32 v9, vcc, v17, v9, vcc
	v_add_co_u32_e32 v10, vcc, s8, v10
	v_addc_co_u32_e32 v11, vcc, v18, v11, vcc
	s_waitcnt vmcnt(0)
	v_fma_f32 v1, -v4, v15, v16
	global_store_dword v[12:13], v1, off
	global_load_dword v15, v[8:9], off
	global_load_dword v16, v[10:11], off
	v_add_u32_e32 v1, s7, v14
	v_lshlrev_b64 v[8:9], 2, v[1:2]
	v_add_u32_e32 v1, s7, v3
	v_lshlrev_b64 v[12:13], 2, v[1:2]
	v_add_co_u32_e32 v8, vcc, s8, v8
	v_addc_co_u32_e32 v9, vcc, v17, v9, vcc
	;; [unrolled: 13-line block ×6, first 2 shown]
	v_add_co_u32_e32 v12, vcc, s8, v12
	v_addc_co_u32_e32 v13, vcc, v18, v13, vcc
	s_waitcnt vmcnt(0)
	v_fma_f32 v1, -v4, v15, v16
	global_store_dword v[10:11], v1, off
	global_load_dword v1, v[8:9], off
	s_nop 0
	global_load_dword v3, v[12:13], off
	s_waitcnt vmcnt(0)
	v_fma_f32 v1, -v4, v1, v3
	global_store_dword v[12:13], v1, off
	v_mov_b32_e32 v1, s22
	s_branch .LBB31_24
.LBB31_29:
	s_endpgm
	.section	.rodata,"a",@progbits
	.p2align	6, 0x0
	.amdhsa_kernel _ZN9rocsparseL19gtsv_LBM_rhs_kernelILj256ELj8ELj8EfEEviiiPKT2_S3_S3_PS1_S3_PKi
		.amdhsa_group_segment_fixed_size 0
		.amdhsa_private_segment_fixed_size 0
		.amdhsa_kernarg_size 64
		.amdhsa_user_sgpr_count 6
		.amdhsa_user_sgpr_private_segment_buffer 1
		.amdhsa_user_sgpr_dispatch_ptr 0
		.amdhsa_user_sgpr_queue_ptr 0
		.amdhsa_user_sgpr_kernarg_segment_ptr 1
		.amdhsa_user_sgpr_dispatch_id 0
		.amdhsa_user_sgpr_flat_scratch_init 0
		.amdhsa_user_sgpr_private_segment_size 0
		.amdhsa_uses_dynamic_stack 0
		.amdhsa_system_sgpr_private_segment_wavefront_offset 0
		.amdhsa_system_sgpr_workgroup_id_x 1
		.amdhsa_system_sgpr_workgroup_id_y 1
		.amdhsa_system_sgpr_workgroup_id_z 0
		.amdhsa_system_sgpr_workgroup_info 0
		.amdhsa_system_vgpr_workitem_id 0
		.amdhsa_next_free_vgpr 62
		.amdhsa_next_free_sgpr 37
		.amdhsa_reserve_vcc 1
		.amdhsa_reserve_flat_scratch 0
		.amdhsa_float_round_mode_32 0
		.amdhsa_float_round_mode_16_64 0
		.amdhsa_float_denorm_mode_32 3
		.amdhsa_float_denorm_mode_16_64 3
		.amdhsa_dx10_clamp 1
		.amdhsa_ieee_mode 1
		.amdhsa_fp16_overflow 0
		.amdhsa_exception_fp_ieee_invalid_op 0
		.amdhsa_exception_fp_denorm_src 0
		.amdhsa_exception_fp_ieee_div_zero 0
		.amdhsa_exception_fp_ieee_overflow 0
		.amdhsa_exception_fp_ieee_underflow 0
		.amdhsa_exception_fp_ieee_inexact 0
		.amdhsa_exception_int_div_zero 0
	.end_amdhsa_kernel
	.section	.text._ZN9rocsparseL19gtsv_LBM_rhs_kernelILj256ELj8ELj8EfEEviiiPKT2_S3_S3_PS1_S3_PKi,"axG",@progbits,_ZN9rocsparseL19gtsv_LBM_rhs_kernelILj256ELj8ELj8EfEEviiiPKT2_S3_S3_PS1_S3_PKi,comdat
.Lfunc_end31:
	.size	_ZN9rocsparseL19gtsv_LBM_rhs_kernelILj256ELj8ELj8EfEEviiiPKT2_S3_S3_PS1_S3_PKi, .Lfunc_end31-_ZN9rocsparseL19gtsv_LBM_rhs_kernelILj256ELj8ELj8EfEEviiiPKT2_S3_S3_PS1_S3_PKi
                                        ; -- End function
	.set _ZN9rocsparseL19gtsv_LBM_rhs_kernelILj256ELj8ELj8EfEEviiiPKT2_S3_S3_PS1_S3_PKi.num_vgpr, 62
	.set _ZN9rocsparseL19gtsv_LBM_rhs_kernelILj256ELj8ELj8EfEEviiiPKT2_S3_S3_PS1_S3_PKi.num_agpr, 0
	.set _ZN9rocsparseL19gtsv_LBM_rhs_kernelILj256ELj8ELj8EfEEviiiPKT2_S3_S3_PS1_S3_PKi.numbered_sgpr, 37
	.set _ZN9rocsparseL19gtsv_LBM_rhs_kernelILj256ELj8ELj8EfEEviiiPKT2_S3_S3_PS1_S3_PKi.num_named_barrier, 0
	.set _ZN9rocsparseL19gtsv_LBM_rhs_kernelILj256ELj8ELj8EfEEviiiPKT2_S3_S3_PS1_S3_PKi.private_seg_size, 0
	.set _ZN9rocsparseL19gtsv_LBM_rhs_kernelILj256ELj8ELj8EfEEviiiPKT2_S3_S3_PS1_S3_PKi.uses_vcc, 1
	.set _ZN9rocsparseL19gtsv_LBM_rhs_kernelILj256ELj8ELj8EfEEviiiPKT2_S3_S3_PS1_S3_PKi.uses_flat_scratch, 0
	.set _ZN9rocsparseL19gtsv_LBM_rhs_kernelILj256ELj8ELj8EfEEviiiPKT2_S3_S3_PS1_S3_PKi.has_dyn_sized_stack, 0
	.set _ZN9rocsparseL19gtsv_LBM_rhs_kernelILj256ELj8ELj8EfEEviiiPKT2_S3_S3_PS1_S3_PKi.has_recursion, 0
	.set _ZN9rocsparseL19gtsv_LBM_rhs_kernelILj256ELj8ELj8EfEEviiiPKT2_S3_S3_PS1_S3_PKi.has_indirect_call, 0
	.section	.AMDGPU.csdata,"",@progbits
; Kernel info:
; codeLenInByte = 4644
; TotalNumSgprs: 41
; NumVgprs: 62
; ScratchSize: 0
; MemoryBound: 0
; FloatMode: 240
; IeeeMode: 1
; LDSByteSize: 0 bytes/workgroup (compile time only)
; SGPRBlocks: 5
; VGPRBlocks: 15
; NumSGPRsForWavesPerEU: 41
; NumVGPRsForWavesPerEU: 62
; Occupancy: 4
; WaveLimiterHint : 0
; COMPUTE_PGM_RSRC2:SCRATCH_EN: 0
; COMPUTE_PGM_RSRC2:USER_SGPR: 6
; COMPUTE_PGM_RSRC2:TRAP_HANDLER: 0
; COMPUTE_PGM_RSRC2:TGID_X_EN: 1
; COMPUTE_PGM_RSRC2:TGID_Y_EN: 1
; COMPUTE_PGM_RSRC2:TGID_Z_EN: 0
; COMPUTE_PGM_RSRC2:TIDIG_COMP_CNT: 0
	.section	.text._ZN9rocsparseL19gtsv_LBM_rhs_kernelILj256ELj8ELj4EfEEviiiPKT2_S3_S3_PS1_S3_PKi,"axG",@progbits,_ZN9rocsparseL19gtsv_LBM_rhs_kernelILj256ELj8ELj4EfEEviiiPKT2_S3_S3_PS1_S3_PKi,comdat
	.globl	_ZN9rocsparseL19gtsv_LBM_rhs_kernelILj256ELj8ELj4EfEEviiiPKT2_S3_S3_PS1_S3_PKi ; -- Begin function _ZN9rocsparseL19gtsv_LBM_rhs_kernelILj256ELj8ELj4EfEEviiiPKT2_S3_S3_PS1_S3_PKi
	.p2align	8
	.type	_ZN9rocsparseL19gtsv_LBM_rhs_kernelILj256ELj8ELj4EfEEviiiPKT2_S3_S3_PS1_S3_PKi,@function
_ZN9rocsparseL19gtsv_LBM_rhs_kernelILj256ELj8ELj4EfEEviiiPKT2_S3_S3_PS1_S3_PKi: ; @_ZN9rocsparseL19gtsv_LBM_rhs_kernelILj256ELj8ELj4EfEEviiiPKT2_S3_S3_PS1_S3_PKi
; %bb.0:
	s_load_dword s23, s[4:5], 0x0
	v_lshl_or_b32 v0, s6, 8, v0
	s_waitcnt lgkmcnt(0)
	s_lshr_b32 s22, s23, 3
	v_cmp_gt_i32_e32 vcc, s22, v0
	s_and_saveexec_b64 s[0:1], vcc
	s_cbranch_execz .LBB32_29
; %bb.1:
	s_load_dwordx4 s[8:11], s[4:5], 0x28
	s_load_dwordx2 s[16:17], s[4:5], 0x38
	s_cmp_lt_i32 s23, 1
	v_add_u32_e32 v11, s22, v0
	s_mul_i32 s24, s7, s23
	s_cbranch_scc1 .LBB32_21
; %bb.2:
	s_load_dwordx4 s[12:15], s[4:5], 0x10
	s_load_dwordx2 s[6:7], s[4:5], 0x20
	v_ashrrev_i32_e32 v1, 31, v0
	v_lshlrev_b64 v[1:2], 2, v[0:1]
	s_lshl_b32 s28, s24, 2
	s_waitcnt lgkmcnt(0)
	v_mov_b32_e32 v3, s15
	v_add_co_u32_e32 v1, vcc, s14, v1
	v_addc_co_u32_e32 v2, vcc, v3, v2, vcc
	global_load_dword v16, v[1:2], off
	s_add_i32 s29, s28, s23
	s_add_i32 s30, s29, s23
	s_mul_i32 s25, s22, 7
	s_mul_i32 s26, s22, 6
	s_lshl_b32 s27, s22, 1
	v_add_u32_e32 v13, s22, v11
	s_add_i32 s31, s30, s23
	v_mov_b32_e32 v2, 0
	s_mov_b64 s[18:19], 0
	v_mov_b32_e32 v14, s7
	v_mov_b32_e32 v12, 0
	s_branch .LBB32_5
.LBB32_3:                               ;   in Loop: Header=BB32_5 Depth=1
	s_or_b64 exec, exec, s[4:5]
	v_fma_f32 v16, -v16, v22, v18
	v_mov_b32_e32 v1, s22
.LBB32_4:                               ;   in Loop: Header=BB32_5 Depth=1
	s_or_b64 exec, exec, s[2:3]
	v_add_u32_e32 v12, v1, v12
	v_cmp_le_i32_e32 vcc, s23, v12
	s_or_b64 s[18:19], vcc, s[18:19]
	s_andn2_b64 exec, exec, s[18:19]
	s_cbranch_execz .LBB32_20
.LBB32_5:                               ; =>This Inner Loop Header: Depth=1
	v_add_u32_e32 v9, v12, v0
	v_ashrrev_i32_e32 v10, 31, v9
	v_lshlrev_b64 v[3:4], 2, v[9:10]
	v_cmp_gt_u32_e64 s[0:1], s25, v12
	v_add_co_u32_e32 v5, vcc, s6, v3
	v_addc_co_u32_e32 v6, vcc, v14, v4, vcc
	global_load_dword v19, v[5:6], off
	v_mov_b32_e32 v15, 0
	s_and_saveexec_b64 s[2:3], s[0:1]
	s_cbranch_execz .LBB32_7
; %bb.6:                                ;   in Loop: Header=BB32_5 Depth=1
	v_add_u32_e32 v5, v11, v12
	v_ashrrev_i32_e32 v6, 31, v5
	v_lshlrev_b64 v[5:6], 2, v[5:6]
	v_mov_b32_e32 v1, s13
	v_add_co_u32_e32 v5, vcc, s12, v5
	v_addc_co_u32_e32 v6, vcc, v1, v6, vcc
	global_load_dword v15, v[5:6], off
.LBB32_7:                               ;   in Loop: Header=BB32_5 Depth=1
	s_or_b64 exec, exec, s[2:3]
	v_mov_b32_e32 v17, 0
	v_mov_b32_e32 v18, 0
	s_and_saveexec_b64 s[2:3], s[0:1]
	s_cbranch_execz .LBB32_9
; %bb.8:                                ;   in Loop: Header=BB32_5 Depth=1
	v_add_u32_e32 v5, v11, v12
	v_ashrrev_i32_e32 v6, 31, v5
	v_lshlrev_b64 v[5:6], 2, v[5:6]
	v_mov_b32_e32 v1, s15
	v_add_co_u32_e32 v5, vcc, s14, v5
	v_addc_co_u32_e32 v6, vcc, v1, v6, vcc
	global_load_dword v18, v[5:6], off
.LBB32_9:                               ;   in Loop: Header=BB32_5 Depth=1
	s_or_b64 exec, exec, s[2:3]
	s_and_saveexec_b64 s[2:3], s[0:1]
	s_cbranch_execz .LBB32_11
; %bb.10:                               ;   in Loop: Header=BB32_5 Depth=1
	v_add_u32_e32 v5, v11, v12
	v_ashrrev_i32_e32 v6, 31, v5
	v_lshlrev_b64 v[5:6], 2, v[5:6]
	v_mov_b32_e32 v1, s7
	v_add_co_u32_e32 v5, vcc, s6, v5
	v_addc_co_u32_e32 v6, vcc, v1, v6, vcc
	global_load_dword v17, v[5:6], off
.LBB32_11:                              ;   in Loop: Header=BB32_5 Depth=1
	s_or_b64 exec, exec, s[2:3]
	v_cmp_gt_u32_e64 s[2:3], s26, v12
	v_mov_b32_e32 v20, 0
	s_and_saveexec_b64 s[4:5], s[2:3]
	s_cbranch_execz .LBB32_13
; %bb.12:                               ;   in Loop: Header=BB32_5 Depth=1
	v_add_u32_e32 v5, v13, v12
	v_ashrrev_i32_e32 v6, 31, v5
	v_lshlrev_b64 v[5:6], 2, v[5:6]
	v_mov_b32_e32 v1, s13
	v_add_co_u32_e32 v5, vcc, s12, v5
	v_addc_co_u32_e32 v6, vcc, v1, v6, vcc
	global_load_dword v20, v[5:6], off
.LBB32_13:                              ;   in Loop: Header=BB32_5 Depth=1
	s_or_b64 exec, exec, s[4:5]
	v_mov_b32_e32 v1, s17
	v_add_co_u32_e32 v3, vcc, s16, v3
	v_addc_co_u32_e32 v4, vcc, v1, v4, vcc
	v_add_u32_e32 v1, s28, v9
	global_load_dword v22, v[3:4], off
	v_lshlrev_b64 v[3:4], 2, v[1:2]
	v_add_u32_e32 v1, s29, v9
	s_waitcnt vmcnt(2)
	v_mov_b32_e32 v21, s9
	v_add_co_u32_e32 v3, vcc, s8, v3
	v_lshlrev_b64 v[5:6], 2, v[1:2]
	v_addc_co_u32_e32 v4, vcc, v21, v4, vcc
	v_add_u32_e32 v1, s30, v9
	v_add_co_u32_e32 v5, vcc, s8, v5
	v_lshlrev_b64 v[7:8], 2, v[1:2]
	v_addc_co_u32_e32 v6, vcc, v21, v6, vcc
	v_add_u32_e32 v1, s31, v9
	v_add_co_u32_e32 v7, vcc, s8, v7
	v_lshlrev_b64 v[9:10], 2, v[1:2]
	v_addc_co_u32_e32 v8, vcc, v21, v8, vcc
	v_add_co_u32_e32 v9, vcc, s8, v9
	v_addc_co_u32_e32 v10, vcc, v21, v10, vcc
	global_load_dword v25, v[3:4], off
	global_load_dword v24, v[5:6], off
	;; [unrolled: 1-line block ×4, first 2 shown]
	v_cmp_ne_u32_e64 s[4:5], s25, v12
	s_waitcnt vmcnt(4)
	v_cmp_ne_u32_e32 vcc, 1, v22
	s_and_b64 s[4:5], s[4:5], vcc
	v_mul_f32_e32 v22, v19, v15
	s_and_saveexec_b64 s[20:21], s[4:5]
	s_xor_b64 s[4:5], exec, s[20:21]
	s_cbranch_execz .LBB32_17
; %bb.14:                               ;   in Loop: Header=BB32_5 Depth=1
	v_add_u32_e32 v34, v11, v12
	v_add_u32_e32 v1, s28, v34
	v_lshlrev_b64 v[26:27], 2, v[1:2]
	v_mov_b32_e32 v35, s9
	v_add_co_u32_e32 v28, vcc, s8, v26
	v_add_u32_e32 v1, s29, v34
	v_addc_co_u32_e32 v29, vcc, v35, v27, vcc
	v_lshlrev_b64 v[26:27], 2, v[1:2]
	v_add_u32_e32 v1, s30, v34
	v_add_co_u32_e32 v30, vcc, s8, v26
	v_addc_co_u32_e32 v31, vcc, v35, v27, vcc
	v_lshlrev_b64 v[26:27], 2, v[1:2]
	v_add_u32_e32 v1, s31, v34
	v_add_co_u32_e32 v32, vcc, s8, v26
	v_addc_co_u32_e32 v33, vcc, v35, v27, vcc
	v_lshlrev_b64 v[26:27], 2, v[1:2]
	v_fma_f32 v1, v16, v18, -v22
	v_div_scale_f32 v22, s[20:21], v1, v1, 1.0
	v_add_co_u32_e32 v34, vcc, s8, v26
	v_addc_co_u32_e32 v35, vcc, v35, v27, vcc
	v_rcp_f32_e32 v26, v22
	v_fma_f32 v27, -v22, v26, 1.0
	v_fmac_f32_e32 v26, v27, v26
	v_div_scale_f32 v27, vcc, 1.0, v1, 1.0
	v_mul_f32_e32 v36, v27, v26
	v_fma_f32 v37, -v22, v36, v27
	v_fmac_f32_e32 v36, v37, v26
	v_fma_f32 v22, -v22, v36, v27
	v_div_fmas_f32 v22, v22, v26, v36
	v_div_fixup_f32 v22, v22, v1, 1.0
	global_load_dword v1, v[28:29], off
	global_load_dword v27, v[30:31], off
	;; [unrolled: 1-line block ×4, first 2 shown]
	s_waitcnt vmcnt(7)
	v_mul_f32_e32 v25, v22, v25
	s_waitcnt vmcnt(6)
	v_mul_f32_e32 v24, v22, v24
	;; [unrolled: 2-line block ×3, first 2 shown]
	v_mul_f32_e32 v26, v22, v1
	v_mul_f32_e32 v1, v19, v26
	v_fma_f32 v1, v18, v25, -v1
	global_store_dword v[3:4], v1, off
	v_mul_f32_e32 v1, v19, v27
	v_fma_f32 v1, v18, v24, -v1
	s_waitcnt vmcnt(2)
	v_mul_f32_e32 v4, v22, v36
	global_store_dword v[5:6], v1, off
	v_mul_f32_e32 v3, v22, v23
	v_mul_f32_e32 v1, v19, v4
	v_fma_f32 v1, v18, v3, -v1
	s_waitcnt vmcnt(2)
	v_mul_f32_e32 v6, v22, v37
	global_store_dword v[7:8], v1, off
	v_mul_f32_e32 v5, v22, v21
	v_mul_f32_e32 v1, v19, v6
	v_fma_f32 v1, v18, v5, -v1
	global_store_dword v[9:10], v1, off
	v_mul_f32_e32 v1, v15, v25
	v_fma_f32 v1, v16, v26, -v1
	v_mul_f32_e32 v7, v15, v24
	global_store_dword v[28:29], v1, off
	v_mul_f32_e32 v1, v15, v3
	v_mul_f32_e32 v8, v15, v5
	v_fma_f32 v7, v16, v27, -v7
	v_fma_f32 v1, v16, v4, -v1
	;; [unrolled: 1-line block ×3, first 2 shown]
	global_store_dword v[30:31], v7, off
	global_store_dword v[32:33], v1, off
	;; [unrolled: 1-line block ×3, first 2 shown]
	v_mov_b32_e32 v1, 0
	s_and_saveexec_b64 s[20:21], s[2:3]
	s_cbranch_execz .LBB32_16
; %bb.15:                               ;   in Loop: Header=BB32_5 Depth=1
	v_add_u32_e32 v7, v13, v12
	v_add_u32_e32 v1, s28, v7
	v_lshlrev_b64 v[8:9], 2, v[1:2]
	v_mov_b32_e32 v10, s9
	v_add_co_u32_e32 v18, vcc, s8, v8
	v_add_u32_e32 v1, s29, v7
	v_addc_co_u32_e32 v19, vcc, v10, v9, vcc
	v_lshlrev_b64 v[8:9], 2, v[1:2]
	global_load_dword v23, v[18:19], off
	v_add_co_u32_e32 v28, vcc, s8, v8
	v_addc_co_u32_e32 v29, vcc, v10, v9, vcc
	global_load_dword v30, v[28:29], off
	v_mul_f32_e32 v32, v16, v20
	v_mul_f32_e32 v31, v15, v20
	;; [unrolled: 1-line block ×3, first 2 shown]
	v_fma_f32 v25, v31, v25, -v1
	v_add_u32_e32 v1, s30, v7
	v_lshlrev_b64 v[15:16], 2, v[1:2]
	v_add_u32_e32 v1, s31, v7
	v_lshlrev_b64 v[20:21], 2, v[1:2]
	v_add_co_u32_e32 v15, vcc, s8, v15
	v_mul_f32_e32 v9, v32, v27
	v_ashrrev_i32_e32 v8, 31, v7
	v_addc_co_u32_e32 v16, vcc, v10, v16, vcc
	v_fma_f32 v24, v31, v24, -v9
	v_lshlrev_b64 v[8:9], 2, v[7:8]
	v_add_co_u32_e32 v20, vcc, s8, v20
	v_addc_co_u32_e32 v21, vcc, v10, v21, vcc
	v_mov_b32_e32 v33, s15
	v_add_co_u32_e32 v7, vcc, s14, v8
	v_addc_co_u32_e32 v8, vcc, v33, v9, vcc
	v_mul_f32_e32 v4, v32, v4
	v_mul_f32_e32 v6, v32, v6
	v_fma_f32 v3, v31, v3, -v4
	v_fma_f32 v4, v31, v5, -v6
	s_waitcnt vmcnt(1)
	v_add_f32_e32 v1, v25, v23
	global_store_dword v[18:19], v1, off
	s_waitcnt vmcnt(1)
	v_add_f32_e32 v1, v24, v30
	global_store_dword v[28:29], v1, off
	global_load_dword v1, v[15:16], off
	s_nop 0
	global_load_dword v10, v[20:21], off
	s_waitcnt vmcnt(1)
	v_add_f32_e32 v1, v3, v1
	global_load_dword v7, v[7:8], off
	v_mul_f32_e32 v8, v17, v32
	global_store_dword v[15:16], v1, off
	s_waitcnt vmcnt(2)
	v_add_f32_e32 v1, v4, v10
	global_store_dword v[20:21], v1, off
	s_waitcnt vmcnt(2)
	v_fma_f32 v1, -v22, v8, v7
.LBB32_16:                              ;   in Loop: Header=BB32_5 Depth=1
	s_or_b64 exec, exec, s[20:21]
	v_mov_b32_e32 v16, v1
                                        ; implicit-def: $vgpr15
                                        ; implicit-def: $vgpr18
                                        ; implicit-def: $vgpr22
                                        ; implicit-def: $vgpr3_vgpr4
                                        ; implicit-def: $vgpr25
                                        ; implicit-def: $vgpr5_vgpr6
                                        ; implicit-def: $vgpr24
                                        ; implicit-def: $vgpr7_vgpr8
                                        ; implicit-def: $vgpr23
                                        ; implicit-def: $vgpr9_vgpr10
                                        ; implicit-def: $vgpr21
.LBB32_17:                              ;   in Loop: Header=BB32_5 Depth=1
	s_or_saveexec_b64 s[2:3], s[4:5]
	v_mov_b32_e32 v1, s27
	s_xor_b64 exec, exec, s[2:3]
	s_cbranch_execz .LBB32_4
; %bb.18:                               ;   in Loop: Header=BB32_5 Depth=1
	v_div_scale_f32 v1, s[4:5], v16, v16, 1.0
	v_div_scale_f32 v17, vcc, 1.0, v16, 1.0
	v_rcp_f32_e32 v19, v1
	v_fma_f32 v20, -v1, v19, 1.0
	v_fmac_f32_e32 v19, v20, v19
	v_mul_f32_e32 v20, v17, v19
	v_fma_f32 v26, -v1, v20, v17
	v_fmac_f32_e32 v20, v26, v19
	v_fma_f32 v1, -v1, v20, v17
	v_div_fmas_f32 v1, v1, v19, v20
	v_div_fixup_f32 v16, v1, v16, 1.0
	s_waitcnt vmcnt(3)
	v_mul_f32_e32 v25, v16, v25
	s_waitcnt vmcnt(2)
	v_mul_f32_e32 v20, v16, v24
	;; [unrolled: 2-line block ×4, first 2 shown]
	global_store_dword v[3:4], v25, off
	global_store_dword v[5:6], v20, off
	;; [unrolled: 1-line block ×4, first 2 shown]
	s_and_saveexec_b64 s[4:5], s[0:1]
	s_cbranch_execz .LBB32_3
; %bb.19:                               ;   in Loop: Header=BB32_5 Depth=1
	v_add_u32_e32 v9, v11, v12
	v_add_u32_e32 v1, s28, v9
	v_lshlrev_b64 v[3:4], 2, v[1:2]
	v_add_u32_e32 v1, s29, v9
	v_mov_b32_e32 v21, s9
	v_add_co_u32_e32 v3, vcc, s8, v3
	v_lshlrev_b64 v[5:6], 2, v[1:2]
	v_addc_co_u32_e32 v4, vcc, v21, v4, vcc
	v_add_co_u32_e32 v5, vcc, s8, v5
	global_load_dword v23, v[3:4], off
	v_addc_co_u32_e32 v6, vcc, v21, v6, vcc
	global_load_dword v24, v[5:6], off
	v_add_u32_e32 v1, s30, v9
	v_lshlrev_b64 v[7:8], 2, v[1:2]
	v_add_u32_e32 v1, s31, v9
	v_lshlrev_b64 v[9:10], 2, v[1:2]
	v_add_co_u32_e32 v7, vcc, s8, v7
	v_addc_co_u32_e32 v8, vcc, v21, v8, vcc
	v_add_co_u32_e32 v9, vcc, s8, v9
	v_addc_co_u32_e32 v10, vcc, v21, v10, vcc
	s_waitcnt vmcnt(1)
	v_fma_f32 v1, -v15, v25, v23
	global_store_dword v[3:4], v1, off
	global_load_dword v3, v[7:8], off
	s_waitcnt vmcnt(2)
	v_fma_f32 v1, -v15, v20, v24
	global_store_dword v[5:6], v1, off
	global_load_dword v1, v[9:10], off
	s_waitcnt vmcnt(2)
	v_fma_f32 v3, -v15, v19, v3
	global_store_dword v[7:8], v3, off
	s_waitcnt vmcnt(1)
	v_fma_f32 v1, -v15, v17, v1
	global_store_dword v[9:10], v1, off
	s_branch .LBB32_3
.LBB32_20:
	s_or_b64 exec, exec, s[18:19]
	s_branch .LBB32_22
.LBB32_21:
	v_mov_b32_e32 v12, 0
.LBB32_22:
	v_subrev_u32_e32 v3, s22, v12
	v_add_u32_e32 v1, v3, v0
	v_ashrrev_i32_e32 v2, 31, v1
	v_lshlrev_b64 v[1:2], 2, v[1:2]
	s_waitcnt lgkmcnt(0)
	v_mov_b32_e32 v4, s17
	v_add_co_u32_e32 v1, vcc, s16, v1
	v_addc_co_u32_e32 v2, vcc, v4, v2, vcc
	s_waitcnt vmcnt(0)
	buffer_wbinvl1_vol
	global_load_dword v1, v[1:2], off
	s_waitcnt vmcnt(0)
	v_mul_lo_u32 v1, v1, s22
	v_sub_u32_e32 v5, v3, v1
	v_cmp_lt_i32_e32 vcc, -1, v5
	s_and_b64 exec, exec, vcc
	s_cbranch_execz .LBB32_29
; %bb.23:
	s_lshl_b32 s4, s24, 2
	s_add_i32 s5, s4, s23
	s_add_i32 s6, s5, s23
	;; [unrolled: 1-line block ×3, first 2 shown]
	s_lshl_b32 s12, s22, 1
	s_mov_b64 s[0:1], 0
	v_mov_b32_e32 v6, s17
	v_mov_b32_e32 v7, s11
	;; [unrolled: 1-line block ×3, first 2 shown]
	s_branch .LBB32_25
.LBB32_24:                              ;   in Loop: Header=BB32_25 Depth=1
	s_or_b64 exec, exec, s[2:3]
	v_sub_u32_e32 v5, v5, v1
	v_cmp_gt_i32_e32 vcc, 0, v5
	s_or_b64 s[0:1], vcc, s[0:1]
	s_andn2_b64 exec, exec, s[0:1]
	s_cbranch_execz .LBB32_29
.LBB32_25:                              ; =>This Inner Loop Header: Depth=1
	v_add_u32_e32 v3, v5, v0
	s_waitcnt vmcnt(0)
	v_ashrrev_i32_e32 v4, 31, v3
	v_lshlrev_b64 v[8:9], 2, v[3:4]
	v_add_co_u32_e32 v12, vcc, s16, v8
	v_addc_co_u32_e32 v13, vcc, v6, v9, vcc
	v_add_co_u32_e32 v8, vcc, s10, v8
	global_load_dword v1, v[12:13], off
	v_addc_co_u32_e32 v9, vcc, v7, v9, vcc
	global_load_dword v4, v[8:9], off
	s_waitcnt vmcnt(1)
	v_cmp_ne_u32_e32 vcc, 1, v1
	s_and_saveexec_b64 s[2:3], vcc
	s_xor_b64 s[2:3], exec, s[2:3]
	s_cbranch_execz .LBB32_27
; %bb.26:                               ;   in Loop: Header=BB32_25 Depth=1
	v_add_u32_e32 v10, v11, v5
	v_add_u32_e32 v1, s4, v10
	v_lshlrev_b64 v[8:9], 2, v[1:2]
	v_mov_b32_e32 v1, s9
	v_add_co_u32_e32 v8, vcc, s8, v8
	v_addc_co_u32_e32 v9, vcc, v1, v9, vcc
	v_add_u32_e32 v1, s5, v10
	v_lshlrev_b64 v[12:13], 2, v[1:2]
	v_add_u32_e32 v1, s6, v10
	v_lshlrev_b64 v[14:15], 2, v[1:2]
	;; [unrolled: 2-line block ×4, first 2 shown]
	v_mov_b32_e32 v1, s9
	v_add_co_u32_e32 v18, vcc, s8, v18
	v_addc_co_u32_e32 v19, vcc, v1, v19, vcc
	global_load_dword v10, v[8:9], off
	global_load_dword v20, v[18:19], off
	v_add_co_u32_e32 v8, vcc, s8, v12
	v_addc_co_u32_e32 v9, vcc, v1, v13, vcc
	v_mov_b32_e32 v21, s9
	v_add_co_u32_e32 v12, vcc, s8, v14
	v_addc_co_u32_e32 v13, vcc, v21, v15, vcc
	v_mov_b32_e32 v22, s9
	v_add_co_u32_e32 v14, vcc, s8, v16
	v_add_u32_e32 v1, s5, v3
	v_addc_co_u32_e32 v15, vcc, v22, v17, vcc
	global_load_dword v16, v[8:9], off
	global_load_dword v17, v[12:13], off
	;; [unrolled: 1-line block ×3, first 2 shown]
	v_lshlrev_b64 v[8:9], 2, v[1:2]
	v_mov_b32_e32 v12, s9
	v_add_co_u32_e32 v8, vcc, s8, v8
	v_addc_co_u32_e32 v9, vcc, v12, v9, vcc
	v_mov_b32_e32 v15, s9
	s_waitcnt vmcnt(3)
	v_fma_f32 v1, -v4, v10, v20
	global_store_dword v[18:19], v1, off
	global_load_dword v14, v[8:9], off
	v_add_u32_e32 v1, s6, v3
	v_lshlrev_b64 v[12:13], 2, v[1:2]
	v_add_co_u32_e32 v12, vcc, s8, v12
	v_addc_co_u32_e32 v13, vcc, v15, v13, vcc
	s_waitcnt vmcnt(0)
	v_fma_f32 v1, -v4, v16, v14
	global_store_dword v[8:9], v1, off
	global_load_dword v14, v[12:13], off
	v_add_u32_e32 v1, s7, v3
	v_lshlrev_b64 v[8:9], 2, v[1:2]
	v_add_co_u32_e32 v8, vcc, s8, v8
	v_addc_co_u32_e32 v9, vcc, v15, v9, vcc
	s_waitcnt vmcnt(0)
	v_fma_f32 v1, -v4, v17, v14
	global_store_dword v[12:13], v1, off
	global_load_dword v3, v[8:9], off
	v_subrev_u32_e32 v1, s22, v5
	v_add_u32_e32 v12, v1, v0
	v_ashrrev_i32_e32 v13, 31, v12
	v_lshlrev_b64 v[13:14], 2, v[12:13]
	v_add_u32_e32 v1, s4, v12
	v_add_co_u32_e32 v13, vcc, s10, v13
	v_addc_co_u32_e32 v14, vcc, v7, v14, vcc
	global_load_dword v18, v[13:14], off
	v_lshlrev_b64 v[13:14], 2, v[1:2]
	v_add_co_u32_e32 v13, vcc, s8, v13
	v_addc_co_u32_e32 v14, vcc, v15, v14, vcc
	s_waitcnt vmcnt(1)
	v_fma_f32 v1, -v4, v21, v3
	global_store_dword v[8:9], v1, off
	global_load_dword v8, v[13:14], off
	v_add_u32_e32 v1, s5, v12
	v_lshlrev_b64 v[3:4], 2, v[1:2]
	v_mov_b32_e32 v9, s9
	v_add_co_u32_e32 v3, vcc, s8, v3
	v_addc_co_u32_e32 v4, vcc, v9, v4, vcc
	s_waitcnt vmcnt(0)
	v_fma_f32 v1, -v18, v10, v8
	global_store_dword v[13:14], v1, off
	global_load_dword v10, v[3:4], off
	v_add_u32_e32 v1, s6, v12
	v_lshlrev_b64 v[8:9], 2, v[1:2]
	v_mov_b32_e32 v13, s9
	v_add_co_u32_e32 v8, vcc, s8, v8
	v_addc_co_u32_e32 v9, vcc, v13, v9, vcc
	s_waitcnt vmcnt(0)
	v_fma_f32 v1, -v18, v16, v10
	global_store_dword v[3:4], v1, off
	global_load_dword v10, v[8:9], off
	v_add_u32_e32 v1, s7, v12
	v_lshlrev_b64 v[3:4], 2, v[1:2]
	v_add_co_u32_e32 v3, vcc, s8, v3
	v_addc_co_u32_e32 v4, vcc, v13, v4, vcc
	s_waitcnt vmcnt(0)
	v_fma_f32 v1, -v18, v17, v10
	global_store_dword v[8:9], v1, off
	global_load_dword v1, v[3:4], off
	s_waitcnt vmcnt(0)
	v_fma_f32 v1, -v18, v21, v1
	global_store_dword v[3:4], v1, off
                                        ; implicit-def: $vgpr3
                                        ; implicit-def: $vgpr4
.LBB32_27:                              ;   in Loop: Header=BB32_25 Depth=1
	s_or_saveexec_b64 s[2:3], s[2:3]
	v_mov_b32_e32 v1, s12
	s_xor_b64 exec, exec, s[2:3]
	s_cbranch_execz .LBB32_24
; %bb.28:                               ;   in Loop: Header=BB32_25 Depth=1
	v_add_u32_e32 v10, v11, v5
	v_add_u32_e32 v1, s4, v10
	v_lshlrev_b64 v[8:9], 2, v[1:2]
	v_mov_b32_e32 v1, s9
	v_add_co_u32_e32 v8, vcc, s8, v8
	v_addc_co_u32_e32 v9, vcc, v1, v9, vcc
	v_add_u32_e32 v1, s4, v3
	v_lshlrev_b64 v[12:13], 2, v[1:2]
	v_mov_b32_e32 v1, s9
	v_add_co_u32_e32 v12, vcc, s8, v12
	v_addc_co_u32_e32 v13, vcc, v1, v13, vcc
	global_load_dword v16, v[8:9], off
	global_load_dword v17, v[12:13], off
	v_add_u32_e32 v1, s5, v10
	v_lshlrev_b64 v[8:9], 2, v[1:2]
	v_add_u32_e32 v1, s5, v3
	v_mov_b32_e32 v18, s9
	v_lshlrev_b64 v[14:15], 2, v[1:2]
	v_add_co_u32_e32 v8, vcc, s8, v8
	v_addc_co_u32_e32 v9, vcc, v18, v9, vcc
	v_mov_b32_e32 v19, s9
	v_add_co_u32_e32 v14, vcc, s8, v14
	v_addc_co_u32_e32 v15, vcc, v19, v15, vcc
	s_waitcnt vmcnt(0)
	v_fma_f32 v1, -v4, v16, v17
	global_store_dword v[12:13], v1, off
	global_load_dword v16, v[8:9], off
	global_load_dword v17, v[14:15], off
	v_add_u32_e32 v1, s6, v10
	v_lshlrev_b64 v[8:9], 2, v[1:2]
	v_add_u32_e32 v1, s6, v3
	v_lshlrev_b64 v[12:13], 2, v[1:2]
	v_add_co_u32_e32 v8, vcc, s8, v8
	v_addc_co_u32_e32 v9, vcc, v18, v9, vcc
	v_add_co_u32_e32 v12, vcc, s8, v12
	v_addc_co_u32_e32 v13, vcc, v19, v13, vcc
	s_waitcnt vmcnt(0)
	v_fma_f32 v1, -v4, v16, v17
	global_store_dword v[14:15], v1, off
	global_load_dword v16, v[8:9], off
	global_load_dword v17, v[12:13], off
	v_add_u32_e32 v1, s7, v10
	v_lshlrev_b64 v[8:9], 2, v[1:2]
	v_add_u32_e32 v1, s7, v3
	v_lshlrev_b64 v[14:15], 2, v[1:2]
	v_add_co_u32_e32 v8, vcc, s8, v8
	v_addc_co_u32_e32 v9, vcc, v18, v9, vcc
	v_add_co_u32_e32 v14, vcc, s8, v14
	v_addc_co_u32_e32 v15, vcc, v19, v15, vcc
	s_waitcnt vmcnt(0)
	v_fma_f32 v1, -v4, v16, v17
	global_store_dword v[12:13], v1, off
	global_load_dword v1, v[8:9], off
	s_nop 0
	global_load_dword v3, v[14:15], off
	s_waitcnt vmcnt(0)
	v_fma_f32 v1, -v4, v1, v3
	global_store_dword v[14:15], v1, off
	v_mov_b32_e32 v1, s22
	s_branch .LBB32_24
.LBB32_29:
	s_endpgm
	.section	.rodata,"a",@progbits
	.p2align	6, 0x0
	.amdhsa_kernel _ZN9rocsparseL19gtsv_LBM_rhs_kernelILj256ELj8ELj4EfEEviiiPKT2_S3_S3_PS1_S3_PKi
		.amdhsa_group_segment_fixed_size 0
		.amdhsa_private_segment_fixed_size 0
		.amdhsa_kernarg_size 64
		.amdhsa_user_sgpr_count 6
		.amdhsa_user_sgpr_private_segment_buffer 1
		.amdhsa_user_sgpr_dispatch_ptr 0
		.amdhsa_user_sgpr_queue_ptr 0
		.amdhsa_user_sgpr_kernarg_segment_ptr 1
		.amdhsa_user_sgpr_dispatch_id 0
		.amdhsa_user_sgpr_flat_scratch_init 0
		.amdhsa_user_sgpr_private_segment_size 0
		.amdhsa_uses_dynamic_stack 0
		.amdhsa_system_sgpr_private_segment_wavefront_offset 0
		.amdhsa_system_sgpr_workgroup_id_x 1
		.amdhsa_system_sgpr_workgroup_id_y 1
		.amdhsa_system_sgpr_workgroup_id_z 0
		.amdhsa_system_sgpr_workgroup_info 0
		.amdhsa_system_vgpr_workitem_id 0
		.amdhsa_next_free_vgpr 38
		.amdhsa_next_free_sgpr 32
		.amdhsa_reserve_vcc 1
		.amdhsa_reserve_flat_scratch 0
		.amdhsa_float_round_mode_32 0
		.amdhsa_float_round_mode_16_64 0
		.amdhsa_float_denorm_mode_32 3
		.amdhsa_float_denorm_mode_16_64 3
		.amdhsa_dx10_clamp 1
		.amdhsa_ieee_mode 1
		.amdhsa_fp16_overflow 0
		.amdhsa_exception_fp_ieee_invalid_op 0
		.amdhsa_exception_fp_denorm_src 0
		.amdhsa_exception_fp_ieee_div_zero 0
		.amdhsa_exception_fp_ieee_overflow 0
		.amdhsa_exception_fp_ieee_underflow 0
		.amdhsa_exception_fp_ieee_inexact 0
		.amdhsa_exception_int_div_zero 0
	.end_amdhsa_kernel
	.section	.text._ZN9rocsparseL19gtsv_LBM_rhs_kernelILj256ELj8ELj4EfEEviiiPKT2_S3_S3_PS1_S3_PKi,"axG",@progbits,_ZN9rocsparseL19gtsv_LBM_rhs_kernelILj256ELj8ELj4EfEEviiiPKT2_S3_S3_PS1_S3_PKi,comdat
.Lfunc_end32:
	.size	_ZN9rocsparseL19gtsv_LBM_rhs_kernelILj256ELj8ELj4EfEEviiiPKT2_S3_S3_PS1_S3_PKi, .Lfunc_end32-_ZN9rocsparseL19gtsv_LBM_rhs_kernelILj256ELj8ELj4EfEEviiiPKT2_S3_S3_PS1_S3_PKi
                                        ; -- End function
	.set _ZN9rocsparseL19gtsv_LBM_rhs_kernelILj256ELj8ELj4EfEEviiiPKT2_S3_S3_PS1_S3_PKi.num_vgpr, 38
	.set _ZN9rocsparseL19gtsv_LBM_rhs_kernelILj256ELj8ELj4EfEEviiiPKT2_S3_S3_PS1_S3_PKi.num_agpr, 0
	.set _ZN9rocsparseL19gtsv_LBM_rhs_kernelILj256ELj8ELj4EfEEviiiPKT2_S3_S3_PS1_S3_PKi.numbered_sgpr, 32
	.set _ZN9rocsparseL19gtsv_LBM_rhs_kernelILj256ELj8ELj4EfEEviiiPKT2_S3_S3_PS1_S3_PKi.num_named_barrier, 0
	.set _ZN9rocsparseL19gtsv_LBM_rhs_kernelILj256ELj8ELj4EfEEviiiPKT2_S3_S3_PS1_S3_PKi.private_seg_size, 0
	.set _ZN9rocsparseL19gtsv_LBM_rhs_kernelILj256ELj8ELj4EfEEviiiPKT2_S3_S3_PS1_S3_PKi.uses_vcc, 1
	.set _ZN9rocsparseL19gtsv_LBM_rhs_kernelILj256ELj8ELj4EfEEviiiPKT2_S3_S3_PS1_S3_PKi.uses_flat_scratch, 0
	.set _ZN9rocsparseL19gtsv_LBM_rhs_kernelILj256ELj8ELj4EfEEviiiPKT2_S3_S3_PS1_S3_PKi.has_dyn_sized_stack, 0
	.set _ZN9rocsparseL19gtsv_LBM_rhs_kernelILj256ELj8ELj4EfEEviiiPKT2_S3_S3_PS1_S3_PKi.has_recursion, 0
	.set _ZN9rocsparseL19gtsv_LBM_rhs_kernelILj256ELj8ELj4EfEEviiiPKT2_S3_S3_PS1_S3_PKi.has_indirect_call, 0
	.section	.AMDGPU.csdata,"",@progbits
; Kernel info:
; codeLenInByte = 2888
; TotalNumSgprs: 36
; NumVgprs: 38
; ScratchSize: 0
; MemoryBound: 0
; FloatMode: 240
; IeeeMode: 1
; LDSByteSize: 0 bytes/workgroup (compile time only)
; SGPRBlocks: 4
; VGPRBlocks: 9
; NumSGPRsForWavesPerEU: 36
; NumVGPRsForWavesPerEU: 38
; Occupancy: 6
; WaveLimiterHint : 0
; COMPUTE_PGM_RSRC2:SCRATCH_EN: 0
; COMPUTE_PGM_RSRC2:USER_SGPR: 6
; COMPUTE_PGM_RSRC2:TRAP_HANDLER: 0
; COMPUTE_PGM_RSRC2:TGID_X_EN: 1
; COMPUTE_PGM_RSRC2:TGID_Y_EN: 1
; COMPUTE_PGM_RSRC2:TGID_Z_EN: 0
; COMPUTE_PGM_RSRC2:TIDIG_COMP_CNT: 0
	.section	.text._ZN9rocsparseL19gtsv_LBM_rhs_kernelILj256ELj8ELj2EfEEviiiPKT2_S3_S3_PS1_S3_PKi,"axG",@progbits,_ZN9rocsparseL19gtsv_LBM_rhs_kernelILj256ELj8ELj2EfEEviiiPKT2_S3_S3_PS1_S3_PKi,comdat
	.globl	_ZN9rocsparseL19gtsv_LBM_rhs_kernelILj256ELj8ELj2EfEEviiiPKT2_S3_S3_PS1_S3_PKi ; -- Begin function _ZN9rocsparseL19gtsv_LBM_rhs_kernelILj256ELj8ELj2EfEEviiiPKT2_S3_S3_PS1_S3_PKi
	.p2align	8
	.type	_ZN9rocsparseL19gtsv_LBM_rhs_kernelILj256ELj8ELj2EfEEviiiPKT2_S3_S3_PS1_S3_PKi,@function
_ZN9rocsparseL19gtsv_LBM_rhs_kernelILj256ELj8ELj2EfEEviiiPKT2_S3_S3_PS1_S3_PKi: ; @_ZN9rocsparseL19gtsv_LBM_rhs_kernelILj256ELj8ELj2EfEEviiiPKT2_S3_S3_PS1_S3_PKi
; %bb.0:
	s_load_dword s23, s[4:5], 0x0
	v_lshl_or_b32 v0, s6, 8, v0
	s_waitcnt lgkmcnt(0)
	s_lshr_b32 s22, s23, 3
	v_cmp_gt_i32_e32 vcc, s22, v0
	s_and_saveexec_b64 s[0:1], vcc
	s_cbranch_execz .LBB33_29
; %bb.1:
	s_load_dwordx4 s[8:11], s[4:5], 0x28
	s_load_dwordx2 s[16:17], s[4:5], 0x38
	s_cmp_lt_i32 s23, 1
	v_add_u32_e32 v7, s22, v0
	s_mul_i32 s24, s7, s23
	s_cbranch_scc1 .LBB33_21
; %bb.2:
	s_load_dwordx4 s[12:15], s[4:5], 0x10
	s_load_dwordx2 s[6:7], s[4:5], 0x20
	v_ashrrev_i32_e32 v1, 31, v0
	v_lshlrev_b64 v[1:2], 2, v[0:1]
	s_lshl_b32 s28, s24, 1
	s_waitcnt lgkmcnt(0)
	v_mov_b32_e32 v3, s15
	v_add_co_u32_e32 v1, vcc, s14, v1
	v_addc_co_u32_e32 v2, vcc, v3, v2, vcc
	global_load_dword v11, v[1:2], off
	s_mul_i32 s25, s22, 7
	s_mul_i32 s26, s22, 6
	s_lshl_b32 s27, s22, 1
	v_add_u32_e32 v9, s22, v7
	s_add_i32 s29, s28, s23
	v_mov_b32_e32 v2, 0
	s_mov_b64 s[18:19], 0
	v_mov_b32_e32 v10, s7
	v_mov_b32_e32 v8, 0
	s_branch .LBB33_5
.LBB33_3:                               ;   in Loop: Header=BB33_5 Depth=1
	s_or_b64 exec, exec, s[4:5]
	v_fma_f32 v11, -v11, v18, v14
	v_mov_b32_e32 v1, s22
.LBB33_4:                               ;   in Loop: Header=BB33_5 Depth=1
	s_or_b64 exec, exec, s[2:3]
	v_add_u32_e32 v8, v1, v8
	v_cmp_le_i32_e32 vcc, s23, v8
	s_or_b64 s[18:19], vcc, s[18:19]
	s_andn2_b64 exec, exec, s[18:19]
	s_cbranch_execz .LBB33_20
.LBB33_5:                               ; =>This Inner Loop Header: Depth=1
	v_add_u32_e32 v3, v8, v0
	v_ashrrev_i32_e32 v4, 31, v3
	v_lshlrev_b64 v[4:5], 2, v[3:4]
	v_cmp_gt_u32_e64 s[0:1], s25, v8
	v_add_co_u32_e32 v12, vcc, s6, v4
	v_addc_co_u32_e32 v13, vcc, v10, v5, vcc
	global_load_dword v16, v[12:13], off
	v_mov_b32_e32 v12, 0
	s_and_saveexec_b64 s[2:3], s[0:1]
	s_cbranch_execz .LBB33_7
; %bb.6:                                ;   in Loop: Header=BB33_5 Depth=1
	v_add_u32_e32 v12, v7, v8
	v_ashrrev_i32_e32 v13, 31, v12
	v_lshlrev_b64 v[12:13], 2, v[12:13]
	v_mov_b32_e32 v1, s13
	v_add_co_u32_e32 v12, vcc, s12, v12
	v_addc_co_u32_e32 v13, vcc, v1, v13, vcc
	global_load_dword v12, v[12:13], off
.LBB33_7:                               ;   in Loop: Header=BB33_5 Depth=1
	s_or_b64 exec, exec, s[2:3]
	v_mov_b32_e32 v13, 0
	v_mov_b32_e32 v14, 0
	s_and_saveexec_b64 s[2:3], s[0:1]
	s_cbranch_execz .LBB33_9
; %bb.8:                                ;   in Loop: Header=BB33_5 Depth=1
	v_add_u32_e32 v14, v7, v8
	v_ashrrev_i32_e32 v15, 31, v14
	v_lshlrev_b64 v[14:15], 2, v[14:15]
	v_mov_b32_e32 v1, s15
	v_add_co_u32_e32 v14, vcc, s14, v14
	v_addc_co_u32_e32 v15, vcc, v1, v15, vcc
	global_load_dword v14, v[14:15], off
.LBB33_9:                               ;   in Loop: Header=BB33_5 Depth=1
	s_or_b64 exec, exec, s[2:3]
	s_and_saveexec_b64 s[2:3], s[0:1]
	s_cbranch_execz .LBB33_11
; %bb.10:                               ;   in Loop: Header=BB33_5 Depth=1
	s_waitcnt vmcnt(1)
	v_add_u32_e32 v17, v7, v8
	v_ashrrev_i32_e32 v18, 31, v17
	v_lshlrev_b64 v[17:18], 2, v[17:18]
	v_mov_b32_e32 v1, s7
	v_add_co_u32_e32 v17, vcc, s6, v17
	v_addc_co_u32_e32 v18, vcc, v1, v18, vcc
	global_load_dword v13, v[17:18], off
.LBB33_11:                              ;   in Loop: Header=BB33_5 Depth=1
	s_or_b64 exec, exec, s[2:3]
	v_cmp_gt_u32_e64 s[2:3], s26, v8
	v_mov_b32_e32 v15, 0
	s_and_saveexec_b64 s[4:5], s[2:3]
	s_cbranch_execz .LBB33_13
; %bb.12:                               ;   in Loop: Header=BB33_5 Depth=1
	s_waitcnt vmcnt(1)
	v_add_u32_e32 v17, v9, v8
	v_ashrrev_i32_e32 v18, 31, v17
	v_lshlrev_b64 v[17:18], 2, v[17:18]
	v_mov_b32_e32 v1, s13
	v_add_co_u32_e32 v17, vcc, s12, v17
	v_addc_co_u32_e32 v18, vcc, v1, v18, vcc
	global_load_dword v15, v[17:18], off
.LBB33_13:                              ;   in Loop: Header=BB33_5 Depth=1
	s_or_b64 exec, exec, s[4:5]
	v_mov_b32_e32 v1, s17
	v_add_co_u32_e32 v4, vcc, s16, v4
	v_addc_co_u32_e32 v5, vcc, v1, v5, vcc
	v_add_u32_e32 v1, s28, v3
	global_load_dword v18, v[4:5], off
	v_lshlrev_b64 v[5:6], 2, v[1:2]
	v_add_u32_e32 v1, s29, v3
	s_waitcnt vmcnt(2)
	v_mov_b32_e32 v17, s9
	v_add_co_u32_e32 v5, vcc, s8, v5
	v_lshlrev_b64 v[3:4], 2, v[1:2]
	v_addc_co_u32_e32 v6, vcc, v17, v6, vcc
	v_add_co_u32_e32 v3, vcc, s8, v3
	v_addc_co_u32_e32 v4, vcc, v17, v4, vcc
	global_load_dword v19, v[5:6], off
	global_load_dword v17, v[3:4], off
	v_cmp_ne_u32_e64 s[4:5], s25, v8
	s_waitcnt vmcnt(2)
	v_cmp_ne_u32_e32 vcc, 1, v18
	s_and_b64 s[4:5], s[4:5], vcc
	v_mul_f32_e32 v18, v16, v12
	s_and_saveexec_b64 s[20:21], s[4:5]
	s_xor_b64 s[4:5], exec, s[20:21]
	s_cbranch_execz .LBB33_17
; %bb.14:                               ;   in Loop: Header=BB33_5 Depth=1
	v_add_u32_e32 v24, v7, v8
	v_add_u32_e32 v1, s28, v24
	v_lshlrev_b64 v[20:21], 2, v[1:2]
	v_mov_b32_e32 v25, s9
	v_add_co_u32_e32 v22, vcc, s8, v20
	v_add_u32_e32 v1, s29, v24
	v_addc_co_u32_e32 v23, vcc, v25, v21, vcc
	v_lshlrev_b64 v[20:21], 2, v[1:2]
	v_fma_f32 v1, v11, v14, -v18
	v_div_scale_f32 v18, s[20:21], v1, v1, 1.0
	v_add_co_u32_e32 v24, vcc, s8, v20
	v_addc_co_u32_e32 v25, vcc, v25, v21, vcc
	v_rcp_f32_e32 v20, v18
	v_fma_f32 v21, -v18, v20, 1.0
	v_fmac_f32_e32 v20, v21, v20
	v_div_scale_f32 v21, vcc, 1.0, v1, 1.0
	v_mul_f32_e32 v26, v21, v20
	v_fma_f32 v27, -v18, v26, v21
	v_fmac_f32_e32 v26, v27, v20
	v_fma_f32 v18, -v18, v26, v21
	v_div_fmas_f32 v18, v18, v20, v26
	global_load_dword v21, v[24:25], off
	v_div_fixup_f32 v18, v18, v1, 1.0
	global_load_dword v1, v[22:23], off
	s_waitcnt vmcnt(3)
	v_mul_f32_e32 v19, v18, v19
	s_waitcnt vmcnt(0)
	v_mul_f32_e32 v20, v18, v1
	v_mul_f32_e32 v1, v16, v20
	v_fma_f32 v1, v14, v19, -v1
	global_store_dword v[5:6], v1, off
	v_mul_f32_e32 v6, v18, v21
	v_mul_f32_e32 v5, v18, v17
	;; [unrolled: 1-line block ×3, first 2 shown]
	v_fma_f32 v1, v14, v5, -v1
	global_store_dword v[3:4], v1, off
	v_mul_f32_e32 v1, v12, v19
	v_fma_f32 v1, v11, v20, -v1
	global_store_dword v[22:23], v1, off
	v_mul_f32_e32 v1, v12, v5
	v_fma_f32 v1, v11, v6, -v1
	global_store_dword v[24:25], v1, off
	v_mov_b32_e32 v1, 0
	s_and_saveexec_b64 s[20:21], s[2:3]
	s_cbranch_execz .LBB33_16
; %bb.15:                               ;   in Loop: Header=BB33_5 Depth=1
	v_add_u32_e32 v3, v9, v8
	v_add_u32_e32 v1, s28, v3
	v_lshlrev_b64 v[16:17], 2, v[1:2]
	v_add_u32_e32 v1, s29, v3
	v_mov_b32_e32 v4, s9
	v_add_co_u32_e32 v16, vcc, s8, v16
	v_lshlrev_b64 v[21:22], 2, v[1:2]
	v_addc_co_u32_e32 v17, vcc, v4, v17, vcc
	v_add_co_u32_e32 v21, vcc, s8, v21
	v_addc_co_u32_e32 v22, vcc, v4, v22, vcc
	v_ashrrev_i32_e32 v4, 31, v3
	v_lshlrev_b64 v[3:4], 2, v[3:4]
	v_mov_b32_e32 v23, s15
	v_add_co_u32_e32 v3, vcc, s14, v3
	global_load_dword v1, v[16:17], off
	global_load_dword v14, v[21:22], off
	v_addc_co_u32_e32 v4, vcc, v23, v4, vcc
	global_load_dword v3, v[3:4], off
	v_mul_f32_e32 v11, v11, v15
	v_mul_f32_e32 v4, v12, v15
	;; [unrolled: 1-line block ×4, first 2 shown]
	v_fma_f32 v12, v4, v19, -v12
	v_fma_f32 v4, v4, v5, -v6
	v_mul_f32_e32 v11, v13, v11
	s_waitcnt vmcnt(2)
	v_add_f32_e32 v1, v12, v1
	global_store_dword v[16:17], v1, off
	s_waitcnt vmcnt(2)
	v_add_f32_e32 v1, v4, v14
	global_store_dword v[21:22], v1, off
	s_waitcnt vmcnt(2)
	v_fma_f32 v1, -v18, v11, v3
.LBB33_16:                              ;   in Loop: Header=BB33_5 Depth=1
	s_or_b64 exec, exec, s[20:21]
	v_mov_b32_e32 v11, v1
                                        ; implicit-def: $vgpr18
                                        ; implicit-def: $vgpr14
                                        ; implicit-def: $vgpr19
                                        ; implicit-def: $vgpr17
                                        ; implicit-def: $vgpr5_vgpr6
                                        ; implicit-def: $vgpr3_vgpr4
                                        ; implicit-def: $vgpr12
.LBB33_17:                              ;   in Loop: Header=BB33_5 Depth=1
	s_or_saveexec_b64 s[2:3], s[4:5]
	v_mov_b32_e32 v1, s27
	s_xor_b64 exec, exec, s[2:3]
	s_cbranch_execz .LBB33_4
; %bb.18:                               ;   in Loop: Header=BB33_5 Depth=1
	v_div_scale_f32 v1, s[4:5], v11, v11, 1.0
	v_div_scale_f32 v13, vcc, 1.0, v11, 1.0
	v_rcp_f32_e32 v15, v1
	v_fma_f32 v16, -v1, v15, 1.0
	v_fmac_f32_e32 v15, v16, v15
	v_mul_f32_e32 v16, v13, v15
	v_fma_f32 v20, -v1, v16, v13
	v_fmac_f32_e32 v16, v20, v15
	v_fma_f32 v1, -v1, v16, v13
	v_div_fmas_f32 v1, v1, v15, v16
	v_div_fixup_f32 v11, v1, v11, 1.0
	s_waitcnt vmcnt(1)
	v_mul_f32_e32 v15, v11, v19
	s_waitcnt vmcnt(0)
	v_mul_f32_e32 v13, v11, v17
	global_store_dword v[5:6], v15, off
	global_store_dword v[3:4], v13, off
	s_and_saveexec_b64 s[4:5], s[0:1]
	s_cbranch_execz .LBB33_3
; %bb.19:                               ;   in Loop: Header=BB33_5 Depth=1
	v_add_u32_e32 v5, v7, v8
	v_add_u32_e32 v1, s28, v5
	v_lshlrev_b64 v[3:4], 2, v[1:2]
	v_add_u32_e32 v1, s29, v5
	v_mov_b32_e32 v16, s9
	v_add_co_u32_e32 v3, vcc, s8, v3
	v_lshlrev_b64 v[5:6], 2, v[1:2]
	v_addc_co_u32_e32 v4, vcc, v16, v4, vcc
	v_add_co_u32_e32 v5, vcc, s8, v5
	v_addc_co_u32_e32 v6, vcc, v16, v6, vcc
	global_load_dword v17, v[3:4], off
	global_load_dword v1, v[5:6], off
	s_waitcnt vmcnt(1)
	v_fma_f32 v15, -v12, v15, v17
	s_waitcnt vmcnt(0)
	v_fma_f32 v1, -v12, v13, v1
	global_store_dword v[3:4], v15, off
	global_store_dword v[5:6], v1, off
	s_branch .LBB33_3
.LBB33_20:
	s_or_b64 exec, exec, s[18:19]
	s_branch .LBB33_22
.LBB33_21:
	v_mov_b32_e32 v8, 0
.LBB33_22:
	v_subrev_u32_e32 v3, s22, v8
	v_add_u32_e32 v1, v3, v0
	v_ashrrev_i32_e32 v2, 31, v1
	v_lshlrev_b64 v[1:2], 2, v[1:2]
	s_waitcnt lgkmcnt(0)
	v_mov_b32_e32 v4, s17
	v_add_co_u32_e32 v1, vcc, s16, v1
	v_addc_co_u32_e32 v2, vcc, v4, v2, vcc
	s_waitcnt vmcnt(0)
	buffer_wbinvl1_vol
	global_load_dword v1, v[1:2], off
	s_waitcnt vmcnt(0)
	v_mul_lo_u32 v1, v1, s22
	v_sub_u32_e32 v5, v3, v1
	v_cmp_lt_i32_e32 vcc, -1, v5
	s_and_b64 exec, exec, vcc
	s_cbranch_execz .LBB33_29
; %bb.23:
	s_lshl_b32 s4, s24, 1
	s_add_i32 s5, s4, s23
	s_lshl_b32 s6, s22, 1
	s_mov_b64 s[0:1], 0
	v_mov_b32_e32 v6, s17
	v_mov_b32_e32 v8, s11
	;; [unrolled: 1-line block ×3, first 2 shown]
	s_branch .LBB33_25
.LBB33_24:                              ;   in Loop: Header=BB33_25 Depth=1
	s_or_b64 exec, exec, s[2:3]
	v_sub_u32_e32 v5, v5, v1
	v_cmp_gt_i32_e32 vcc, 0, v5
	s_or_b64 s[0:1], vcc, s[0:1]
	s_andn2_b64 exec, exec, s[0:1]
	s_cbranch_execz .LBB33_29
.LBB33_25:                              ; =>This Inner Loop Header: Depth=1
	v_add_u32_e32 v3, v5, v0
	s_waitcnt vmcnt(0)
	v_ashrrev_i32_e32 v4, 31, v3
	v_lshlrev_b64 v[9:10], 2, v[3:4]
	v_add_co_u32_e32 v11, vcc, s16, v9
	v_addc_co_u32_e32 v12, vcc, v6, v10, vcc
	v_add_co_u32_e32 v9, vcc, s10, v9
	global_load_dword v1, v[11:12], off
	v_addc_co_u32_e32 v10, vcc, v8, v10, vcc
	global_load_dword v4, v[9:10], off
	s_waitcnt vmcnt(1)
	v_cmp_ne_u32_e32 vcc, 1, v1
	s_and_saveexec_b64 s[2:3], vcc
	s_xor_b64 s[2:3], exec, s[2:3]
	s_cbranch_execz .LBB33_27
; %bb.26:                               ;   in Loop: Header=BB33_25 Depth=1
	v_add_u32_e32 v11, v7, v5
	v_add_u32_e32 v1, s4, v11
	v_lshlrev_b64 v[9:10], 2, v[1:2]
	v_mov_b32_e32 v1, s9
	v_add_co_u32_e32 v9, vcc, s8, v9
	v_addc_co_u32_e32 v10, vcc, v1, v10, vcc
	v_add_u32_e32 v1, s5, v11
	v_lshlrev_b64 v[11:12], 2, v[1:2]
	v_add_u32_e32 v1, s4, v3
	v_lshlrev_b64 v[13:14], 2, v[1:2]
	v_mov_b32_e32 v1, s9
	v_add_co_u32_e32 v13, vcc, s8, v13
	v_addc_co_u32_e32 v14, vcc, v1, v14, vcc
	global_load_dword v15, v[9:10], off
	global_load_dword v16, v[13:14], off
	v_add_co_u32_e32 v9, vcc, s8, v11
	v_addc_co_u32_e32 v10, vcc, v1, v12, vcc
	v_add_u32_e32 v1, s5, v3
	global_load_dword v17, v[9:10], off
	v_lshlrev_b64 v[9:10], 2, v[1:2]
	v_mov_b32_e32 v11, s9
	v_add_co_u32_e32 v9, vcc, s8, v9
	v_addc_co_u32_e32 v10, vcc, v11, v10, vcc
	s_waitcnt vmcnt(1)
	v_fma_f32 v1, -v4, v15, v16
	global_store_dword v[13:14], v1, off
	global_load_dword v3, v[9:10], off
	v_subrev_u32_e32 v1, s22, v5
	v_add_u32_e32 v11, v1, v0
	v_ashrrev_i32_e32 v12, 31, v11
	v_lshlrev_b64 v[12:13], 2, v[11:12]
	v_add_u32_e32 v1, s4, v11
	v_add_co_u32_e32 v12, vcc, s10, v12
	v_addc_co_u32_e32 v13, vcc, v8, v13, vcc
	global_load_dword v16, v[12:13], off
	v_lshlrev_b64 v[12:13], 2, v[1:2]
	v_mov_b32_e32 v14, s9
	v_add_co_u32_e32 v12, vcc, s8, v12
	v_addc_co_u32_e32 v13, vcc, v14, v13, vcc
	s_waitcnt vmcnt(1)
	v_fma_f32 v1, -v4, v17, v3
	global_store_dword v[9:10], v1, off
	global_load_dword v9, v[12:13], off
	v_add_u32_e32 v1, s5, v11
	v_lshlrev_b64 v[3:4], 2, v[1:2]
	v_mov_b32_e32 v10, s9
	v_add_co_u32_e32 v3, vcc, s8, v3
	v_addc_co_u32_e32 v4, vcc, v10, v4, vcc
	s_waitcnt vmcnt(0)
	v_fma_f32 v1, -v16, v15, v9
	global_store_dword v[12:13], v1, off
	global_load_dword v1, v[3:4], off
	s_waitcnt vmcnt(0)
	v_fma_f32 v1, -v16, v17, v1
	global_store_dword v[3:4], v1, off
                                        ; implicit-def: $vgpr3
                                        ; implicit-def: $vgpr4
.LBB33_27:                              ;   in Loop: Header=BB33_25 Depth=1
	s_or_saveexec_b64 s[2:3], s[2:3]
	v_mov_b32_e32 v1, s6
	s_xor_b64 exec, exec, s[2:3]
	s_cbranch_execz .LBB33_24
; %bb.28:                               ;   in Loop: Header=BB33_25 Depth=1
	v_add_u32_e32 v13, v7, v5
	v_add_u32_e32 v1, s4, v13
	v_lshlrev_b64 v[9:10], 2, v[1:2]
	v_mov_b32_e32 v1, s9
	v_add_co_u32_e32 v9, vcc, s8, v9
	v_addc_co_u32_e32 v10, vcc, v1, v10, vcc
	v_add_u32_e32 v1, s4, v3
	v_lshlrev_b64 v[11:12], 2, v[1:2]
	v_mov_b32_e32 v1, s9
	v_add_co_u32_e32 v11, vcc, s8, v11
	v_addc_co_u32_e32 v12, vcc, v1, v12, vcc
	global_load_dword v15, v[9:10], off
	global_load_dword v16, v[11:12], off
	v_add_u32_e32 v1, s5, v13
	v_lshlrev_b64 v[9:10], 2, v[1:2]
	v_add_u32_e32 v1, s5, v3
	v_mov_b32_e32 v17, s9
	v_lshlrev_b64 v[13:14], 2, v[1:2]
	v_add_co_u32_e32 v9, vcc, s8, v9
	v_addc_co_u32_e32 v10, vcc, v17, v10, vcc
	v_mov_b32_e32 v18, s9
	v_add_co_u32_e32 v13, vcc, s8, v13
	v_addc_co_u32_e32 v14, vcc, v18, v14, vcc
	s_waitcnt vmcnt(0)
	v_fma_f32 v1, -v4, v15, v16
	global_store_dword v[11:12], v1, off
	global_load_dword v1, v[9:10], off
	s_nop 0
	global_load_dword v3, v[13:14], off
	s_waitcnt vmcnt(0)
	v_fma_f32 v1, -v4, v1, v3
	global_store_dword v[13:14], v1, off
	v_mov_b32_e32 v1, s22
	s_branch .LBB33_24
.LBB33_29:
	s_endpgm
	.section	.rodata,"a",@progbits
	.p2align	6, 0x0
	.amdhsa_kernel _ZN9rocsparseL19gtsv_LBM_rhs_kernelILj256ELj8ELj2EfEEviiiPKT2_S3_S3_PS1_S3_PKi
		.amdhsa_group_segment_fixed_size 0
		.amdhsa_private_segment_fixed_size 0
		.amdhsa_kernarg_size 64
		.amdhsa_user_sgpr_count 6
		.amdhsa_user_sgpr_private_segment_buffer 1
		.amdhsa_user_sgpr_dispatch_ptr 0
		.amdhsa_user_sgpr_queue_ptr 0
		.amdhsa_user_sgpr_kernarg_segment_ptr 1
		.amdhsa_user_sgpr_dispatch_id 0
		.amdhsa_user_sgpr_flat_scratch_init 0
		.amdhsa_user_sgpr_private_segment_size 0
		.amdhsa_uses_dynamic_stack 0
		.amdhsa_system_sgpr_private_segment_wavefront_offset 0
		.amdhsa_system_sgpr_workgroup_id_x 1
		.amdhsa_system_sgpr_workgroup_id_y 1
		.amdhsa_system_sgpr_workgroup_id_z 0
		.amdhsa_system_sgpr_workgroup_info 0
		.amdhsa_system_vgpr_workitem_id 0
		.amdhsa_next_free_vgpr 28
		.amdhsa_next_free_sgpr 30
		.amdhsa_reserve_vcc 1
		.amdhsa_reserve_flat_scratch 0
		.amdhsa_float_round_mode_32 0
		.amdhsa_float_round_mode_16_64 0
		.amdhsa_float_denorm_mode_32 3
		.amdhsa_float_denorm_mode_16_64 3
		.amdhsa_dx10_clamp 1
		.amdhsa_ieee_mode 1
		.amdhsa_fp16_overflow 0
		.amdhsa_exception_fp_ieee_invalid_op 0
		.amdhsa_exception_fp_denorm_src 0
		.amdhsa_exception_fp_ieee_div_zero 0
		.amdhsa_exception_fp_ieee_overflow 0
		.amdhsa_exception_fp_ieee_underflow 0
		.amdhsa_exception_fp_ieee_inexact 0
		.amdhsa_exception_int_div_zero 0
	.end_amdhsa_kernel
	.section	.text._ZN9rocsparseL19gtsv_LBM_rhs_kernelILj256ELj8ELj2EfEEviiiPKT2_S3_S3_PS1_S3_PKi,"axG",@progbits,_ZN9rocsparseL19gtsv_LBM_rhs_kernelILj256ELj8ELj2EfEEviiiPKT2_S3_S3_PS1_S3_PKi,comdat
.Lfunc_end33:
	.size	_ZN9rocsparseL19gtsv_LBM_rhs_kernelILj256ELj8ELj2EfEEviiiPKT2_S3_S3_PS1_S3_PKi, .Lfunc_end33-_ZN9rocsparseL19gtsv_LBM_rhs_kernelILj256ELj8ELj2EfEEviiiPKT2_S3_S3_PS1_S3_PKi
                                        ; -- End function
	.set _ZN9rocsparseL19gtsv_LBM_rhs_kernelILj256ELj8ELj2EfEEviiiPKT2_S3_S3_PS1_S3_PKi.num_vgpr, 28
	.set _ZN9rocsparseL19gtsv_LBM_rhs_kernelILj256ELj8ELj2EfEEviiiPKT2_S3_S3_PS1_S3_PKi.num_agpr, 0
	.set _ZN9rocsparseL19gtsv_LBM_rhs_kernelILj256ELj8ELj2EfEEviiiPKT2_S3_S3_PS1_S3_PKi.numbered_sgpr, 30
	.set _ZN9rocsparseL19gtsv_LBM_rhs_kernelILj256ELj8ELj2EfEEviiiPKT2_S3_S3_PS1_S3_PKi.num_named_barrier, 0
	.set _ZN9rocsparseL19gtsv_LBM_rhs_kernelILj256ELj8ELj2EfEEviiiPKT2_S3_S3_PS1_S3_PKi.private_seg_size, 0
	.set _ZN9rocsparseL19gtsv_LBM_rhs_kernelILj256ELj8ELj2EfEEviiiPKT2_S3_S3_PS1_S3_PKi.uses_vcc, 1
	.set _ZN9rocsparseL19gtsv_LBM_rhs_kernelILj256ELj8ELj2EfEEviiiPKT2_S3_S3_PS1_S3_PKi.uses_flat_scratch, 0
	.set _ZN9rocsparseL19gtsv_LBM_rhs_kernelILj256ELj8ELj2EfEEviiiPKT2_S3_S3_PS1_S3_PKi.has_dyn_sized_stack, 0
	.set _ZN9rocsparseL19gtsv_LBM_rhs_kernelILj256ELj8ELj2EfEEviiiPKT2_S3_S3_PS1_S3_PKi.has_recursion, 0
	.set _ZN9rocsparseL19gtsv_LBM_rhs_kernelILj256ELj8ELj2EfEEviiiPKT2_S3_S3_PS1_S3_PKi.has_indirect_call, 0
	.section	.AMDGPU.csdata,"",@progbits
; Kernel info:
; codeLenInByte = 2004
; TotalNumSgprs: 34
; NumVgprs: 28
; ScratchSize: 0
; MemoryBound: 0
; FloatMode: 240
; IeeeMode: 1
; LDSByteSize: 0 bytes/workgroup (compile time only)
; SGPRBlocks: 4
; VGPRBlocks: 6
; NumSGPRsForWavesPerEU: 34
; NumVGPRsForWavesPerEU: 28
; Occupancy: 9
; WaveLimiterHint : 0
; COMPUTE_PGM_RSRC2:SCRATCH_EN: 0
; COMPUTE_PGM_RSRC2:USER_SGPR: 6
; COMPUTE_PGM_RSRC2:TRAP_HANDLER: 0
; COMPUTE_PGM_RSRC2:TGID_X_EN: 1
; COMPUTE_PGM_RSRC2:TGID_Y_EN: 1
; COMPUTE_PGM_RSRC2:TGID_Z_EN: 0
; COMPUTE_PGM_RSRC2:TIDIG_COMP_CNT: 0
	.section	.text._ZN9rocsparseL19gtsv_LBM_rhs_kernelILj256ELj8ELj1EfEEviiiPKT2_S3_S3_PS1_S3_PKi,"axG",@progbits,_ZN9rocsparseL19gtsv_LBM_rhs_kernelILj256ELj8ELj1EfEEviiiPKT2_S3_S3_PS1_S3_PKi,comdat
	.globl	_ZN9rocsparseL19gtsv_LBM_rhs_kernelILj256ELj8ELj1EfEEviiiPKT2_S3_S3_PS1_S3_PKi ; -- Begin function _ZN9rocsparseL19gtsv_LBM_rhs_kernelILj256ELj8ELj1EfEEviiiPKT2_S3_S3_PS1_S3_PKi
	.p2align	8
	.type	_ZN9rocsparseL19gtsv_LBM_rhs_kernelILj256ELj8ELj1EfEEviiiPKT2_S3_S3_PS1_S3_PKi,@function
_ZN9rocsparseL19gtsv_LBM_rhs_kernelILj256ELj8ELj1EfEEviiiPKT2_S3_S3_PS1_S3_PKi: ; @_ZN9rocsparseL19gtsv_LBM_rhs_kernelILj256ELj8ELj1EfEEviiiPKT2_S3_S3_PS1_S3_PKi
; %bb.0:
	s_load_dword s24, s[4:5], 0x0
	v_lshl_or_b32 v0, s6, 8, v0
	s_waitcnt lgkmcnt(0)
	s_lshr_b32 s22, s24, 3
	v_cmp_gt_i32_e32 vcc, s22, v0
	s_and_saveexec_b64 s[0:1], vcc
	s_cbranch_execz .LBB34_29
; %bb.1:
	s_load_dwordx4 s[8:11], s[4:5], 0x28
	s_load_dwordx2 s[16:17], s[4:5], 0x38
	s_cmp_lt_i32 s24, 1
	s_mul_i32 s23, s24, s7
	s_cbranch_scc1 .LBB34_21
; %bb.2:
	s_load_dwordx4 s[12:15], s[4:5], 0x10
	s_load_dwordx2 s[6:7], s[4:5], 0x20
	v_ashrrev_i32_e32 v1, 31, v0
	v_lshlrev_b64 v[1:2], 2, v[0:1]
	v_add_u32_e32 v9, s22, v0
	s_waitcnt lgkmcnt(0)
	v_mov_b32_e32 v3, s15
	v_add_co_u32_e32 v1, vcc, s14, v1
	v_addc_co_u32_e32 v2, vcc, v3, v2, vcc
	global_load_dword v13, v[1:2], off
	s_mul_i32 s25, s22, 7
	s_mul_i32 s26, s22, 6
	s_lshl_b32 s27, s22, 1
	v_add_u32_e32 v10, s22, v9
	v_add_u32_e32 v11, s23, v9
	v_mov_b32_e32 v2, 0
	s_mov_b64 s[18:19], 0
	v_mov_b32_e32 v12, s7
	v_mov_b32_e32 v8, 0
	s_branch .LBB34_5
.LBB34_3:                               ;   in Loop: Header=BB34_5 Depth=1
	s_or_b64 exec, exec, s[4:5]
	v_fma_f32 v13, -v6, v5, v16
	v_mov_b32_e32 v6, s22
.LBB34_4:                               ;   in Loop: Header=BB34_5 Depth=1
	s_or_b64 exec, exec, s[2:3]
	v_add_u32_e32 v8, v6, v8
	v_cmp_le_i32_e32 vcc, s24, v8
	s_or_b64 s[18:19], vcc, s[18:19]
	s_andn2_b64 exec, exec, s[18:19]
	s_cbranch_execz .LBB34_20
.LBB34_5:                               ; =>This Inner Loop Header: Depth=1
	v_add_u32_e32 v3, v8, v0
	v_ashrrev_i32_e32 v4, 31, v3
	v_lshlrev_b64 v[4:5], 2, v[3:4]
	v_cmp_gt_u32_e64 s[0:1], s25, v8
	v_add_co_u32_e32 v6, vcc, s6, v4
	v_addc_co_u32_e32 v7, vcc, v12, v5, vcc
	global_load_dword v17, v[6:7], off
	v_add_u32_e32 v6, v9, v8
	v_mov_b32_e32 v14, 0
	s_and_saveexec_b64 s[2:3], s[0:1]
	s_cbranch_execz .LBB34_7
; %bb.6:                                ;   in Loop: Header=BB34_5 Depth=1
	v_ashrrev_i32_e32 v7, 31, v6
	v_lshlrev_b64 v[14:15], 2, v[6:7]
	s_waitcnt vmcnt(1)
	v_mov_b32_e32 v1, s13
	v_add_co_u32_e32 v14, vcc, s12, v14
	v_addc_co_u32_e32 v15, vcc, v1, v15, vcc
	global_load_dword v14, v[14:15], off
.LBB34_7:                               ;   in Loop: Header=BB34_5 Depth=1
	s_or_b64 exec, exec, s[2:3]
	v_mov_b32_e32 v15, 0
	v_mov_b32_e32 v16, 0
	s_and_saveexec_b64 s[2:3], s[0:1]
	s_cbranch_execz .LBB34_9
; %bb.8:                                ;   in Loop: Header=BB34_5 Depth=1
	v_ashrrev_i32_e32 v7, 31, v6
	v_lshlrev_b64 v[18:19], 2, v[6:7]
	s_waitcnt vmcnt(1)
	v_mov_b32_e32 v1, s15
	v_add_co_u32_e32 v18, vcc, s14, v18
	v_addc_co_u32_e32 v19, vcc, v1, v19, vcc
	global_load_dword v16, v[18:19], off
.LBB34_9:                               ;   in Loop: Header=BB34_5 Depth=1
	s_or_b64 exec, exec, s[2:3]
	s_and_saveexec_b64 s[2:3], s[0:1]
	s_cbranch_execz .LBB34_11
; %bb.10:                               ;   in Loop: Header=BB34_5 Depth=1
	v_ashrrev_i32_e32 v7, 31, v6
	v_lshlrev_b64 v[6:7], 2, v[6:7]
	s_waitcnt vmcnt(1)
	v_mov_b32_e32 v1, s7
	v_add_co_u32_e32 v6, vcc, s6, v6
	v_addc_co_u32_e32 v7, vcc, v1, v7, vcc
	global_load_dword v15, v[6:7], off
.LBB34_11:                              ;   in Loop: Header=BB34_5 Depth=1
	s_or_b64 exec, exec, s[2:3]
	v_cmp_gt_u32_e64 s[2:3], s26, v8
	v_mov_b32_e32 v6, 0
	s_and_saveexec_b64 s[4:5], s[2:3]
	s_cbranch_execz .LBB34_13
; %bb.12:                               ;   in Loop: Header=BB34_5 Depth=1
	v_add_u32_e32 v6, v10, v8
	v_ashrrev_i32_e32 v7, 31, v6
	v_lshlrev_b64 v[6:7], 2, v[6:7]
	s_waitcnt vmcnt(1)
	v_mov_b32_e32 v1, s13
	v_add_co_u32_e32 v6, vcc, s12, v6
	v_addc_co_u32_e32 v7, vcc, v1, v7, vcc
	global_load_dword v6, v[6:7], off
.LBB34_13:                              ;   in Loop: Header=BB34_5 Depth=1
	s_or_b64 exec, exec, s[4:5]
	s_waitcnt vmcnt(1)
	v_mov_b32_e32 v1, s17
	v_add_co_u32_e32 v4, vcc, s16, v4
	v_addc_co_u32_e32 v5, vcc, v1, v5, vcc
	v_add_u32_e32 v1, s23, v3
	global_load_dword v5, v[4:5], off
	v_lshlrev_b64 v[3:4], 2, v[1:2]
	v_mov_b32_e32 v1, s9
	v_add_co_u32_e32 v3, vcc, s8, v3
	v_addc_co_u32_e32 v4, vcc, v1, v4, vcc
	global_load_dword v1, v[3:4], off
	v_cmp_ne_u32_e32 vcc, s25, v8
	s_waitcnt vmcnt(1)
	v_cmp_ne_u32_e64 s[4:5], 1, v5
	s_and_b64 s[4:5], vcc, s[4:5]
	v_mul_f32_e32 v5, v17, v14
	s_and_saveexec_b64 s[20:21], s[4:5]
	s_xor_b64 s[4:5], exec, s[20:21]
	s_cbranch_execz .LBB34_17
; %bb.14:                               ;   in Loop: Header=BB34_5 Depth=1
	v_fma_f32 v5, v13, v16, -v5
	v_div_scale_f32 v7, s[20:21], v5, v5, 1.0
	v_rcp_f32_e32 v18, v7
	v_fma_f32 v19, -v7, v18, 1.0
	v_fmac_f32_e32 v18, v19, v18
	v_div_scale_f32 v19, vcc, 1.0, v5, 1.0
	v_mul_f32_e32 v20, v19, v18
	v_fma_f32 v21, -v7, v20, v19
	v_fmac_f32_e32 v20, v21, v18
	v_fma_f32 v7, -v7, v20, v19
	v_div_fmas_f32 v7, v7, v18, v20
	v_div_fixup_f32 v5, v7, v5, 1.0
	s_waitcnt vmcnt(0)
	v_mul_f32_e32 v7, v5, v1
	v_add_u32_e32 v1, v11, v8
	v_lshlrev_b64 v[18:19], 2, v[1:2]
	v_mov_b32_e32 v1, s9
	v_add_co_u32_e32 v20, vcc, s8, v18
	v_addc_co_u32_e32 v21, vcc, v1, v19, vcc
	global_load_dword v1, v[20:21], off
	s_waitcnt vmcnt(0)
	v_mul_f32_e32 v18, v5, v1
	v_mul_f32_e32 v1, v17, v18
	v_fma_f32 v1, v16, v7, -v1
	global_store_dword v[3:4], v1, off
	v_mul_f32_e32 v1, v14, v7
	v_fma_f32 v1, v13, v18, -v1
	global_store_dword v[20:21], v1, off
	v_mov_b32_e32 v1, 0
	s_and_saveexec_b64 s[20:21], s[2:3]
	s_cbranch_execz .LBB34_16
; %bb.15:                               ;   in Loop: Header=BB34_5 Depth=1
	v_add_u32_e32 v3, v10, v8
	v_add_u32_e32 v1, s23, v3
	v_lshlrev_b64 v[16:17], 2, v[1:2]
	v_ashrrev_i32_e32 v4, 31, v3
	v_mov_b32_e32 v1, s9
	v_add_co_u32_e32 v16, vcc, s8, v16
	v_lshlrev_b64 v[3:4], 2, v[3:4]
	v_addc_co_u32_e32 v17, vcc, v1, v17, vcc
	v_mov_b32_e32 v19, s15
	v_add_co_u32_e32 v3, vcc, s14, v3
	global_load_dword v1, v[16:17], off
	v_addc_co_u32_e32 v4, vcc, v19, v4, vcc
	global_load_dword v3, v[3:4], off
	v_mul_f32_e32 v4, v14, v6
	v_mul_f32_e32 v6, v13, v6
	;; [unrolled: 1-line block ×3, first 2 shown]
	v_fma_f32 v4, v4, v7, -v13
	v_mul_f32_e32 v6, v15, v6
	s_waitcnt vmcnt(1)
	v_add_f32_e32 v1, v4, v1
	global_store_dword v[16:17], v1, off
	s_waitcnt vmcnt(1)
	v_fma_f32 v1, -v5, v6, v3
.LBB34_16:                              ;   in Loop: Header=BB34_5 Depth=1
	s_or_b64 exec, exec, s[20:21]
	v_mov_b32_e32 v13, v1
                                        ; implicit-def: $vgpr5
                                        ; implicit-def: $vgpr16
                                        ; implicit-def: $vgpr1
                                        ; implicit-def: $vgpr3_vgpr4
                                        ; implicit-def: $vgpr14
.LBB34_17:                              ;   in Loop: Header=BB34_5 Depth=1
	s_or_saveexec_b64 s[2:3], s[4:5]
	v_mov_b32_e32 v6, s27
	s_xor_b64 exec, exec, s[2:3]
	s_cbranch_execz .LBB34_4
; %bb.18:                               ;   in Loop: Header=BB34_5 Depth=1
	v_div_scale_f32 v6, s[4:5], v13, v13, 1.0
	v_div_scale_f32 v7, vcc, 1.0, v13, 1.0
	v_rcp_f32_e32 v15, v6
	v_fma_f32 v17, -v6, v15, 1.0
	v_fmac_f32_e32 v15, v17, v15
	v_mul_f32_e32 v17, v7, v15
	v_fma_f32 v18, -v6, v17, v7
	v_fmac_f32_e32 v17, v18, v15
	v_fma_f32 v6, -v6, v17, v7
	v_div_fmas_f32 v6, v6, v15, v17
	v_div_fixup_f32 v6, v6, v13, 1.0
	s_waitcnt vmcnt(0)
	v_mul_f32_e32 v7, v6, v1
	global_store_dword v[3:4], v7, off
	s_and_saveexec_b64 s[4:5], s[0:1]
	s_cbranch_execz .LBB34_3
; %bb.19:                               ;   in Loop: Header=BB34_5 Depth=1
	v_add_u32_e32 v1, v11, v8
	v_lshlrev_b64 v[3:4], 2, v[1:2]
	v_mov_b32_e32 v1, s9
	v_add_co_u32_e32 v3, vcc, s8, v3
	v_addc_co_u32_e32 v4, vcc, v1, v4, vcc
	global_load_dword v1, v[3:4], off
	s_waitcnt vmcnt(0)
	v_fma_f32 v1, -v14, v7, v1
	global_store_dword v[3:4], v1, off
	s_branch .LBB34_3
.LBB34_20:
	s_or_b64 exec, exec, s[18:19]
	s_branch .LBB34_22
.LBB34_21:
	v_mov_b32_e32 v8, 0
.LBB34_22:
	v_subrev_u32_e32 v3, s22, v8
	s_waitcnt vmcnt(0)
	v_add_u32_e32 v1, v3, v0
	v_ashrrev_i32_e32 v2, 31, v1
	v_lshlrev_b64 v[1:2], 2, v[1:2]
	s_waitcnt lgkmcnt(0)
	v_mov_b32_e32 v4, s17
	v_add_co_u32_e32 v1, vcc, s16, v1
	v_addc_co_u32_e32 v2, vcc, v4, v2, vcc
	buffer_wbinvl1_vol
	global_load_dword v1, v[1:2], off
	s_waitcnt vmcnt(0)
	v_mul_lo_u32 v1, v1, s22
	v_sub_u32_e32 v5, v3, v1
	v_cmp_lt_i32_e32 vcc, -1, v5
	s_and_b64 exec, exec, vcc
	s_cbranch_execz .LBB34_29
; %bb.23:
	s_add_i32 s0, s23, s22
	v_add_u32_e32 v6, s0, v0
	s_lshl_b32 s4, s22, 1
	s_mov_b64 s[0:1], 0
	v_mov_b32_e32 v7, s17
	v_mov_b32_e32 v8, s11
	;; [unrolled: 1-line block ×3, first 2 shown]
	s_branch .LBB34_25
.LBB34_24:                              ;   in Loop: Header=BB34_25 Depth=1
	s_or_b64 exec, exec, s[2:3]
	v_sub_u32_e32 v5, v5, v1
	v_cmp_gt_i32_e32 vcc, 0, v5
	s_or_b64 s[0:1], vcc, s[0:1]
	s_andn2_b64 exec, exec, s[0:1]
	s_cbranch_execz .LBB34_29
.LBB34_25:                              ; =>This Inner Loop Header: Depth=1
	v_add_u32_e32 v3, v5, v0
	s_waitcnt vmcnt(0)
	v_ashrrev_i32_e32 v4, 31, v3
	v_lshlrev_b64 v[9:10], 2, v[3:4]
	v_add_co_u32_e32 v11, vcc, s16, v9
	v_addc_co_u32_e32 v12, vcc, v7, v10, vcc
	v_add_co_u32_e32 v9, vcc, s10, v9
	global_load_dword v1, v[11:12], off
	v_addc_co_u32_e32 v10, vcc, v8, v10, vcc
	global_load_dword v4, v[9:10], off
	s_waitcnt vmcnt(1)
	v_cmp_ne_u32_e32 vcc, 1, v1
	s_and_saveexec_b64 s[2:3], vcc
	s_xor_b64 s[2:3], exec, s[2:3]
	s_cbranch_execz .LBB34_27
; %bb.26:                               ;   in Loop: Header=BB34_25 Depth=1
	v_add_u32_e32 v1, v6, v5
	v_lshlrev_b64 v[9:10], 2, v[1:2]
	v_mov_b32_e32 v1, s9
	v_add_co_u32_e32 v9, vcc, s8, v9
	v_addc_co_u32_e32 v10, vcc, v1, v10, vcc
	v_add_u32_e32 v1, s23, v3
	v_lshlrev_b64 v[11:12], 2, v[1:2]
	v_mov_b32_e32 v1, s9
	v_add_co_u32_e32 v11, vcc, s8, v11
	v_addc_co_u32_e32 v12, vcc, v1, v12, vcc
	global_load_dword v15, v[9:10], off
	global_load_dword v3, v[11:12], off
	v_subrev_u32_e32 v1, s22, v5
	v_add_u32_e32 v9, v1, v0
	v_ashrrev_i32_e32 v10, 31, v9
	v_add_u32_e32 v1, s23, v9
	v_lshlrev_b64 v[9:10], 2, v[9:10]
	v_lshlrev_b64 v[13:14], 2, v[1:2]
	v_add_co_u32_e32 v9, vcc, s10, v9
	v_addc_co_u32_e32 v10, vcc, v8, v10, vcc
	v_mov_b32_e32 v16, s9
	global_load_dword v1, v[9:10], off
	s_waitcnt vmcnt(1)
	v_fma_f32 v3, -v4, v15, v3
	global_store_dword v[11:12], v3, off
	v_add_co_u32_e32 v3, vcc, s8, v13
	v_addc_co_u32_e32 v4, vcc, v16, v14, vcc
	global_load_dword v9, v[3:4], off
	s_waitcnt vmcnt(0)
	v_fma_f32 v1, -v1, v15, v9
	global_store_dword v[3:4], v1, off
                                        ; implicit-def: $vgpr3
                                        ; implicit-def: $vgpr4
.LBB34_27:                              ;   in Loop: Header=BB34_25 Depth=1
	s_or_saveexec_b64 s[2:3], s[2:3]
	v_mov_b32_e32 v1, s4
	s_xor_b64 exec, exec, s[2:3]
	s_cbranch_execz .LBB34_24
; %bb.28:                               ;   in Loop: Header=BB34_25 Depth=1
	v_add_u32_e32 v1, v6, v5
	v_lshlrev_b64 v[9:10], 2, v[1:2]
	v_mov_b32_e32 v1, s9
	v_add_co_u32_e32 v9, vcc, s8, v9
	v_addc_co_u32_e32 v10, vcc, v1, v10, vcc
	v_add_u32_e32 v1, s23, v3
	v_lshlrev_b64 v[11:12], 2, v[1:2]
	v_mov_b32_e32 v1, s9
	v_add_co_u32_e32 v11, vcc, s8, v11
	v_addc_co_u32_e32 v12, vcc, v1, v12, vcc
	global_load_dword v1, v[9:10], off
	global_load_dword v3, v[11:12], off
	s_waitcnt vmcnt(0)
	v_fma_f32 v1, -v4, v1, v3
	global_store_dword v[11:12], v1, off
	v_mov_b32_e32 v1, s22
	s_branch .LBB34_24
.LBB34_29:
	s_endpgm
	.section	.rodata,"a",@progbits
	.p2align	6, 0x0
	.amdhsa_kernel _ZN9rocsparseL19gtsv_LBM_rhs_kernelILj256ELj8ELj1EfEEviiiPKT2_S3_S3_PS1_S3_PKi
		.amdhsa_group_segment_fixed_size 0
		.amdhsa_private_segment_fixed_size 0
		.amdhsa_kernarg_size 64
		.amdhsa_user_sgpr_count 6
		.amdhsa_user_sgpr_private_segment_buffer 1
		.amdhsa_user_sgpr_dispatch_ptr 0
		.amdhsa_user_sgpr_queue_ptr 0
		.amdhsa_user_sgpr_kernarg_segment_ptr 1
		.amdhsa_user_sgpr_dispatch_id 0
		.amdhsa_user_sgpr_flat_scratch_init 0
		.amdhsa_user_sgpr_private_segment_size 0
		.amdhsa_uses_dynamic_stack 0
		.amdhsa_system_sgpr_private_segment_wavefront_offset 0
		.amdhsa_system_sgpr_workgroup_id_x 1
		.amdhsa_system_sgpr_workgroup_id_y 1
		.amdhsa_system_sgpr_workgroup_id_z 0
		.amdhsa_system_sgpr_workgroup_info 0
		.amdhsa_system_vgpr_workitem_id 0
		.amdhsa_next_free_vgpr 22
		.amdhsa_next_free_sgpr 28
		.amdhsa_reserve_vcc 1
		.amdhsa_reserve_flat_scratch 0
		.amdhsa_float_round_mode_32 0
		.amdhsa_float_round_mode_16_64 0
		.amdhsa_float_denorm_mode_32 3
		.amdhsa_float_denorm_mode_16_64 3
		.amdhsa_dx10_clamp 1
		.amdhsa_ieee_mode 1
		.amdhsa_fp16_overflow 0
		.amdhsa_exception_fp_ieee_invalid_op 0
		.amdhsa_exception_fp_denorm_src 0
		.amdhsa_exception_fp_ieee_div_zero 0
		.amdhsa_exception_fp_ieee_overflow 0
		.amdhsa_exception_fp_ieee_underflow 0
		.amdhsa_exception_fp_ieee_inexact 0
		.amdhsa_exception_int_div_zero 0
	.end_amdhsa_kernel
	.section	.text._ZN9rocsparseL19gtsv_LBM_rhs_kernelILj256ELj8ELj1EfEEviiiPKT2_S3_S3_PS1_S3_PKi,"axG",@progbits,_ZN9rocsparseL19gtsv_LBM_rhs_kernelILj256ELj8ELj1EfEEviiiPKT2_S3_S3_PS1_S3_PKi,comdat
.Lfunc_end34:
	.size	_ZN9rocsparseL19gtsv_LBM_rhs_kernelILj256ELj8ELj1EfEEviiiPKT2_S3_S3_PS1_S3_PKi, .Lfunc_end34-_ZN9rocsparseL19gtsv_LBM_rhs_kernelILj256ELj8ELj1EfEEviiiPKT2_S3_S3_PS1_S3_PKi
                                        ; -- End function
	.set _ZN9rocsparseL19gtsv_LBM_rhs_kernelILj256ELj8ELj1EfEEviiiPKT2_S3_S3_PS1_S3_PKi.num_vgpr, 22
	.set _ZN9rocsparseL19gtsv_LBM_rhs_kernelILj256ELj8ELj1EfEEviiiPKT2_S3_S3_PS1_S3_PKi.num_agpr, 0
	.set _ZN9rocsparseL19gtsv_LBM_rhs_kernelILj256ELj8ELj1EfEEviiiPKT2_S3_S3_PS1_S3_PKi.numbered_sgpr, 28
	.set _ZN9rocsparseL19gtsv_LBM_rhs_kernelILj256ELj8ELj1EfEEviiiPKT2_S3_S3_PS1_S3_PKi.num_named_barrier, 0
	.set _ZN9rocsparseL19gtsv_LBM_rhs_kernelILj256ELj8ELj1EfEEviiiPKT2_S3_S3_PS1_S3_PKi.private_seg_size, 0
	.set _ZN9rocsparseL19gtsv_LBM_rhs_kernelILj256ELj8ELj1EfEEviiiPKT2_S3_S3_PS1_S3_PKi.uses_vcc, 1
	.set _ZN9rocsparseL19gtsv_LBM_rhs_kernelILj256ELj8ELj1EfEEviiiPKT2_S3_S3_PS1_S3_PKi.uses_flat_scratch, 0
	.set _ZN9rocsparseL19gtsv_LBM_rhs_kernelILj256ELj8ELj1EfEEviiiPKT2_S3_S3_PS1_S3_PKi.has_dyn_sized_stack, 0
	.set _ZN9rocsparseL19gtsv_LBM_rhs_kernelILj256ELj8ELj1EfEEviiiPKT2_S3_S3_PS1_S3_PKi.has_recursion, 0
	.set _ZN9rocsparseL19gtsv_LBM_rhs_kernelILj256ELj8ELj1EfEEviiiPKT2_S3_S3_PS1_S3_PKi.has_indirect_call, 0
	.section	.AMDGPU.csdata,"",@progbits
; Kernel info:
; codeLenInByte = 1540
; TotalNumSgprs: 32
; NumVgprs: 22
; ScratchSize: 0
; MemoryBound: 0
; FloatMode: 240
; IeeeMode: 1
; LDSByteSize: 0 bytes/workgroup (compile time only)
; SGPRBlocks: 3
; VGPRBlocks: 5
; NumSGPRsForWavesPerEU: 32
; NumVGPRsForWavesPerEU: 22
; Occupancy: 10
; WaveLimiterHint : 0
; COMPUTE_PGM_RSRC2:SCRATCH_EN: 0
; COMPUTE_PGM_RSRC2:USER_SGPR: 6
; COMPUTE_PGM_RSRC2:TRAP_HANDLER: 0
; COMPUTE_PGM_RSRC2:TGID_X_EN: 1
; COMPUTE_PGM_RSRC2:TGID_Y_EN: 1
; COMPUTE_PGM_RSRC2:TGID_Z_EN: 0
; COMPUTE_PGM_RSRC2:TIDIG_COMP_CNT: 0
	.section	.text._ZN9rocsparseL29gtsv_spike_block_level_kernelILj256ELj8EfEEviiiPT1_PKS1_S4_S2_S2_S2_S2_S2_,"axG",@progbits,_ZN9rocsparseL29gtsv_spike_block_level_kernelILj256ELj8EfEEviiiPT1_PKS1_S4_S2_S2_S2_S2_S2_,comdat
	.globl	_ZN9rocsparseL29gtsv_spike_block_level_kernelILj256ELj8EfEEviiiPT1_PKS1_S4_S2_S2_S2_S2_S2_ ; -- Begin function _ZN9rocsparseL29gtsv_spike_block_level_kernelILj256ELj8EfEEviiiPT1_PKS1_S4_S2_S2_S2_S2_S2_
	.p2align	8
	.type	_ZN9rocsparseL29gtsv_spike_block_level_kernelILj256ELj8EfEEviiiPT1_PKS1_S4_S2_S2_S2_S2_S2_,@function
_ZN9rocsparseL29gtsv_spike_block_level_kernelILj256ELj8EfEEviiiPT1_PKS1_S4_S2_S2_S2_S2_S2_: ; @_ZN9rocsparseL29gtsv_spike_block_level_kernelILj256ELj8EfEEviiiPT1_PKS1_S4_S2_S2_S2_S2_S2_
; %bb.0:
	s_load_dword s14, s[4:5], 0x0
	s_load_dwordx2 s[8:9], s[4:5], 0x18
	v_lshl_or_b32 v1, s6, 8, v0
	v_mov_b32_e32 v3, 0
	v_mov_b32_e32 v2, 0
	s_waitcnt lgkmcnt(0)
	s_lshr_b32 s18, s14, 3
	v_cmp_gt_i32_e64 s[0:1], s18, v1
	s_and_saveexec_b64 s[2:3], s[0:1]
	s_cbranch_execz .LBB35_2
; %bb.1:
	v_ashrrev_i32_e32 v2, 31, v1
	v_lshlrev_b64 v[4:5], 2, v[1:2]
	v_mov_b32_e32 v2, s9
	v_add_co_u32_e32 v4, vcc, s8, v4
	v_addc_co_u32_e32 v5, vcc, v2, v5, vcc
	global_load_dword v2, v[4:5], off
.LBB35_2:
	s_or_b64 exec, exec, s[2:3]
	s_load_dwordx2 s[2:3], s[4:5], 0x20
	v_lshlrev_b32_e32 v5, 2, v0
	v_or_b32_e32 v6, 0x800, v5
	s_waitcnt vmcnt(0)
	ds_write_b32 v5, v2 offset:2048
	s_and_saveexec_b64 s[10:11], s[0:1]
	s_cbranch_execz .LBB35_4
; %bb.3:
	v_mad_u64_u32 v[2:3], s[12:13], s18, 7, v[1:2]
	v_mov_b32_e32 v3, 0
	v_mov_b32_e32 v4, s9
	v_lshlrev_b64 v[2:3], 2, v[2:3]
	v_add_co_u32_e32 v2, vcc, s8, v2
	v_addc_co_u32_e32 v3, vcc, v4, v3, vcc
	global_load_dword v3, v[2:3], off
.LBB35_4:
	s_or_b64 exec, exec, s[10:11]
	s_waitcnt vmcnt(0)
	ds_write_b32 v6, v3 offset:1024
	v_mov_b32_e32 v3, 0
	v_mov_b32_e32 v2, 0
	s_and_saveexec_b64 s[8:9], s[0:1]
	s_cbranch_execz .LBB35_6
; %bb.5:
	v_ashrrev_i32_e32 v2, 31, v1
	v_lshlrev_b64 v[7:8], 2, v[1:2]
	s_waitcnt lgkmcnt(0)
	v_mov_b32_e32 v2, s3
	v_add_co_u32_e32 v7, vcc, s2, v7
	v_addc_co_u32_e32 v8, vcc, v2, v8, vcc
	global_load_dword v2, v[7:8], off
.LBB35_6:
	s_or_b64 exec, exec, s[8:9]
	s_load_dwordx2 s[12:13], s[4:5], 0x10
	s_waitcnt vmcnt(0)
	ds_write_b32 v5, v2
	s_and_saveexec_b64 s[8:9], s[0:1]
	s_cbranch_execz .LBB35_8
; %bb.7:
	v_mad_u64_u32 v[2:3], s[10:11], s18, 7, v[1:2]
	v_mov_b32_e32 v3, 0
	s_waitcnt lgkmcnt(0)
	v_mov_b32_e32 v4, s3
	v_lshlrev_b64 v[2:3], 2, v[2:3]
	v_add_co_u32_e32 v2, vcc, s2, v2
	v_addc_co_u32_e32 v3, vcc, v4, v3, vcc
	global_load_dword v3, v[2:3], off
.LBB35_8:
	s_or_b64 exec, exec, s[8:9]
	s_mul_i32 s14, s14, s7
	s_waitcnt vmcnt(0)
	ds_write_b32 v5, v3 offset:1024
	v_mov_b32_e32 v2, 0
	v_add_u32_e32 v3, s14, v1
	v_mov_b32_e32 v7, 0
	s_waitcnt lgkmcnt(0)
	s_and_saveexec_b64 s[2:3], s[0:1]
	s_cbranch_execz .LBB35_10
; %bb.9:
	v_ashrrev_i32_e32 v4, 31, v3
	v_lshlrev_b64 v[7:8], 2, v[3:4]
	v_mov_b32_e32 v4, s13
	v_add_co_u32_e32 v7, vcc, s12, v7
	v_addc_co_u32_e32 v8, vcc, v4, v8, vcc
	global_load_dword v7, v[7:8], off
.LBB35_10:
	s_or_b64 exec, exec, s[2:3]
	v_or_b32_e32 v4, 0x1000, v5
	s_mul_i32 s19, s18, 7
	s_waitcnt vmcnt(0)
	ds_write_b32 v5, v7 offset:4096
	s_and_saveexec_b64 s[2:3], s[0:1]
	s_cbranch_execz .LBB35_12
; %bb.11:
	s_mul_i32 s8, s18, 7
	s_add_i32 s8, s8, s14
	v_add_u32_e32 v7, s8, v1
	v_mov_b32_e32 v8, 0
	v_lshlrev_b64 v[7:8], 2, v[7:8]
	v_mov_b32_e32 v2, s13
	v_add_co_u32_e32 v7, vcc, s12, v7
	v_addc_co_u32_e32 v8, vcc, v2, v8, vcc
	global_load_dword v2, v[7:8], off
.LBB35_12:
	s_or_b64 exec, exec, s[2:3]
	s_movk_i32 s2, 0x80
	v_cmp_gt_u32_e32 vcc, s2, v0
	s_waitcnt vmcnt(0)
	ds_write_b32 v4, v2 offset:1024
	s_waitcnt lgkmcnt(0)
	s_barrier
	s_and_saveexec_b64 s[2:3], vcc
	s_cbranch_execz .LBB35_14
; %bb.13:
	v_add_u32_e32 v2, v6, v5
	v_add_u32_e32 v21, v5, v5
	ds_read2st64_b64 v[7:10], v2 offset1:2
	ds_read2st64_b64 v[11:14], v21 offset1:2
	v_add_u32_e32 v22, v4, v5
	s_waitcnt lgkmcnt(0)
	v_fma_f32 v19, -v8, v13, 1.0
	v_div_scale_f32 v15, s[8:9], v19, v19, 1.0
	v_div_scale_f32 v16, vcc, 1.0, v19, 1.0
	v_rcp_f32_e32 v17, v15
	v_fma_f32 v18, -v15, v17, 1.0
	v_fmac_f32_e32 v17, v18, v17
	v_mul_f32_e32 v18, v16, v17
	v_fma_f32 v20, -v15, v18, v16
	v_fmac_f32_e32 v18, v20, v17
	v_fma_f32 v15, -v15, v18, v16
	v_div_fmas_f32 v20, v15, v17, v18
	ds_read2st64_b64 v[15:18], v22 offset1:2
	v_div_fixup_f32 v23, v20, v19, 1.0
	s_waitcnt lgkmcnt(0)
	v_fma_f32 v19, -v8, v17, v16
	v_mul_f32_e32 v20, v19, v23
	v_fma_f32 v19, -v20, v11, v15
	v_fma_f32 v15, -v13, v16, v17
	v_mul_f32_e32 v15, v23, v15
	v_mul_f32_e32 v8, v8, v9
	v_fma_f32 v16, -v10, v15, v18
	v_mul_f32_e64 v8, v8, -v23
	v_mul_f32_e32 v18, v23, v12
	v_fma_f32 v7, -v8, v11, v7
	v_mul_f32_e64 v17, v18, -v11
	v_mul_f32_e32 v11, v13, v12
	v_mul_f32_e64 v11, v11, -v23
	v_mul_f32_e32 v9, v23, v9
	v_fma_f32 v12, -v11, v10, v14
	v_mul_f32_e64 v10, v9, -v10
	ds_write2st64_b64 v22, v[19:20], v[15:16] offset1:2
	ds_write2st64_b64 v21, v[17:18], v[11:12] offset1:2
	;; [unrolled: 1-line block ×3, first 2 shown]
.LBB35_14:
	s_or_b64 exec, exec, s[2:3]
	v_cmp_gt_u32_e32 vcc, 64, v0
	s_waitcnt lgkmcnt(0)
	s_barrier
	s_and_saveexec_b64 s[2:3], vcc
	s_cbranch_execz .LBB35_16
; %bb.15:
	v_lshlrev_b32_e32 v2, 4, v0
	v_add_u32_e32 v18, 0x800, v2
	v_add_u32_e32 v19, 0x400, v2
	ds_read2_b32 v[7:8], v18 offset1:2
	ds_read2_b32 v[9:10], v19 offset0:1 offset1:3
	s_waitcnt lgkmcnt(0)
	v_fma_f32 v11, -v8, v9, 1.0
	v_div_scale_f32 v12, s[8:9], v11, v11, 1.0
	v_rcp_f32_e32 v13, v12
	v_fma_f32 v14, -v12, v13, 1.0
	v_fmac_f32_e32 v13, v14, v13
	v_div_scale_f32 v14, vcc, 1.0, v11, 1.0
	v_mul_f32_e32 v15, v14, v13
	v_fma_f32 v16, -v12, v15, v14
	v_fmac_f32_e32 v15, v16, v13
	v_fma_f32 v12, -v12, v15, v14
	v_div_fmas_f32 v12, v12, v13, v15
	v_mad_u32_u24 v16, v0, 12, v4
	v_add_u32_e32 v21, 0x400, v16
	v_div_fixup_f32 v20, v12, v11, 1.0
	ds_read2_b32 v[11:12], v21 offset0:1 offset1:3
	ds_read2_b32 v[13:14], v16 offset1:2
	s_waitcnt lgkmcnt(0)
	v_fma_f32 v15, -v9, v14, v11
	v_mul_f32_e32 v22, v20, v15
	v_fma_f32 v11, -v8, v11, v14
	ds_read2_b32 v[14:15], v2 offset1:2
	v_mul_f32_e32 v11, v11, v20
	s_waitcnt lgkmcnt(0)
	v_fma_f32 v13, -v11, v14, v13
	ds_write2_b32 v16, v13, v11 offset1:2
	v_add_u32_e32 v11, 0xc00, v2
	ds_read2_b32 v[16:17], v11 offset0:1 offset1:3
	v_mul_f32_e32 v9, v9, v15
	v_mul_f32_e64 v9, v9, -v20
	s_waitcnt lgkmcnt(0)
	v_mul_f32_e32 v8, v8, v16
	v_fma_f32 v12, -v17, v22, v12
	v_mul_f32_e64 v8, v8, -v20
	ds_write2_b32 v21, v22, v12 offset0:1 offset1:3
	v_mul_f32_e32 v12, v20, v15
	v_fma_f32 v7, -v8, v14, v7
	ds_write2_b32 v18, v7, v8 offset1:2
	v_mul_f32_e64 v7, v12, -v14
	v_mul_f32_e32 v13, v20, v16
	ds_write2_b32 v2, v7, v12 offset1:2
	v_fma_f32 v2, -v9, v17, v10
	ds_write2_b32 v19, v9, v2 offset0:1 offset1:3
	v_mul_f32_e64 v2, v13, -v17
	ds_write2_b32 v11, v13, v2 offset0:1 offset1:3
.LBB35_16:
	s_or_b64 exec, exec, s[2:3]
	v_cmp_gt_u32_e32 vcc, 32, v0
	s_waitcnt lgkmcnt(0)
	s_barrier
	s_and_saveexec_b64 s[2:3], vcc
	s_cbranch_execz .LBB35_18
; %bb.17:
	v_lshlrev_b32_e32 v2, 5, v0
	v_add_u32_e32 v18, 0x800, v2
	v_add_u32_e32 v19, 0x400, v2
	ds_read2_b32 v[7:8], v18 offset1:4
	ds_read2_b32 v[9:10], v19 offset0:3 offset1:7
	v_add_u32_e32 v21, 0x1400, v2
	s_waitcnt lgkmcnt(0)
	v_fma_f32 v11, -v8, v9, 1.0
	v_div_scale_f32 v12, s[8:9], v11, v11, 1.0
	v_rcp_f32_e32 v13, v12
	v_fma_f32 v14, -v12, v13, 1.0
	v_fmac_f32_e32 v13, v14, v13
	v_div_scale_f32 v14, vcc, 1.0, v11, 1.0
	v_mul_f32_e32 v15, v14, v13
	v_fma_f32 v16, -v12, v15, v14
	v_fmac_f32_e32 v15, v16, v13
	v_fma_f32 v12, -v12, v15, v14
	v_div_fmas_f32 v12, v12, v13, v15
	v_add_u32_e32 v16, 0x1000, v2
	ds_read2_b32 v[13:14], v16 offset1:4
	v_div_fixup_f32 v20, v12, v11, 1.0
	ds_read2_b32 v[11:12], v21 offset0:3 offset1:7
	s_waitcnt lgkmcnt(0)
	v_fma_f32 v15, -v9, v14, v11
	v_mul_f32_e32 v22, v20, v15
	v_fma_f32 v11, -v8, v11, v14
	ds_read2_b32 v[14:15], v2 offset1:4
	v_mul_f32_e32 v11, v11, v20
	s_waitcnt lgkmcnt(0)
	v_fma_f32 v13, -v11, v14, v13
	ds_write2_b32 v16, v13, v11 offset1:4
	v_add_u32_e32 v11, 0xc00, v2
	ds_read2_b32 v[16:17], v11 offset0:3 offset1:7
	v_mul_f32_e32 v9, v9, v15
	v_mul_f32_e64 v9, v9, -v20
	s_waitcnt lgkmcnt(0)
	v_mul_f32_e32 v8, v8, v16
	v_fma_f32 v12, -v17, v22, v12
	v_mul_f32_e64 v8, v8, -v20
	ds_write2_b32 v21, v22, v12 offset0:3 offset1:7
	v_mul_f32_e32 v12, v20, v15
	v_fma_f32 v7, -v8, v14, v7
	ds_write2_b32 v18, v7, v8 offset1:4
	v_mul_f32_e64 v7, v12, -v14
	v_mul_f32_e32 v13, v20, v16
	ds_write2_b32 v2, v7, v12 offset1:4
	v_fma_f32 v2, -v9, v17, v10
	ds_write2_b32 v19, v9, v2 offset0:3 offset1:7
	v_mul_f32_e64 v2, v13, -v17
	ds_write2_b32 v11, v13, v2 offset0:3 offset1:7
.LBB35_18:
	s_or_b64 exec, exec, s[2:3]
	v_cmp_gt_u32_e32 vcc, 16, v0
	s_waitcnt lgkmcnt(0)
	s_barrier
	s_and_saveexec_b64 s[2:3], vcc
	s_cbranch_execz .LBB35_20
; %bb.19:
	v_lshlrev_b32_e32 v2, 6, v0
	v_add_u32_e32 v18, 0x800, v2
	v_add_u32_e32 v19, 0x400, v2
	ds_read2_b32 v[7:8], v18 offset1:8
	ds_read2_b32 v[9:10], v19 offset0:7 offset1:15
	v_add_u32_e32 v21, 0x1400, v2
	s_waitcnt lgkmcnt(0)
	v_fma_f32 v11, -v8, v9, 1.0
	v_div_scale_f32 v12, s[8:9], v11, v11, 1.0
	v_rcp_f32_e32 v13, v12
	v_fma_f32 v14, -v12, v13, 1.0
	v_fmac_f32_e32 v13, v14, v13
	v_div_scale_f32 v14, vcc, 1.0, v11, 1.0
	v_mul_f32_e32 v15, v14, v13
	v_fma_f32 v16, -v12, v15, v14
	v_fmac_f32_e32 v15, v16, v13
	v_fma_f32 v12, -v12, v15, v14
	v_div_fmas_f32 v12, v12, v13, v15
	v_add_u32_e32 v16, 0x1000, v2
	ds_read2_b32 v[13:14], v16 offset1:8
	v_div_fixup_f32 v20, v12, v11, 1.0
	ds_read2_b32 v[11:12], v21 offset0:7 offset1:15
	s_waitcnt lgkmcnt(0)
	v_fma_f32 v15, -v9, v14, v11
	v_mul_f32_e32 v22, v20, v15
	v_fma_f32 v11, -v8, v11, v14
	ds_read2_b32 v[14:15], v2 offset1:8
	v_mul_f32_e32 v11, v11, v20
	s_waitcnt lgkmcnt(0)
	v_fma_f32 v13, -v11, v14, v13
	ds_write2_b32 v16, v13, v11 offset1:8
	v_add_u32_e32 v11, 0xc00, v2
	ds_read2_b32 v[16:17], v11 offset0:7 offset1:15
	v_mul_f32_e32 v9, v9, v15
	v_mul_f32_e64 v9, v9, -v20
	s_waitcnt lgkmcnt(0)
	v_mul_f32_e32 v8, v8, v16
	v_fma_f32 v12, -v17, v22, v12
	v_mul_f32_e64 v8, v8, -v20
	ds_write2_b32 v21, v22, v12 offset0:7 offset1:15
	v_mul_f32_e32 v12, v20, v15
	v_fma_f32 v7, -v8, v14, v7
	ds_write2_b32 v18, v7, v8 offset1:8
	v_mul_f32_e64 v7, v12, -v14
	v_mul_f32_e32 v13, v20, v16
	ds_write2_b32 v2, v7, v12 offset1:8
	v_fma_f32 v2, -v9, v17, v10
	ds_write2_b32 v19, v9, v2 offset0:7 offset1:15
	v_mul_f32_e64 v2, v13, -v17
	ds_write2_b32 v11, v13, v2 offset0:7 offset1:15
.LBB35_20:
	;; [unrolled: 58-line block ×4, first 2 shown]
	s_or_b64 exec, exec, s[2:3]
	v_cmp_gt_u32_e32 vcc, 2, v0
	s_waitcnt lgkmcnt(0)
	s_barrier
	s_and_saveexec_b64 s[2:3], vcc
	s_cbranch_execz .LBB35_26
; %bb.25:
	v_lshlrev_b32_e32 v2, 9, v0
	v_add_u32_e32 v19, 0xfc, v2
	ds_read2st64_b32 v[7:8], v19 offset0:4 offset1:5
	ds_read2st64_b32 v[9:10], v2 offset0:8 offset1:9
	;; [unrolled: 1-line block ×3, first 2 shown]
	ds_read2st64_b32 v[13:14], v2 offset1:1
	ds_read2st64_b32 v[15:16], v19 offset0:12 offset1:13
	s_waitcnt lgkmcnt(3)
	v_fma_f32 v20, -v10, v7, 1.0
	v_div_scale_f32 v17, s[8:9], v20, v20, 1.0
	v_div_scale_f32 v18, vcc, 1.0, v20, 1.0
	v_rcp_f32_e32 v21, v17
	v_fma_f32 v22, -v17, v21, 1.0
	v_fmac_f32_e32 v21, v22, v21
	v_mul_f32_e32 v22, v18, v21
	v_fma_f32 v23, -v17, v22, v18
	v_fmac_f32_e32 v22, v23, v21
	v_fma_f32 v17, -v17, v22, v18
	v_div_fmas_f32 v21, v17, v21, v22
	ds_read2st64_b32 v[17:18], v19 offset0:20 offset1:21
	s_waitcnt lgkmcnt(0)
	v_fma_f32 v22, -v7, v12, v17
	v_fma_f32 v12, -v10, v17, v12
	v_mul_f32_e32 v7, v7, v14
	v_mul_f32_e32 v10, v10, v15
	v_div_fixup_f32 v17, v21, v20, 1.0
	v_mul_f32_e32 v12, v12, v17
	v_mul_f32_e32 v20, v17, v22
	v_mul_f32_e64 v7, v7, -v17
	v_fma_f32 v11, -v12, v13, v11
	v_mul_f32_e32 v14, v17, v14
	v_mul_f32_e64 v10, v10, -v17
	v_mul_f32_e32 v15, v17, v15
	v_fma_f32 v17, -v16, v20, v18
	v_fma_f32 v9, -v10, v13, v9
	v_mul_f32_e64 v13, v14, -v13
	v_fma_f32 v8, -v7, v16, v8
	v_mul_f32_e64 v16, v15, -v16
	ds_write2st64_b32 v2, v11, v12 offset0:16 offset1:17
	ds_write2st64_b32 v19, v20, v17 offset0:20 offset1:21
	;; [unrolled: 1-line block ×3, first 2 shown]
	ds_write2st64_b32 v2, v13, v14 offset1:1
	ds_write2st64_b32 v19, v7, v8 offset0:4 offset1:5
	ds_write2st64_b32 v19, v15, v16 offset0:12 offset1:13
.LBB35_26:
	s_or_b64 exec, exec, s[2:3]
	v_cmp_eq_u32_e64 s[2:3], 0, v0
	s_waitcnt lgkmcnt(0)
	s_barrier
	s_and_saveexec_b64 s[8:9], s[2:3]
	s_cbranch_execz .LBB35_28
; %bb.27:
	s_movk_i32 s10, 0xa00
	v_add_u32_e64 v2, s10, 0
	v_mov_b32_e32 v0, 0
	ds_read2_b32 v[7:8], v2 offset1:255
	ds_read_b32 v13, v0 offset:1532
	v_mov_b32_e32 v17, 0xffc
	s_waitcnt lgkmcnt(0)
	v_fma_f32 v9, -v7, v13, 1.0
	v_div_scale_f32 v10, s[10:11], v9, v9, 1.0
	s_movk_i32 s10, 0x1200
	v_rcp_f32_e32 v11, v10
	v_fma_f32 v12, -v10, v11, 1.0
	v_fmac_f32_e32 v11, v12, v11
	v_div_scale_f32 v12, vcc, 1.0, v9, 1.0
	v_mul_f32_e32 v14, v12, v11
	v_fma_f32 v15, -v10, v14, v12
	v_fmac_f32_e32 v14, v15, v11
	v_fma_f32 v10, -v10, v14, v12
	v_div_fmas_f32 v10, v10, v11, v14
	v_add_u32_e64 v11, s10, 0
	v_div_fixup_f32 v14, v10, v9, 1.0
	ds_read2_b32 v[9:10], v11 offset1:255
	s_waitcnt lgkmcnt(0)
	v_fma_f32 v12, -v13, v9, v10
	v_fma_f32 v9, -v7, v10, v9
	v_mul_f32_e32 v15, v14, v12
	v_mul_f32_e32 v16, v9, v14
	ds_write2_b32 v11, v16, v15 offset1:255
	ds_read2_b32 v[9:10], v17 offset1:1
	ds_read2st64_b32 v[11:12], v0 offset1:2
	v_mul_f32_e32 v7, v7, v8
	s_waitcnt lgkmcnt(0)
	v_fma_f32 v10, -v16, v11, v10
	ds_read_b32 v16, v0 offset:6140
	v_mul_f32_e32 v13, v13, v12
	v_mul_f32_e64 v13, v13, -v14
	v_mul_f32_e32 v12, v14, v12
	ds_write_b32 v0, v13 offset:1532
	s_waitcnt lgkmcnt(1)
	v_fma_f32 v15, -v9, v15, v16
	ds_write_b32 v0, v15 offset:6140
	v_mul_f32_e64 v15, v7, -v14
	v_mul_f32_e32 v14, v14, v8
	ds_write2_b32 v2, v15, v14 offset1:255
	v_mov_b32_e32 v2, 0x7fc
	ds_read2_b32 v[7:8], v2 offset1:1
	s_waitcnt lgkmcnt(0)
	v_fma_f32 v8, -v15, v11, v8
	v_mul_f32_e64 v11, v12, -v11
	ds_write2st64_b32 v0, v11, v12 offset1:2
	v_fma_f32 v0, -v13, v9, v7
	ds_write2_b32 v2, v0, v8 offset1:1
	v_mul_f32_e64 v0, v14, -v9
	ds_write2_b32 v17, v0, v10 offset1:1
.LBB35_28:
	s_or_b64 exec, exec, s[8:9]
	s_load_dwordx2 s[14:15], s[4:5], 0x48
	s_load_dwordx4 s[8:11], s[4:5], 0x38
	s_waitcnt lgkmcnt(0)
	s_barrier
	s_and_saveexec_b64 s[16:17], s[0:1]
	s_cbranch_execnz .LBB35_31
; %bb.29:
	s_or_b64 exec, exec, s[16:17]
	s_and_saveexec_b64 s[0:1], s[2:3]
	s_cbranch_execnz .LBB35_35
.LBB35_30:
	s_endpgm
.LBB35_31:
	s_cmp_eq_u32 s7, 0
	s_cbranch_scc1 .LBB35_39
; %bb.32:
	s_mul_i32 s18, s18, 7
	s_cbranch_execnz .LBB35_34
.LBB35_33:
	s_load_dwordx4 s[20:23], s[4:5], 0x28
	v_ashrrev_i32_e32 v2, 31, v1
	v_lshlrev_b64 v[8:9], 2, v[1:2]
	ds_read2st64_b32 v[6:7], v6 offset1:4
	s_mov_b32 s18, s19
	s_waitcnt lgkmcnt(0)
	v_mov_b32_e32 v0, s21
	v_add_co_u32_e32 v10, vcc, s20, v8
	v_addc_co_u32_e32 v11, vcc, v0, v9, vcc
	v_add_u32_e32 v0, s19, v1
	v_mov_b32_e32 v1, 0
	v_lshlrev_b64 v[0:1], 2, v[0:1]
	global_store_dword v[10:11], v6, off
	v_mov_b32_e32 v2, s21
	v_add_co_u32_e32 v10, vcc, s20, v0
	v_addc_co_u32_e32 v11, vcc, v2, v1, vcc
	ds_read2st64_b32 v[5:6], v5 offset1:4
	global_store_dword v[10:11], v7, off
	v_mov_b32_e32 v2, s23
	v_add_co_u32_e32 v7, vcc, s22, v8
	v_addc_co_u32_e32 v8, vcc, v2, v9, vcc
	v_add_co_u32_e32 v0, vcc, s22, v0
	v_addc_co_u32_e32 v1, vcc, v2, v1, vcc
	s_waitcnt lgkmcnt(0)
	global_store_dword v[7:8], v5, off
	global_store_dword v[0:1], v6, off
.LBB35_34:
	ds_read2st64_b32 v[0:1], v4 offset1:4
	v_ashrrev_i32_e32 v4, 31, v3
	v_lshlrev_b64 v[4:5], 2, v[3:4]
	v_mov_b32_e32 v2, s13
	v_add_co_u32_e32 v4, vcc, s12, v4
	v_addc_co_u32_e32 v5, vcc, v2, v5, vcc
	v_add_u32_e32 v2, s18, v3
	v_mov_b32_e32 v3, 0
	v_lshlrev_b64 v[2:3], 2, v[2:3]
	s_waitcnt lgkmcnt(0)
	global_store_dword v[4:5], v0, off
	v_mov_b32_e32 v0, s13
	v_add_co_u32_e32 v2, vcc, s12, v2
	v_addc_co_u32_e32 v3, vcc, v0, v3, vcc
	global_store_dword v[2:3], v1, off
	s_or_b64 exec, exec, s[16:17]
	s_and_saveexec_b64 s[0:1], s[2:3]
	s_cbranch_execz .LBB35_30
.LBB35_35:
	s_cmp_eq_u32 s7, 0
	s_cbranch_scc1 .LBB35_40
; %bb.36:
	s_load_dword s2, s[4:5], 0x50
	s_cbranch_execnz .LBB35_38
.LBB35_37:
	v_mov_b32_e32 v0, 0x7fc
	ds_read2_b32 v[0:1], v0 offset1:1
	s_waitcnt lgkmcnt(0)
	s_load_dword s2, s[4:5], 0x50
	s_mov_b32 s0, s7
	s_ashr_i32 s7, s6, 31
	s_lshl_b64 s[12:13], s[6:7], 2
	s_mov_b32 s7, s0
	s_add_u32 s0, s10, s12
	s_addc_u32 s1, s11, s13
	v_mov_b32_e32 v2, 0
	ds_read_b32 v3, v2 offset:4092
	ds_read_b32 v4, v2
	global_store_dword v2, v1, s[0:1]
	s_waitcnt lgkmcnt(0)
	s_add_i32 s0, s2, s6
	s_mov_b32 s1, 0
	s_lshl_b64 s[0:1], s[0:1], 2
	s_add_u32 s4, s10, s0
	s_addc_u32 s5, s11, s1
	global_store_dword v2, v3, s[4:5]
	s_add_u32 s4, s14, s12
	s_addc_u32 s5, s15, s13
	s_add_u32 s0, s14, s0
	s_addc_u32 s1, s15, s1
	global_store_dword v2, v4, s[4:5]
	global_store_dword v2, v0, s[0:1]
.LBB35_38:
	s_waitcnt lgkmcnt(0)
	s_mul_i32 s0, s2, s7
	s_lshl_b32 s0, s0, 1
	s_add_i32 s0, s0, s6
	s_mov_b32 s1, 0
	v_mov_b32_e32 v0, 0
	s_lshl_b64 s[4:5], s[0:1], 2
	ds_read_b32 v1, v0 offset:4096
	ds_read_b32 v2, v0 offset:6140
	s_add_u32 s4, s8, s4
	s_addc_u32 s5, s9, s5
	s_add_i32 s0, s0, s2
	s_lshl_b64 s[0:1], s[0:1], 2
	s_add_u32 s0, s8, s0
	s_addc_u32 s1, s9, s1
	s_waitcnt lgkmcnt(1)
	global_store_dword v0, v1, s[4:5]
	s_waitcnt lgkmcnt(0)
	global_store_dword v0, v2, s[0:1]
	s_endpgm
.LBB35_39:
                                        ; implicit-def: $sgpr18
	s_branch .LBB35_33
.LBB35_40:
                                        ; implicit-def: $sgpr2
	s_branch .LBB35_37
	.section	.rodata,"a",@progbits
	.p2align	6, 0x0
	.amdhsa_kernel _ZN9rocsparseL29gtsv_spike_block_level_kernelILj256ELj8EfEEviiiPT1_PKS1_S4_S2_S2_S2_S2_S2_
		.amdhsa_group_segment_fixed_size 6144
		.amdhsa_private_segment_fixed_size 0
		.amdhsa_kernarg_size 336
		.amdhsa_user_sgpr_count 6
		.amdhsa_user_sgpr_private_segment_buffer 1
		.amdhsa_user_sgpr_dispatch_ptr 0
		.amdhsa_user_sgpr_queue_ptr 0
		.amdhsa_user_sgpr_kernarg_segment_ptr 1
		.amdhsa_user_sgpr_dispatch_id 0
		.amdhsa_user_sgpr_flat_scratch_init 0
		.amdhsa_user_sgpr_private_segment_size 0
		.amdhsa_uses_dynamic_stack 0
		.amdhsa_system_sgpr_private_segment_wavefront_offset 0
		.amdhsa_system_sgpr_workgroup_id_x 1
		.amdhsa_system_sgpr_workgroup_id_y 1
		.amdhsa_system_sgpr_workgroup_id_z 0
		.amdhsa_system_sgpr_workgroup_info 0
		.amdhsa_system_vgpr_workitem_id 0
		.amdhsa_next_free_vgpr 24
		.amdhsa_next_free_sgpr 24
		.amdhsa_reserve_vcc 1
		.amdhsa_reserve_flat_scratch 0
		.amdhsa_float_round_mode_32 0
		.amdhsa_float_round_mode_16_64 0
		.amdhsa_float_denorm_mode_32 3
		.amdhsa_float_denorm_mode_16_64 3
		.amdhsa_dx10_clamp 1
		.amdhsa_ieee_mode 1
		.amdhsa_fp16_overflow 0
		.amdhsa_exception_fp_ieee_invalid_op 0
		.amdhsa_exception_fp_denorm_src 0
		.amdhsa_exception_fp_ieee_div_zero 0
		.amdhsa_exception_fp_ieee_overflow 0
		.amdhsa_exception_fp_ieee_underflow 0
		.amdhsa_exception_fp_ieee_inexact 0
		.amdhsa_exception_int_div_zero 0
	.end_amdhsa_kernel
	.section	.text._ZN9rocsparseL29gtsv_spike_block_level_kernelILj256ELj8EfEEviiiPT1_PKS1_S4_S2_S2_S2_S2_S2_,"axG",@progbits,_ZN9rocsparseL29gtsv_spike_block_level_kernelILj256ELj8EfEEviiiPT1_PKS1_S4_S2_S2_S2_S2_S2_,comdat
.Lfunc_end35:
	.size	_ZN9rocsparseL29gtsv_spike_block_level_kernelILj256ELj8EfEEviiiPT1_PKS1_S4_S2_S2_S2_S2_S2_, .Lfunc_end35-_ZN9rocsparseL29gtsv_spike_block_level_kernelILj256ELj8EfEEviiiPT1_PKS1_S4_S2_S2_S2_S2_S2_
                                        ; -- End function
	.set _ZN9rocsparseL29gtsv_spike_block_level_kernelILj256ELj8EfEEviiiPT1_PKS1_S4_S2_S2_S2_S2_S2_.num_vgpr, 24
	.set _ZN9rocsparseL29gtsv_spike_block_level_kernelILj256ELj8EfEEviiiPT1_PKS1_S4_S2_S2_S2_S2_S2_.num_agpr, 0
	.set _ZN9rocsparseL29gtsv_spike_block_level_kernelILj256ELj8EfEEviiiPT1_PKS1_S4_S2_S2_S2_S2_S2_.numbered_sgpr, 24
	.set _ZN9rocsparseL29gtsv_spike_block_level_kernelILj256ELj8EfEEviiiPT1_PKS1_S4_S2_S2_S2_S2_S2_.num_named_barrier, 0
	.set _ZN9rocsparseL29gtsv_spike_block_level_kernelILj256ELj8EfEEviiiPT1_PKS1_S4_S2_S2_S2_S2_S2_.private_seg_size, 0
	.set _ZN9rocsparseL29gtsv_spike_block_level_kernelILj256ELj8EfEEviiiPT1_PKS1_S4_S2_S2_S2_S2_S2_.uses_vcc, 1
	.set _ZN9rocsparseL29gtsv_spike_block_level_kernelILj256ELj8EfEEviiiPT1_PKS1_S4_S2_S2_S2_S2_S2_.uses_flat_scratch, 0
	.set _ZN9rocsparseL29gtsv_spike_block_level_kernelILj256ELj8EfEEviiiPT1_PKS1_S4_S2_S2_S2_S2_S2_.has_dyn_sized_stack, 0
	.set _ZN9rocsparseL29gtsv_spike_block_level_kernelILj256ELj8EfEEviiiPT1_PKS1_S4_S2_S2_S2_S2_S2_.has_recursion, 0
	.set _ZN9rocsparseL29gtsv_spike_block_level_kernelILj256ELj8EfEEviiiPT1_PKS1_S4_S2_S2_S2_S2_S2_.has_indirect_call, 0
	.section	.AMDGPU.csdata,"",@progbits
; Kernel info:
; codeLenInByte = 3864
; TotalNumSgprs: 28
; NumVgprs: 24
; ScratchSize: 0
; MemoryBound: 0
; FloatMode: 240
; IeeeMode: 1
; LDSByteSize: 6144 bytes/workgroup (compile time only)
; SGPRBlocks: 3
; VGPRBlocks: 5
; NumSGPRsForWavesPerEU: 28
; NumVGPRsForWavesPerEU: 24
; Occupancy: 10
; WaveLimiterHint : 0
; COMPUTE_PGM_RSRC2:SCRATCH_EN: 0
; COMPUTE_PGM_RSRC2:USER_SGPR: 6
; COMPUTE_PGM_RSRC2:TRAP_HANDLER: 0
; COMPUTE_PGM_RSRC2:TGID_X_EN: 1
; COMPUTE_PGM_RSRC2:TGID_Y_EN: 1
; COMPUTE_PGM_RSRC2:TGID_Z_EN: 0
; COMPUTE_PGM_RSRC2:TIDIG_COMP_CNT: 0
	.section	.text._ZN9rocsparseL33gtsv_solve_spike_propagate_kernelILj256ELj8EfEEviiiPT1_PKS1_S4_S4_,"axG",@progbits,_ZN9rocsparseL33gtsv_solve_spike_propagate_kernelILj256ELj8EfEEviiiPT1_PKS1_S4_S4_,comdat
	.globl	_ZN9rocsparseL33gtsv_solve_spike_propagate_kernelILj256ELj8EfEEviiiPT1_PKS1_S4_S4_ ; -- Begin function _ZN9rocsparseL33gtsv_solve_spike_propagate_kernelILj256ELj8EfEEviiiPT1_PKS1_S4_S4_
	.p2align	8
	.type	_ZN9rocsparseL33gtsv_solve_spike_propagate_kernelILj256ELj8EfEEviiiPT1_PKS1_S4_S4_,@function
_ZN9rocsparseL33gtsv_solve_spike_propagate_kernelILj256ELj8EfEEviiiPT1_PKS1_S4_S4_: ; @_ZN9rocsparseL33gtsv_solve_spike_propagate_kernelILj256ELj8EfEEviiiPT1_PKS1_S4_S4_
; %bb.0:
	s_load_dword s10, s[4:5], 0x0
	v_lshl_or_b32 v1, s6, 8, v0
	v_mov_b32_e32 v4, 0
	v_ashrrev_i32_e32 v2, 31, v1
	v_mov_b32_e32 v5, 0
	s_waitcnt lgkmcnt(0)
	s_lshr_b32 s12, s10, 3
	v_cmp_le_i32_e64 s[0:1], s12, v1
	v_cmp_gt_i32_e32 vcc, s12, v1
	s_and_saveexec_b64 s[8:9], vcc
	s_cbranch_execz .LBB36_2
; %bb.1:
	s_load_dwordx2 s[14:15], s[4:5], 0x18
	v_lshlrev_b64 v[3:4], 2, v[1:2]
	v_mad_u64_u32 v[5:6], s[2:3], s12, 7, v[1:2]
	s_waitcnt lgkmcnt(0)
	v_mov_b32_e32 v6, s15
	v_add_co_u32_e64 v7, s[2:3], s14, v3
	v_addc_co_u32_e64 v8, s[2:3], v6, v4, s[2:3]
	v_mov_b32_e32 v6, 0
	v_lshlrev_b64 v[3:4], 2, v[5:6]
	v_mov_b32_e32 v5, s15
	v_add_co_u32_e64 v9, s[2:3], s14, v3
	v_addc_co_u32_e64 v10, s[2:3], v5, v4, s[2:3]
	global_load_dword v4, v[7:8], off
	global_load_dword v5, v[9:10], off
.LBB36_2:
	s_or_b64 exec, exec, s[8:9]
	s_load_dwordx2 s[2:3], s[4:5], 0x10
	v_lshlrev_b32_e32 v3, 2, v0
	v_add_u32_e32 v6, 16, v3
	s_waitcnt vmcnt(0)
	ds_write2st64_b32 v6, v4, v5 offset0:16 offset1:20
	s_and_saveexec_b64 s[8:9], s[0:1]
	s_xor_b64 s[0:1], exec, s[8:9]
; %bb.3:
	v_mov_b32_e32 v2, 0
	ds_write2st64_b32 v6, v2, v2 offset0:8 offset1:12
; %bb.4:
	s_or_saveexec_b64 s[8:9], s[0:1]
	v_mov_b32_e32 v4, 0
	s_mul_i32 s10, s10, s7
	v_mov_b32_e32 v5, 0
	s_xor_b64 exec, exec, s[8:9]
	s_cbranch_execz .LBB36_6
; %bb.5:
	s_load_dwordx2 s[14:15], s[4:5], 0x20
	v_mad_u64_u32 v[7:8], s[0:1], s12, 7, v[1:2]
	v_lshlrev_b64 v[5:6], 2, v[1:2]
	v_mov_b32_e32 v8, 0
	s_waitcnt lgkmcnt(0)
	v_mov_b32_e32 v2, s15
	v_add_co_u32_e64 v5, s[0:1], s14, v5
	v_lshlrev_b64 v[9:10], 2, v[7:8]
	v_addc_co_u32_e64 v6, s[0:1], v2, v6, s[0:1]
	v_add_co_u32_e64 v9, s[0:1], s14, v9
	v_add_u32_e32 v7, s10, v7
	v_addc_co_u32_e64 v10, s[0:1], v2, v10, s[0:1]
	global_load_dword v2, v[5:6], off
	global_load_dword v11, v[9:10], off
	v_lshlrev_b64 v[5:6], 2, v[7:8]
	v_mov_b32_e32 v7, s3
	v_add_co_u32_e64 v5, s[0:1], s2, v5
	v_addc_co_u32_e64 v6, s[0:1], v7, v6, s[0:1]
	global_load_dword v5, v[5:6], off
	v_add_u32_e32 v6, 16, v3
	s_waitcnt vmcnt(1)
	ds_write2st64_b32 v6, v2, v11 offset0:8 offset1:12
.LBB36_6:
	s_or_b64 exec, exec, s[8:9]
	v_add_u32_e32 v1, s10, v1
	s_waitcnt vmcnt(0)
	ds_write_b32 v3, v5 offset:4
	s_and_saveexec_b64 s[8:9], vcc
	s_cbranch_execz .LBB36_8
; %bb.7:
	v_ashrrev_i32_e32 v2, 31, v1
	v_lshlrev_b64 v[4:5], 2, v[1:2]
	s_waitcnt lgkmcnt(0)
	v_mov_b32_e32 v2, s3
	v_add_co_u32_e64 v4, s[0:1], s2, v4
	v_addc_co_u32_e64 v5, s[0:1], v2, v5, s[0:1]
	global_load_dword v4, v[4:5], off
.LBB36_8:
	s_or_b64 exec, exec, s[8:9]
	s_mov_b32 s14, 0
	v_cmp_eq_u32_e64 s[0:1], 0, v0
	s_waitcnt vmcnt(0)
	ds_write_b32 v3, v4 offset:1028
	s_waitcnt lgkmcnt(0)
	s_barrier
	s_and_saveexec_b64 s[8:9], s[0:1]
	s_cbranch_execz .LBB36_14
; %bb.9:
	s_load_dword s13, s[4:5], 0x30
	s_load_dwordx2 s[10:11], s[4:5], 0x28
	s_cmp_lt_i32 s6, 1
	s_waitcnt lgkmcnt(0)
	s_mul_i32 s7, s7, s13
	s_cbranch_scc1 .LBB36_11
; %bb.10:
	s_lshl_b32 s4, s7, 1
	s_add_i32 s5, s6, s13
	s_add_i32 s4, s5, s4
	s_add_i32 s4, s4, -1
	s_mov_b32 s5, 0
	s_lshl_b64 s[4:5], s[4:5], 2
	s_add_u32 s4, s10, s4
	s_addc_u32 s5, s11, s5
	s_load_dword s14, s[4:5], 0x0
.LBB36_11:
	s_add_i32 s4, s13, -1
	v_mov_b32_e32 v2, 0
	s_waitcnt lgkmcnt(0)
	v_mov_b32_e32 v4, s14
	s_mov_b32 s5, 0
	s_cmp_ge_u32 s6, s4
	s_mov_b32 s14, 0
	ds_write_b32 v2, v4
	s_cbranch_scc1 .LBB36_13
; %bb.12:
	s_lshl_b32 s4, s7, 1
	s_add_i32 s4, s6, s4
	s_add_i32 s14, s4, 1
	s_mov_b32 s15, 0
	s_lshl_b64 s[14:15], s[14:15], 2
	s_add_u32 s14, s10, s14
	s_addc_u32 s15, s11, s15
	s_load_dword s14, s[14:15], 0x0
.LBB36_13:
	s_lshl_b32 s4, s7, 1
	s_add_i32 s4, s4, s6
	s_lshl_b64 s[6:7], s[4:5], 2
	s_add_u32 s6, s10, s6
	s_addc_u32 s7, s11, s7
	s_add_i32 s4, s4, s13
	s_lshl_b64 s[4:5], s[4:5], 2
	s_add_u32 s4, s10, s4
	s_addc_u32 s5, s11, s5
	s_load_dword s10, s[4:5], 0x0
	s_load_dword s11, s[6:7], 0x0
	s_waitcnt lgkmcnt(0)
	v_mov_b32_e32 v4, s14
	ds_write_b32 v2, v4 offset:2052
	v_mov_b32_e32 v4, s10
	v_mov_b32_e32 v5, s11
	ds_write_b64 v2, v[4:5] offset:1024
.LBB36_14:
	s_or_b64 exec, exec, s[8:9]
	s_waitcnt lgkmcnt(0)
	s_barrier
	s_and_saveexec_b64 s[4:5], s[0:1]
	s_cbranch_execz .LBB36_16
; %bb.15:
	s_movk_i32 s0, 0xa10
	v_mov_b32_e32 v2, 0
	v_add_u32_e64 v6, s0, 0
	v_add_u32_e64 v8, 4, 0
	s_movk_i32 s0, 0x1210
	ds_read2st64_b32 v[4:5], v2 offset1:2
	ds_read2_b32 v[6:7], v6 offset1:255
	ds_read2st64_b32 v[8:9], v8 offset0:6 offset1:8
	v_add_u32_e64 v10, s0, 0
	ds_read2_b32 v[10:11], v10 offset1:255
	s_waitcnt lgkmcnt(1)
	v_fma_f32 v5, -v7, v9, v5
	s_waitcnt lgkmcnt(0)
	v_fma_f32 v5, -v11, v4, v5
	ds_write_b32 v2, v5 offset:512
	v_fma_f32 v5, -v6, v9, v8
	v_fma_f32 v4, -v10, v4, v5
	ds_write_b32 v2, v4 offset:1540
.LBB36_16:
	s_or_b64 exec, exec, s[4:5]
	v_cmp_gt_u32_e64 s[0:1], 2, v0
	s_waitcnt lgkmcnt(0)
	s_barrier
	s_and_saveexec_b64 s[4:5], s[0:1]
	s_cbranch_execz .LBB36_18
; %bb.17:
	s_movk_i32 s0, 0x1fc
	v_mad_u32_u24 v2, v0, s0, v3
	v_lshlrev_b32_e32 v10, 9, v0
	v_add_u32_e32 v6, 0x910, v10
	v_add_u32_e32 v8, 4, v2
	ds_read2st64_b32 v[4:5], v2 offset1:1
	ds_read2_b32 v[6:7], v6 offset1:255
	ds_read2st64_b32 v[8:9], v8 offset0:5 offset1:6
	v_add_u32_e32 v10, 0x1110, v10
	ds_read2_b32 v[10:11], v10 offset1:255
	s_waitcnt lgkmcnt(1)
	v_fma_f32 v5, -v7, v9, v5
	s_waitcnt lgkmcnt(0)
	v_fma_f32 v5, -v11, v4, v5
	ds_write_b32 v2, v5 offset:256
	v_fma_f32 v5, -v6, v9, v8
	v_fma_f32 v4, -v10, v4, v5
	ds_write_b32 v2, v4 offset:1284
.LBB36_18:
	s_or_b64 exec, exec, s[4:5]
	v_cmp_gt_u32_e64 s[0:1], 4, v0
	s_waitcnt lgkmcnt(0)
	s_barrier
	s_and_saveexec_b64 s[4:5], s[0:1]
	s_cbranch_execz .LBB36_20
; %bb.19:
	v_lshlrev_b32_e32 v2, 8, v0
	v_add_u32_e32 v6, 0x890, v2
	v_add_u32_e32 v8, 0x400, v2
	ds_read2_b32 v[4:5], v2 offset1:32
	ds_read2_b32 v[6:7], v6 offset1:255
	ds_read2_b32 v[8:9], v8 offset0:33 offset1:65
	v_add_u32_e32 v10, 0x1090, v2
	ds_read2_b32 v[10:11], v10 offset1:255
	s_waitcnt lgkmcnt(1)
	v_fma_f32 v5, -v7, v9, v5
	s_waitcnt lgkmcnt(0)
	v_fma_f32 v5, -v11, v4, v5
	ds_write_b32 v2, v5 offset:128
	v_fma_f32 v5, -v6, v9, v8
	v_fma_f32 v4, -v10, v4, v5
	ds_write_b32 v2, v4 offset:1156
.LBB36_20:
	s_or_b64 exec, exec, s[4:5]
	v_cmp_gt_u32_e64 s[0:1], 8, v0
	s_waitcnt lgkmcnt(0)
	s_barrier
	s_and_saveexec_b64 s[4:5], s[0:1]
	s_cbranch_execz .LBB36_22
; %bb.21:
	v_lshlrev_b32_e32 v2, 7, v0
	v_add_u32_e32 v6, 0x850, v2
	v_add_u32_e32 v8, 0x400, v2
	ds_read2_b32 v[4:5], v2 offset1:16
	ds_read2_b32 v[6:7], v6 offset1:255
	ds_read2_b32 v[8:9], v8 offset0:17 offset1:33
	v_add_u32_e32 v10, 0x1050, v2
	ds_read2_b32 v[10:11], v10 offset1:255
	s_waitcnt lgkmcnt(1)
	v_fma_f32 v5, -v7, v9, v5
	s_waitcnt lgkmcnt(0)
	v_fma_f32 v5, -v11, v4, v5
	ds_write_b32 v2, v5 offset:64
	v_fma_f32 v5, -v6, v9, v8
	v_fma_f32 v4, -v10, v4, v5
	ds_write_b32 v2, v4 offset:1092
.LBB36_22:
	s_or_b64 exec, exec, s[4:5]
	v_cmp_gt_u32_e64 s[0:1], 16, v0
	s_waitcnt lgkmcnt(0)
	s_barrier
	s_and_saveexec_b64 s[4:5], s[0:1]
	s_cbranch_execz .LBB36_24
; %bb.23:
	v_lshlrev_b32_e32 v2, 6, v0
	v_add_u32_e32 v6, 0x830, v2
	v_add_u32_e32 v8, 0x400, v2
	ds_read2_b32 v[4:5], v2 offset1:8
	ds_read2_b32 v[6:7], v6 offset1:255
	ds_read2_b32 v[8:9], v8 offset0:9 offset1:17
	v_add_u32_e32 v10, 0x1030, v2
	ds_read2_b32 v[10:11], v10 offset1:255
	s_waitcnt lgkmcnt(1)
	v_fma_f32 v5, -v7, v9, v5
	s_waitcnt lgkmcnt(0)
	v_fma_f32 v5, -v11, v4, v5
	ds_write_b32 v2, v5 offset:32
	v_fma_f32 v5, -v6, v9, v8
	v_fma_f32 v4, -v10, v4, v5
	ds_write_b32 v2, v4 offset:1060
.LBB36_24:
	s_or_b64 exec, exec, s[4:5]
	v_cmp_gt_u32_e64 s[0:1], 32, v0
	s_waitcnt lgkmcnt(0)
	s_barrier
	s_and_saveexec_b64 s[4:5], s[0:1]
	s_cbranch_execz .LBB36_26
; %bb.25:
	v_lshlrev_b32_e32 v2, 5, v0
	v_add_u32_e32 v6, 0x820, v2
	v_add_u32_e32 v8, 0x400, v2
	ds_read2_b32 v[4:5], v2 offset1:4
	ds_read2_b32 v[6:7], v6 offset1:255
	ds_read2_b32 v[8:9], v8 offset0:5 offset1:9
	v_add_u32_e32 v10, 0x1020, v2
	ds_read2_b32 v[10:11], v10 offset1:255
	s_waitcnt lgkmcnt(1)
	v_fma_f32 v5, -v7, v9, v5
	s_waitcnt lgkmcnt(0)
	v_fma_f32 v5, -v11, v4, v5
	ds_write_b32 v2, v5 offset:16
	v_fma_f32 v5, -v6, v9, v8
	v_fma_f32 v4, -v10, v4, v5
	ds_write_b32 v2, v4 offset:1044
.LBB36_26:
	s_or_b64 exec, exec, s[4:5]
	v_cmp_gt_u32_e64 s[0:1], 64, v0
	s_waitcnt lgkmcnt(0)
	s_barrier
	s_and_saveexec_b64 s[4:5], s[0:1]
	s_cbranch_execz .LBB36_28
; %bb.27:
	v_lshlrev_b32_e32 v2, 4, v0
	v_add_u32_e32 v6, 0x818, v2
	v_add_u32_e32 v8, 0x400, v2
	ds_read2_b32 v[4:5], v2 offset1:2
	ds_read2_b32 v[6:7], v6 offset1:255
	ds_read2_b32 v[8:9], v8 offset0:3 offset1:5
	v_add_u32_e32 v10, 0x1018, v2
	ds_read2_b32 v[10:11], v10 offset1:255
	s_waitcnt lgkmcnt(1)
	v_fma_f32 v5, -v7, v9, v5
	s_waitcnt lgkmcnt(0)
	v_fma_f32 v5, -v11, v4, v5
	ds_write_b32 v2, v5 offset:8
	v_fma_f32 v5, -v6, v9, v8
	v_fma_f32 v4, -v10, v4, v5
	ds_write_b32 v2, v4 offset:1036
.LBB36_28:
	s_or_b64 exec, exec, s[4:5]
	s_movk_i32 s0, 0x80
	v_cmp_gt_u32_e64 s[0:1], s0, v0
	s_waitcnt lgkmcnt(0)
	s_barrier
	s_and_saveexec_b64 s[4:5], s[0:1]
	s_cbranch_execz .LBB36_30
; %bb.29:
	v_lshlrev_b32_e32 v0, 3, v0
	v_add_u32_e32 v2, 0x814, v0
	ds_read2_b64 v[4:7], v0 offset1:129
	ds_read2_b32 v[8:9], v2 offset1:255
	v_add_u32_e32 v2, 0x1014, v0
	ds_read2_b32 v[10:11], v2 offset1:255
	s_waitcnt lgkmcnt(1)
	v_fma_f32 v2, -v9, v7, v5
	v_fma_f32 v5, -v8, v7, v6
	s_waitcnt lgkmcnt(0)
	v_fma_f32 v2, -v11, v4, v2
	ds_write_b32 v0, v2 offset:4
	v_fma_f32 v2, -v10, v4, v5
	ds_write_b32 v0, v2 offset:1032
.LBB36_30:
	s_or_b64 exec, exec, s[4:5]
	s_waitcnt lgkmcnt(0)
	s_barrier
	s_and_saveexec_b64 s[0:1], vcc
	s_cbranch_execz .LBB36_32
; %bb.31:
	v_add_u32_e32 v0, 4, v3
	ds_read2st64_b32 v[3:4], v0 offset1:4
	v_ashrrev_i32_e32 v2, 31, v1
	v_lshlrev_b64 v[5:6], 2, v[1:2]
	v_mov_b32_e32 v2, s3
	v_mad_u64_u32 v[0:1], s[0:1], s12, 7, v[1:2]
	v_add_co_u32_e32 v1, vcc, s2, v5
	v_addc_co_u32_e32 v2, vcc, v2, v6, vcc
	s_waitcnt lgkmcnt(0)
	global_store_dword v[1:2], v4, off
	v_mov_b32_e32 v1, 0
	v_lshlrev_b64 v[0:1], 2, v[0:1]
	v_mov_b32_e32 v2, s3
	v_add_co_u32_e32 v0, vcc, s2, v0
	v_addc_co_u32_e32 v1, vcc, v2, v1, vcc
	global_store_dword v[0:1], v3, off
.LBB36_32:
	s_endpgm
	.section	.rodata,"a",@progbits
	.p2align	6, 0x0
	.amdhsa_kernel _ZN9rocsparseL33gtsv_solve_spike_propagate_kernelILj256ELj8EfEEviiiPT1_PKS1_S4_S4_
		.amdhsa_group_segment_fixed_size 6160
		.amdhsa_private_segment_fixed_size 0
		.amdhsa_kernarg_size 304
		.amdhsa_user_sgpr_count 6
		.amdhsa_user_sgpr_private_segment_buffer 1
		.amdhsa_user_sgpr_dispatch_ptr 0
		.amdhsa_user_sgpr_queue_ptr 0
		.amdhsa_user_sgpr_kernarg_segment_ptr 1
		.amdhsa_user_sgpr_dispatch_id 0
		.amdhsa_user_sgpr_flat_scratch_init 0
		.amdhsa_user_sgpr_private_segment_size 0
		.amdhsa_uses_dynamic_stack 0
		.amdhsa_system_sgpr_private_segment_wavefront_offset 0
		.amdhsa_system_sgpr_workgroup_id_x 1
		.amdhsa_system_sgpr_workgroup_id_y 1
		.amdhsa_system_sgpr_workgroup_id_z 0
		.amdhsa_system_sgpr_workgroup_info 0
		.amdhsa_system_vgpr_workitem_id 0
		.amdhsa_next_free_vgpr 12
		.amdhsa_next_free_sgpr 16
		.amdhsa_reserve_vcc 1
		.amdhsa_reserve_flat_scratch 0
		.amdhsa_float_round_mode_32 0
		.amdhsa_float_round_mode_16_64 0
		.amdhsa_float_denorm_mode_32 3
		.amdhsa_float_denorm_mode_16_64 3
		.amdhsa_dx10_clamp 1
		.amdhsa_ieee_mode 1
		.amdhsa_fp16_overflow 0
		.amdhsa_exception_fp_ieee_invalid_op 0
		.amdhsa_exception_fp_denorm_src 0
		.amdhsa_exception_fp_ieee_div_zero 0
		.amdhsa_exception_fp_ieee_overflow 0
		.amdhsa_exception_fp_ieee_underflow 0
		.amdhsa_exception_fp_ieee_inexact 0
		.amdhsa_exception_int_div_zero 0
	.end_amdhsa_kernel
	.section	.text._ZN9rocsparseL33gtsv_solve_spike_propagate_kernelILj256ELj8EfEEviiiPT1_PKS1_S4_S4_,"axG",@progbits,_ZN9rocsparseL33gtsv_solve_spike_propagate_kernelILj256ELj8EfEEviiiPT1_PKS1_S4_S4_,comdat
.Lfunc_end36:
	.size	_ZN9rocsparseL33gtsv_solve_spike_propagate_kernelILj256ELj8EfEEviiiPT1_PKS1_S4_S4_, .Lfunc_end36-_ZN9rocsparseL33gtsv_solve_spike_propagate_kernelILj256ELj8EfEEviiiPT1_PKS1_S4_S4_
                                        ; -- End function
	.set _ZN9rocsparseL33gtsv_solve_spike_propagate_kernelILj256ELj8EfEEviiiPT1_PKS1_S4_S4_.num_vgpr, 12
	.set _ZN9rocsparseL33gtsv_solve_spike_propagate_kernelILj256ELj8EfEEviiiPT1_PKS1_S4_S4_.num_agpr, 0
	.set _ZN9rocsparseL33gtsv_solve_spike_propagate_kernelILj256ELj8EfEEviiiPT1_PKS1_S4_S4_.numbered_sgpr, 16
	.set _ZN9rocsparseL33gtsv_solve_spike_propagate_kernelILj256ELj8EfEEviiiPT1_PKS1_S4_S4_.num_named_barrier, 0
	.set _ZN9rocsparseL33gtsv_solve_spike_propagate_kernelILj256ELj8EfEEviiiPT1_PKS1_S4_S4_.private_seg_size, 0
	.set _ZN9rocsparseL33gtsv_solve_spike_propagate_kernelILj256ELj8EfEEviiiPT1_PKS1_S4_S4_.uses_vcc, 1
	.set _ZN9rocsparseL33gtsv_solve_spike_propagate_kernelILj256ELj8EfEEviiiPT1_PKS1_S4_S4_.uses_flat_scratch, 0
	.set _ZN9rocsparseL33gtsv_solve_spike_propagate_kernelILj256ELj8EfEEviiiPT1_PKS1_S4_S4_.has_dyn_sized_stack, 0
	.set _ZN9rocsparseL33gtsv_solve_spike_propagate_kernelILj256ELj8EfEEviiiPT1_PKS1_S4_S4_.has_recursion, 0
	.set _ZN9rocsparseL33gtsv_solve_spike_propagate_kernelILj256ELj8EfEEviiiPT1_PKS1_S4_S4_.has_indirect_call, 0
	.section	.AMDGPU.csdata,"",@progbits
; Kernel info:
; codeLenInByte = 1984
; TotalNumSgprs: 20
; NumVgprs: 12
; ScratchSize: 0
; MemoryBound: 0
; FloatMode: 240
; IeeeMode: 1
; LDSByteSize: 6160 bytes/workgroup (compile time only)
; SGPRBlocks: 2
; VGPRBlocks: 2
; NumSGPRsForWavesPerEU: 20
; NumVGPRsForWavesPerEU: 12
; Occupancy: 10
; WaveLimiterHint : 0
; COMPUTE_PGM_RSRC2:SCRATCH_EN: 0
; COMPUTE_PGM_RSRC2:USER_SGPR: 6
; COMPUTE_PGM_RSRC2:TRAP_HANDLER: 0
; COMPUTE_PGM_RSRC2:TGID_X_EN: 1
; COMPUTE_PGM_RSRC2:TGID_Y_EN: 1
; COMPUTE_PGM_RSRC2:TGID_Z_EN: 0
; COMPUTE_PGM_RSRC2:TIDIG_COMP_CNT: 0
	.section	.text._ZN9rocsparseL39gtsv_spike_backward_substitution_kernelILj256ELj8EfEEviiiPT1_PKS1_S4_,"axG",@progbits,_ZN9rocsparseL39gtsv_spike_backward_substitution_kernelILj256ELj8EfEEviiiPT1_PKS1_S4_,comdat
	.globl	_ZN9rocsparseL39gtsv_spike_backward_substitution_kernelILj256ELj8EfEEviiiPT1_PKS1_S4_ ; -- Begin function _ZN9rocsparseL39gtsv_spike_backward_substitution_kernelILj256ELj8EfEEviiiPT1_PKS1_S4_
	.p2align	8
	.type	_ZN9rocsparseL39gtsv_spike_backward_substitution_kernelILj256ELj8EfEEviiiPT1_PKS1_S4_,@function
_ZN9rocsparseL39gtsv_spike_backward_substitution_kernelILj256ELj8EfEEviiiPT1_PKS1_S4_: ; @_ZN9rocsparseL39gtsv_spike_backward_substitution_kernelILj256ELj8EfEEviiiPT1_PKS1_S4_
; %bb.0:
	s_load_dword s11, s[4:5], 0x0
	v_lshl_or_b32 v3, s6, 8, v0
	s_waitcnt lgkmcnt(0)
	s_lshr_b32 s6, s11, 3
	v_cmp_gt_i32_e32 vcc, s6, v3
	s_and_saveexec_b64 s[0:1], vcc
	s_cbranch_execz .LBB37_6
; %bb.1:
	s_load_dwordx2 s[8:9], s[4:5], 0x10
	v_cmp_lt_i32_e32 vcc, 0, v3
	v_mov_b32_e32 v0, 0
	s_mul_i32 s10, s11, s7
	s_and_saveexec_b64 s[0:1], vcc
	s_cbranch_execz .LBB37_3
; %bb.2:
	s_mul_i32 s2, s6, 7
	s_mul_i32 s3, s11, s7
	s_add_i32 s2, s2, s3
	v_add3_u32 v0, v3, s2, -1
	v_mov_b32_e32 v1, 0
	v_lshlrev_b64 v[0:1], 2, v[0:1]
	s_waitcnt lgkmcnt(0)
	v_mov_b32_e32 v2, s9
	v_add_co_u32_e32 v0, vcc, s8, v0
	v_addc_co_u32_e32 v1, vcc, v2, v1, vcc
	global_load_dword v0, v[0:1], off
.LBB37_3:
	s_or_b64 exec, exec, s[0:1]
	s_load_dwordx4 s[0:3], s[4:5], 0x18
	v_add_u32_e32 v1, 8, v3
	v_cmp_le_u32_e32 vcc, s11, v1
	s_and_saveexec_b64 s[4:5], vcc
	s_xor_b64 s[4:5], exec, s[4:5]
	s_or_saveexec_b64 s[4:5], s[4:5]
	v_mov_b32_e32 v1, 0
	v_mov_b32_e32 v2, s10
	s_xor_b64 exec, exec, s[4:5]
	s_cbranch_execz .LBB37_5
; %bb.4:
	s_ashr_i32 s7, s10, 31
	v_ashrrev_i32_e32 v2, 31, v3
	v_mov_b32_e32 v4, s7
	v_add_co_u32_e32 v1, vcc, s10, v3
	v_addc_co_u32_e32 v2, vcc, v2, v4, vcc
	v_lshlrev_b64 v[1:2], 2, v[1:2]
	s_waitcnt lgkmcnt(0)
	v_mov_b32_e32 v4, s9
	v_add_co_u32_e32 v1, vcc, s8, v1
	v_addc_co_u32_e32 v2, vcc, v4, v2, vcc
	global_load_dword v1, v[1:2], off offset:4
	v_mov_b32_e32 v2, s10
.LBB37_5:
	s_or_b64 exec, exec, s[4:5]
	v_add_u32_e32 v3, s6, v3
	v_add_u32_e32 v4, v3, v2
	v_ashrrev_i32_e32 v5, 31, v4
	v_lshlrev_b64 v[4:5], 2, v[4:5]
	s_waitcnt lgkmcnt(0)
	v_mov_b32_e32 v7, s9
	v_add_co_u32_e32 v6, vcc, s8, v4
	v_ashrrev_i32_e32 v4, 31, v3
	v_addc_co_u32_e32 v7, vcc, v7, v5, vcc
	v_lshlrev_b64 v[4:5], 2, v[3:4]
	v_mov_b32_e32 v9, s1
	v_add_co_u32_e32 v8, vcc, s0, v4
	v_addc_co_u32_e32 v9, vcc, v9, v5, vcc
	global_load_dword v13, v[8:9], off
	v_mov_b32_e32 v8, s3
	v_add_co_u32_e32 v4, vcc, s2, v4
	global_load_dword v12, v[6:7], off
	v_addc_co_u32_e32 v5, vcc, v8, v5, vcc
	global_load_dword v14, v[4:5], off
	v_add_u32_e32 v3, s6, v3
	v_ashrrev_i32_e32 v4, 31, v3
	v_lshlrev_b64 v[4:5], 2, v[3:4]
	v_mov_b32_e32 v11, s1
	v_add_u32_e32 v8, v3, v2
	v_add_co_u32_e32 v10, vcc, s0, v4
	v_ashrrev_i32_e32 v9, 31, v8
	v_addc_co_u32_e32 v11, vcc, v11, v5, vcc
	v_mov_b32_e32 v16, s3
	v_lshlrev_b64 v[8:9], 2, v[8:9]
	v_add_co_u32_e32 v4, vcc, s2, v4
	v_addc_co_u32_e32 v5, vcc, v16, v5, vcc
	v_mov_b32_e32 v15, s9
	v_add_co_u32_e32 v8, vcc, s8, v8
	v_addc_co_u32_e32 v9, vcc, v15, v9, vcc
	global_load_dword v15, v[10:11], off
	v_add_u32_e32 v3, s6, v3
	v_mov_b32_e32 v18, s3
	v_mov_b32_e32 v17, s9
	s_waitcnt vmcnt(2)
	v_fma_f32 v10, -v0, v13, v12
	s_waitcnt vmcnt(1)
	v_fma_f32 v10, -v1, v14, v10
	global_store_dword v[6:7], v10, off
	global_load_dword v12, v[8:9], off
	global_load_dword v13, v[4:5], off
	v_ashrrev_i32_e32 v4, 31, v3
	v_add_u32_e32 v5, v3, v2
	v_lshlrev_b64 v[10:11], 2, v[3:4]
	v_ashrrev_i32_e32 v6, 31, v5
	v_mov_b32_e32 v7, s1
	v_lshlrev_b64 v[4:5], 2, v[5:6]
	v_add_co_u32_e32 v6, vcc, s0, v10
	v_addc_co_u32_e32 v7, vcc, v7, v11, vcc
	v_add_co_u32_e32 v10, vcc, s2, v10
	v_addc_co_u32_e32 v11, vcc, v16, v11, vcc
	v_mov_b32_e32 v14, s9
	v_add_co_u32_e32 v4, vcc, s8, v4
	v_addc_co_u32_e32 v5, vcc, v14, v5, vcc
	global_load_dword v14, v[6:7], off
	s_waitcnt vmcnt(2)
	v_fma_f32 v6, -v0, v15, v12
	s_waitcnt vmcnt(1)
	v_fma_f32 v6, -v1, v13, v6
	global_store_dword v[8:9], v6, off
	global_load_dword v15, v[4:5], off
	global_load_dword v16, v[10:11], off
	v_add_u32_e32 v6, s6, v3
	v_ashrrev_i32_e32 v7, 31, v6
	v_lshlrev_b64 v[10:11], 2, v[6:7]
	v_mov_b32_e32 v13, s1
	v_add_u32_e32 v8, v6, v2
	v_add_co_u32_e32 v12, vcc, s0, v10
	v_ashrrev_i32_e32 v9, 31, v8
	v_addc_co_u32_e32 v13, vcc, v13, v11, vcc
	v_lshlrev_b64 v[7:8], 2, v[8:9]
	v_add_co_u32_e32 v9, vcc, s2, v10
	v_addc_co_u32_e32 v10, vcc, v18, v11, vcc
	v_add_co_u32_e32 v7, vcc, s8, v7
	v_addc_co_u32_e32 v8, vcc, v17, v8, vcc
	global_load_dword v13, v[12:13], off
	v_mov_b32_e32 v12, s1
	v_mov_b32_e32 v17, s3
	s_waitcnt vmcnt(2)
	v_fma_f32 v3, -v0, v14, v15
	s_waitcnt vmcnt(1)
	v_fma_f32 v3, -v1, v16, v3
	global_store_dword v[4:5], v3, off
	global_load_dword v14, v[7:8], off
	global_load_dword v15, v[9:10], off
	v_add_u32_e32 v3, s6, v6
	v_ashrrev_i32_e32 v4, 31, v3
	v_lshlrev_b64 v[9:10], 2, v[3:4]
	v_add_u32_e32 v5, v3, v2
	v_add_co_u32_e32 v11, vcc, s0, v9
	v_ashrrev_i32_e32 v6, 31, v5
	v_addc_co_u32_e32 v12, vcc, v12, v10, vcc
	v_lshlrev_b64 v[4:5], 2, v[5:6]
	v_add_co_u32_e32 v9, vcc, s2, v9
	v_addc_co_u32_e32 v10, vcc, v17, v10, vcc
	v_mov_b32_e32 v16, s9
	v_add_co_u32_e32 v4, vcc, s8, v4
	v_addc_co_u32_e32 v5, vcc, v16, v5, vcc
	global_load_dword v11, v[11:12], off
	s_waitcnt vmcnt(2)
	v_fma_f32 v6, -v0, v13, v14
	s_waitcnt vmcnt(1)
	v_fma_f32 v6, -v1, v15, v6
	global_store_dword v[7:8], v6, off
	global_load_dword v12, v[4:5], off
	global_load_dword v13, v[9:10], off
	v_add_u32_e32 v6, s6, v3
	v_ashrrev_i32_e32 v7, 31, v6
	v_add_u32_e32 v2, v6, v2
	v_lshlrev_b64 v[6:7], 2, v[6:7]
	v_ashrrev_i32_e32 v3, 31, v2
	v_mov_b32_e32 v9, s1
	v_lshlrev_b64 v[2:3], 2, v[2:3]
	v_add_co_u32_e32 v8, vcc, s0, v6
	v_addc_co_u32_e32 v9, vcc, v9, v7, vcc
	v_mov_b32_e32 v10, s9
	v_add_co_u32_e32 v2, vcc, s8, v2
	global_load_dword v8, v[8:9], off
	v_addc_co_u32_e32 v3, vcc, v10, v3, vcc
	v_mov_b32_e32 v14, s3
	s_waitcnt vmcnt(2)
	v_fma_f32 v9, -v0, v11, v12
	s_waitcnt vmcnt(1)
	v_fma_f32 v9, -v1, v13, v9
	global_store_dword v[4:5], v9, off
	v_add_co_u32_e32 v4, vcc, s2, v6
	global_load_dword v9, v[2:3], off
	v_addc_co_u32_e32 v5, vcc, v14, v7, vcc
	global_load_dword v4, v[4:5], off
	s_waitcnt vmcnt(1)
	v_fma_f32 v0, -v0, v8, v9
	s_waitcnt vmcnt(0)
	v_fma_f32 v0, -v1, v4, v0
	global_store_dword v[2:3], v0, off
.LBB37_6:
	s_endpgm
	.section	.rodata,"a",@progbits
	.p2align	6, 0x0
	.amdhsa_kernel _ZN9rocsparseL39gtsv_spike_backward_substitution_kernelILj256ELj8EfEEviiiPT1_PKS1_S4_
		.amdhsa_group_segment_fixed_size 0
		.amdhsa_private_segment_fixed_size 0
		.amdhsa_kernarg_size 40
		.amdhsa_user_sgpr_count 6
		.amdhsa_user_sgpr_private_segment_buffer 1
		.amdhsa_user_sgpr_dispatch_ptr 0
		.amdhsa_user_sgpr_queue_ptr 0
		.amdhsa_user_sgpr_kernarg_segment_ptr 1
		.amdhsa_user_sgpr_dispatch_id 0
		.amdhsa_user_sgpr_flat_scratch_init 0
		.amdhsa_user_sgpr_private_segment_size 0
		.amdhsa_uses_dynamic_stack 0
		.amdhsa_system_sgpr_private_segment_wavefront_offset 0
		.amdhsa_system_sgpr_workgroup_id_x 1
		.amdhsa_system_sgpr_workgroup_id_y 1
		.amdhsa_system_sgpr_workgroup_id_z 0
		.amdhsa_system_sgpr_workgroup_info 0
		.amdhsa_system_vgpr_workitem_id 0
		.amdhsa_next_free_vgpr 19
		.amdhsa_next_free_sgpr 12
		.amdhsa_reserve_vcc 1
		.amdhsa_reserve_flat_scratch 0
		.amdhsa_float_round_mode_32 0
		.amdhsa_float_round_mode_16_64 0
		.amdhsa_float_denorm_mode_32 3
		.amdhsa_float_denorm_mode_16_64 3
		.amdhsa_dx10_clamp 1
		.amdhsa_ieee_mode 1
		.amdhsa_fp16_overflow 0
		.amdhsa_exception_fp_ieee_invalid_op 0
		.amdhsa_exception_fp_denorm_src 0
		.amdhsa_exception_fp_ieee_div_zero 0
		.amdhsa_exception_fp_ieee_overflow 0
		.amdhsa_exception_fp_ieee_underflow 0
		.amdhsa_exception_fp_ieee_inexact 0
		.amdhsa_exception_int_div_zero 0
	.end_amdhsa_kernel
	.section	.text._ZN9rocsparseL39gtsv_spike_backward_substitution_kernelILj256ELj8EfEEviiiPT1_PKS1_S4_,"axG",@progbits,_ZN9rocsparseL39gtsv_spike_backward_substitution_kernelILj256ELj8EfEEviiiPT1_PKS1_S4_,comdat
.Lfunc_end37:
	.size	_ZN9rocsparseL39gtsv_spike_backward_substitution_kernelILj256ELj8EfEEviiiPT1_PKS1_S4_, .Lfunc_end37-_ZN9rocsparseL39gtsv_spike_backward_substitution_kernelILj256ELj8EfEEviiiPT1_PKS1_S4_
                                        ; -- End function
	.set _ZN9rocsparseL39gtsv_spike_backward_substitution_kernelILj256ELj8EfEEviiiPT1_PKS1_S4_.num_vgpr, 19
	.set _ZN9rocsparseL39gtsv_spike_backward_substitution_kernelILj256ELj8EfEEviiiPT1_PKS1_S4_.num_agpr, 0
	.set _ZN9rocsparseL39gtsv_spike_backward_substitution_kernelILj256ELj8EfEEviiiPT1_PKS1_S4_.numbered_sgpr, 12
	.set _ZN9rocsparseL39gtsv_spike_backward_substitution_kernelILj256ELj8EfEEviiiPT1_PKS1_S4_.num_named_barrier, 0
	.set _ZN9rocsparseL39gtsv_spike_backward_substitution_kernelILj256ELj8EfEEviiiPT1_PKS1_S4_.private_seg_size, 0
	.set _ZN9rocsparseL39gtsv_spike_backward_substitution_kernelILj256ELj8EfEEviiiPT1_PKS1_S4_.uses_vcc, 1
	.set _ZN9rocsparseL39gtsv_spike_backward_substitution_kernelILj256ELj8EfEEviiiPT1_PKS1_S4_.uses_flat_scratch, 0
	.set _ZN9rocsparseL39gtsv_spike_backward_substitution_kernelILj256ELj8EfEEviiiPT1_PKS1_S4_.has_dyn_sized_stack, 0
	.set _ZN9rocsparseL39gtsv_spike_backward_substitution_kernelILj256ELj8EfEEviiiPT1_PKS1_S4_.has_recursion, 0
	.set _ZN9rocsparseL39gtsv_spike_backward_substitution_kernelILj256ELj8EfEEviiiPT1_PKS1_S4_.has_indirect_call, 0
	.section	.AMDGPU.csdata,"",@progbits
; Kernel info:
; codeLenInByte = 976
; TotalNumSgprs: 16
; NumVgprs: 19
; ScratchSize: 0
; MemoryBound: 0
; FloatMode: 240
; IeeeMode: 1
; LDSByteSize: 0 bytes/workgroup (compile time only)
; SGPRBlocks: 1
; VGPRBlocks: 4
; NumSGPRsForWavesPerEU: 16
; NumVGPRsForWavesPerEU: 19
; Occupancy: 10
; WaveLimiterHint : 0
; COMPUTE_PGM_RSRC2:SCRATCH_EN: 0
; COMPUTE_PGM_RSRC2:USER_SGPR: 6
; COMPUTE_PGM_RSRC2:TRAP_HANDLER: 0
; COMPUTE_PGM_RSRC2:TGID_X_EN: 1
; COMPUTE_PGM_RSRC2:TGID_Y_EN: 1
; COMPUTE_PGM_RSRC2:TGID_Z_EN: 0
; COMPUTE_PGM_RSRC2:TIDIG_COMP_CNT: 0
	.section	.text._ZN9rocsparseL32gtsv_transpose_back_array_kernelILj256ELj8EfEEviiiPKT1_PS1_,"axG",@progbits,_ZN9rocsparseL32gtsv_transpose_back_array_kernelILj256ELj8EfEEviiiPKT1_PS1_,comdat
	.globl	_ZN9rocsparseL32gtsv_transpose_back_array_kernelILj256ELj8EfEEviiiPKT1_PS1_ ; -- Begin function _ZN9rocsparseL32gtsv_transpose_back_array_kernelILj256ELj8EfEEviiiPKT1_PS1_
	.p2align	8
	.type	_ZN9rocsparseL32gtsv_transpose_back_array_kernelILj256ELj8EfEEviiiPKT1_PS1_,@function
_ZN9rocsparseL32gtsv_transpose_back_array_kernelILj256ELj8EfEEviiiPKT1_PS1_: ; @_ZN9rocsparseL32gtsv_transpose_back_array_kernelILj256ELj8EfEEviiiPKT1_PS1_
; %bb.0:
	s_load_dwordx4 s[0:3], s[4:5], 0x0
	v_lshl_or_b32 v0, s6, 8, v0
	v_lshlrev_b32_e32 v3, 3, v0
	s_waitcnt lgkmcnt(0)
	v_cvt_f32_u32_e32 v1, s1
	s_sub_i32 s3, 0, s1
	v_rcp_iflag_f32_e32 v1, v1
	v_mul_f32_e32 v1, 0x4f7ffffe, v1
	v_cvt_u32_f32_e32 v1, v1
	v_mul_lo_u32 v2, s3, v1
	v_mul_hi_u32 v2, v1, v2
	v_add_u32_e32 v1, v1, v2
	v_mul_hi_u32 v1, v3, v1
	v_mul_lo_u32 v2, v1, s1
	v_add_u32_e32 v4, 1, v1
	v_sub_u32_e32 v2, v3, v2
	v_cmp_le_u32_e32 vcc, s1, v2
	v_cndmask_b32_e32 v1, v1, v4, vcc
	v_subrev_u32_e32 v4, s1, v2
	v_cndmask_b32_e32 v2, v2, v4, vcc
	v_add_u32_e32 v4, 1, v1
	v_cmp_le_u32_e32 vcc, s1, v2
	v_cndmask_b32_e32 v1, v1, v4, vcc
	v_mul_lo_u32 v2, v1, s1
	v_sub_u32_e32 v2, v3, v2
	v_add_u32_e32 v1, v1, v2
	v_cmp_gt_i32_e32 vcc, s0, v1
	s_and_saveexec_b64 s[8:9], vcc
	s_cbranch_execz .LBB38_2
; %bb.1:
	s_load_dwordx4 s[8:11], s[4:5], 0x10
	s_mul_i32 s0, s1, s7
	v_add_u32_e32 v2, s0, v0
	v_ashrrev_i32_e32 v3, 31, v2
	v_lshlrev_b64 v[2:3], 2, v[2:3]
	s_waitcnt lgkmcnt(0)
	v_mov_b32_e32 v0, s9
	v_add_co_u32_e32 v2, vcc, s8, v2
	v_addc_co_u32_e32 v3, vcc, v0, v3, vcc
	global_load_dword v2, v[2:3], off
	s_mul_i32 s0, s2, s7
	v_add_u32_e32 v0, s0, v1
	v_ashrrev_i32_e32 v1, 31, v0
	v_lshlrev_b64 v[0:1], 2, v[0:1]
	v_mov_b32_e32 v3, s11
	v_add_co_u32_e32 v0, vcc, s10, v0
	v_addc_co_u32_e32 v1, vcc, v3, v1, vcc
	s_waitcnt vmcnt(0)
	global_store_dword v[0:1], v2, off
.LBB38_2:
	s_endpgm
	.section	.rodata,"a",@progbits
	.p2align	6, 0x0
	.amdhsa_kernel _ZN9rocsparseL32gtsv_transpose_back_array_kernelILj256ELj8EfEEviiiPKT1_PS1_
		.amdhsa_group_segment_fixed_size 0
		.amdhsa_private_segment_fixed_size 0
		.amdhsa_kernarg_size 32
		.amdhsa_user_sgpr_count 6
		.amdhsa_user_sgpr_private_segment_buffer 1
		.amdhsa_user_sgpr_dispatch_ptr 0
		.amdhsa_user_sgpr_queue_ptr 0
		.amdhsa_user_sgpr_kernarg_segment_ptr 1
		.amdhsa_user_sgpr_dispatch_id 0
		.amdhsa_user_sgpr_flat_scratch_init 0
		.amdhsa_user_sgpr_private_segment_size 0
		.amdhsa_uses_dynamic_stack 0
		.amdhsa_system_sgpr_private_segment_wavefront_offset 0
		.amdhsa_system_sgpr_workgroup_id_x 1
		.amdhsa_system_sgpr_workgroup_id_y 1
		.amdhsa_system_sgpr_workgroup_id_z 0
		.amdhsa_system_sgpr_workgroup_info 0
		.amdhsa_system_vgpr_workitem_id 0
		.amdhsa_next_free_vgpr 5
		.amdhsa_next_free_sgpr 12
		.amdhsa_reserve_vcc 1
		.amdhsa_reserve_flat_scratch 0
		.amdhsa_float_round_mode_32 0
		.amdhsa_float_round_mode_16_64 0
		.amdhsa_float_denorm_mode_32 3
		.amdhsa_float_denorm_mode_16_64 3
		.amdhsa_dx10_clamp 1
		.amdhsa_ieee_mode 1
		.amdhsa_fp16_overflow 0
		.amdhsa_exception_fp_ieee_invalid_op 0
		.amdhsa_exception_fp_denorm_src 0
		.amdhsa_exception_fp_ieee_div_zero 0
		.amdhsa_exception_fp_ieee_overflow 0
		.amdhsa_exception_fp_ieee_underflow 0
		.amdhsa_exception_fp_ieee_inexact 0
		.amdhsa_exception_int_div_zero 0
	.end_amdhsa_kernel
	.section	.text._ZN9rocsparseL32gtsv_transpose_back_array_kernelILj256ELj8EfEEviiiPKT1_PS1_,"axG",@progbits,_ZN9rocsparseL32gtsv_transpose_back_array_kernelILj256ELj8EfEEviiiPKT1_PS1_,comdat
.Lfunc_end38:
	.size	_ZN9rocsparseL32gtsv_transpose_back_array_kernelILj256ELj8EfEEviiiPKT1_PS1_, .Lfunc_end38-_ZN9rocsparseL32gtsv_transpose_back_array_kernelILj256ELj8EfEEviiiPKT1_PS1_
                                        ; -- End function
	.set _ZN9rocsparseL32gtsv_transpose_back_array_kernelILj256ELj8EfEEviiiPKT1_PS1_.num_vgpr, 5
	.set _ZN9rocsparseL32gtsv_transpose_back_array_kernelILj256ELj8EfEEviiiPKT1_PS1_.num_agpr, 0
	.set _ZN9rocsparseL32gtsv_transpose_back_array_kernelILj256ELj8EfEEviiiPKT1_PS1_.numbered_sgpr, 12
	.set _ZN9rocsparseL32gtsv_transpose_back_array_kernelILj256ELj8EfEEviiiPKT1_PS1_.num_named_barrier, 0
	.set _ZN9rocsparseL32gtsv_transpose_back_array_kernelILj256ELj8EfEEviiiPKT1_PS1_.private_seg_size, 0
	.set _ZN9rocsparseL32gtsv_transpose_back_array_kernelILj256ELj8EfEEviiiPKT1_PS1_.uses_vcc, 1
	.set _ZN9rocsparseL32gtsv_transpose_back_array_kernelILj256ELj8EfEEviiiPKT1_PS1_.uses_flat_scratch, 0
	.set _ZN9rocsparseL32gtsv_transpose_back_array_kernelILj256ELj8EfEEviiiPKT1_PS1_.has_dyn_sized_stack, 0
	.set _ZN9rocsparseL32gtsv_transpose_back_array_kernelILj256ELj8EfEEviiiPKT1_PS1_.has_recursion, 0
	.set _ZN9rocsparseL32gtsv_transpose_back_array_kernelILj256ELj8EfEEviiiPKT1_PS1_.has_indirect_call, 0
	.section	.AMDGPU.csdata,"",@progbits
; Kernel info:
; codeLenInByte = 248
; TotalNumSgprs: 16
; NumVgprs: 5
; ScratchSize: 0
; MemoryBound: 0
; FloatMode: 240
; IeeeMode: 1
; LDSByteSize: 0 bytes/workgroup (compile time only)
; SGPRBlocks: 1
; VGPRBlocks: 1
; NumSGPRsForWavesPerEU: 16
; NumVGPRsForWavesPerEU: 5
; Occupancy: 10
; WaveLimiterHint : 0
; COMPUTE_PGM_RSRC2:SCRATCH_EN: 0
; COMPUTE_PGM_RSRC2:USER_SGPR: 6
; COMPUTE_PGM_RSRC2:TRAP_HANDLER: 0
; COMPUTE_PGM_RSRC2:TGID_X_EN: 1
; COMPUTE_PGM_RSRC2:TGID_Y_EN: 1
; COMPUTE_PGM_RSRC2:TGID_Z_EN: 0
; COMPUTE_PGM_RSRC2:TIDIG_COMP_CNT: 0
	.section	.text._ZN9rocsparseL42gtsv_transpose_and_pad_array_shared_kernelILj256ELj16EfEEviiiPKT1_PS1_S1_,"axG",@progbits,_ZN9rocsparseL42gtsv_transpose_and_pad_array_shared_kernelILj256ELj16EfEEviiiPKT1_PS1_S1_,comdat
	.globl	_ZN9rocsparseL42gtsv_transpose_and_pad_array_shared_kernelILj256ELj16EfEEviiiPKT1_PS1_S1_ ; -- Begin function _ZN9rocsparseL42gtsv_transpose_and_pad_array_shared_kernelILj256ELj16EfEEviiiPKT1_PS1_S1_
	.p2align	8
	.type	_ZN9rocsparseL42gtsv_transpose_and_pad_array_shared_kernelILj256ELj16EfEEviiiPKT1_PS1_S1_,@function
_ZN9rocsparseL42gtsv_transpose_and_pad_array_shared_kernelILj256ELj16EfEEviiiPKT1_PS1_S1_: ; @_ZN9rocsparseL42gtsv_transpose_and_pad_array_shared_kernelILj256ELj16EfEEviiiPKT1_PS1_S1_
; %bb.0:
	s_load_dwordx4 s[0:3], s[4:5], 0x0
	s_waitcnt lgkmcnt(0)
	s_load_dword s3, s[4:5], 0x20
	v_lshl_or_b32 v2, s6, 8, v0
	v_cmp_gt_i32_e32 vcc, s0, v2
	s_waitcnt lgkmcnt(0)
	v_mov_b32_e32 v1, s3
	s_and_saveexec_b64 s[8:9], vcc
	s_cbranch_execz .LBB39_2
; %bb.1:
	s_load_dwordx2 s[10:11], s[4:5], 0x10
	s_mul_i32 s0, s2, s7
	v_add_u32_e32 v1, s0, v2
	v_ashrrev_i32_e32 v2, 31, v1
	v_lshlrev_b64 v[1:2], 2, v[1:2]
	s_waitcnt lgkmcnt(0)
	v_mov_b32_e32 v3, s11
	v_add_co_u32_e32 v1, vcc, s10, v1
	v_addc_co_u32_e32 v2, vcc, v3, v2, vcc
	global_load_dword v1, v[1:2], off
.LBB39_2:
	s_or_b64 exec, exec, s[8:9]
	v_lshrrev_b32_e32 v2, 4, v0
	v_and_b32_e32 v3, 15, v0
	v_lshlrev_b32_e32 v0, 2, v0
	s_waitcnt vmcnt(0)
	ds_write_b32 v0, v1
	s_lshr_b32 s0, s1, 4
	v_lshl_or_b32 v0, s6, 4, v3
	v_mad_u64_u32 v[0:1], s[2:3], s0, v2, v[0:1]
	s_waitcnt lgkmcnt(0)
	s_barrier
	v_cmp_gt_i32_e32 vcc, s1, v0
	s_and_saveexec_b64 s[2:3], vcc
	s_cbranch_execz .LBB39_4
; %bb.3:
	s_load_dwordx2 s[2:3], s[4:5], 0x18
	v_lshlrev_b32_e32 v1, 2, v2
	s_mul_i32 s0, s1, s7
	v_lshl_or_b32 v1, v3, 6, v1
	v_add_u32_e32 v0, s0, v0
	ds_read_b32 v2, v1
	v_ashrrev_i32_e32 v1, 31, v0
	v_lshlrev_b64 v[0:1], 2, v[0:1]
	s_waitcnt lgkmcnt(0)
	v_mov_b32_e32 v3, s3
	v_add_co_u32_e32 v0, vcc, s2, v0
	v_addc_co_u32_e32 v1, vcc, v3, v1, vcc
	global_store_dword v[0:1], v2, off
.LBB39_4:
	s_endpgm
	.section	.rodata,"a",@progbits
	.p2align	6, 0x0
	.amdhsa_kernel _ZN9rocsparseL42gtsv_transpose_and_pad_array_shared_kernelILj256ELj16EfEEviiiPKT1_PS1_S1_
		.amdhsa_group_segment_fixed_size 1024
		.amdhsa_private_segment_fixed_size 0
		.amdhsa_kernarg_size 36
		.amdhsa_user_sgpr_count 6
		.amdhsa_user_sgpr_private_segment_buffer 1
		.amdhsa_user_sgpr_dispatch_ptr 0
		.amdhsa_user_sgpr_queue_ptr 0
		.amdhsa_user_sgpr_kernarg_segment_ptr 1
		.amdhsa_user_sgpr_dispatch_id 0
		.amdhsa_user_sgpr_flat_scratch_init 0
		.amdhsa_user_sgpr_private_segment_size 0
		.amdhsa_uses_dynamic_stack 0
		.amdhsa_system_sgpr_private_segment_wavefront_offset 0
		.amdhsa_system_sgpr_workgroup_id_x 1
		.amdhsa_system_sgpr_workgroup_id_y 1
		.amdhsa_system_sgpr_workgroup_id_z 0
		.amdhsa_system_sgpr_workgroup_info 0
		.amdhsa_system_vgpr_workitem_id 0
		.amdhsa_next_free_vgpr 4
		.amdhsa_next_free_sgpr 12
		.amdhsa_reserve_vcc 1
		.amdhsa_reserve_flat_scratch 0
		.amdhsa_float_round_mode_32 0
		.amdhsa_float_round_mode_16_64 0
		.amdhsa_float_denorm_mode_32 3
		.amdhsa_float_denorm_mode_16_64 3
		.amdhsa_dx10_clamp 1
		.amdhsa_ieee_mode 1
		.amdhsa_fp16_overflow 0
		.amdhsa_exception_fp_ieee_invalid_op 0
		.amdhsa_exception_fp_denorm_src 0
		.amdhsa_exception_fp_ieee_div_zero 0
		.amdhsa_exception_fp_ieee_overflow 0
		.amdhsa_exception_fp_ieee_underflow 0
		.amdhsa_exception_fp_ieee_inexact 0
		.amdhsa_exception_int_div_zero 0
	.end_amdhsa_kernel
	.section	.text._ZN9rocsparseL42gtsv_transpose_and_pad_array_shared_kernelILj256ELj16EfEEviiiPKT1_PS1_S1_,"axG",@progbits,_ZN9rocsparseL42gtsv_transpose_and_pad_array_shared_kernelILj256ELj16EfEEviiiPKT1_PS1_S1_,comdat
.Lfunc_end39:
	.size	_ZN9rocsparseL42gtsv_transpose_and_pad_array_shared_kernelILj256ELj16EfEEviiiPKT1_PS1_S1_, .Lfunc_end39-_ZN9rocsparseL42gtsv_transpose_and_pad_array_shared_kernelILj256ELj16EfEEviiiPKT1_PS1_S1_
                                        ; -- End function
	.set _ZN9rocsparseL42gtsv_transpose_and_pad_array_shared_kernelILj256ELj16EfEEviiiPKT1_PS1_S1_.num_vgpr, 4
	.set _ZN9rocsparseL42gtsv_transpose_and_pad_array_shared_kernelILj256ELj16EfEEviiiPKT1_PS1_S1_.num_agpr, 0
	.set _ZN9rocsparseL42gtsv_transpose_and_pad_array_shared_kernelILj256ELj16EfEEviiiPKT1_PS1_S1_.numbered_sgpr, 12
	.set _ZN9rocsparseL42gtsv_transpose_and_pad_array_shared_kernelILj256ELj16EfEEviiiPKT1_PS1_S1_.num_named_barrier, 0
	.set _ZN9rocsparseL42gtsv_transpose_and_pad_array_shared_kernelILj256ELj16EfEEviiiPKT1_PS1_S1_.private_seg_size, 0
	.set _ZN9rocsparseL42gtsv_transpose_and_pad_array_shared_kernelILj256ELj16EfEEviiiPKT1_PS1_S1_.uses_vcc, 1
	.set _ZN9rocsparseL42gtsv_transpose_and_pad_array_shared_kernelILj256ELj16EfEEviiiPKT1_PS1_S1_.uses_flat_scratch, 0
	.set _ZN9rocsparseL42gtsv_transpose_and_pad_array_shared_kernelILj256ELj16EfEEviiiPKT1_PS1_S1_.has_dyn_sized_stack, 0
	.set _ZN9rocsparseL42gtsv_transpose_and_pad_array_shared_kernelILj256ELj16EfEEviiiPKT1_PS1_S1_.has_recursion, 0
	.set _ZN9rocsparseL42gtsv_transpose_and_pad_array_shared_kernelILj256ELj16EfEEviiiPKT1_PS1_S1_.has_indirect_call, 0
	.section	.AMDGPU.csdata,"",@progbits
; Kernel info:
; codeLenInByte = 244
; TotalNumSgprs: 16
; NumVgprs: 4
; ScratchSize: 0
; MemoryBound: 0
; FloatMode: 240
; IeeeMode: 1
; LDSByteSize: 1024 bytes/workgroup (compile time only)
; SGPRBlocks: 1
; VGPRBlocks: 0
; NumSGPRsForWavesPerEU: 16
; NumVGPRsForWavesPerEU: 4
; Occupancy: 10
; WaveLimiterHint : 0
; COMPUTE_PGM_RSRC2:SCRATCH_EN: 0
; COMPUTE_PGM_RSRC2:USER_SGPR: 6
; COMPUTE_PGM_RSRC2:TRAP_HANDLER: 0
; COMPUTE_PGM_RSRC2:TGID_X_EN: 1
; COMPUTE_PGM_RSRC2:TGID_Y_EN: 1
; COMPUTE_PGM_RSRC2:TGID_Z_EN: 0
; COMPUTE_PGM_RSRC2:TIDIG_COMP_CNT: 0
	.section	.text._ZN9rocsparseL18gtsv_LBM_wv_kernelILj256ELj16EfEEviiiPKT1_S3_S3_PS1_S4_S4_Pi,"axG",@progbits,_ZN9rocsparseL18gtsv_LBM_wv_kernelILj256ELj16EfEEviiiPKT1_S3_S3_PS1_S4_S4_Pi,comdat
	.globl	_ZN9rocsparseL18gtsv_LBM_wv_kernelILj256ELj16EfEEviiiPKT1_S3_S3_PS1_S4_S4_Pi ; -- Begin function _ZN9rocsparseL18gtsv_LBM_wv_kernelILj256ELj16EfEEviiiPKT1_S3_S3_PS1_S4_S4_Pi
	.p2align	8
	.type	_ZN9rocsparseL18gtsv_LBM_wv_kernelILj256ELj16EfEEviiiPKT1_S3_S3_PS1_S4_S4_Pi,@function
_ZN9rocsparseL18gtsv_LBM_wv_kernelILj256ELj16EfEEviiiPKT1_S3_S3_PS1_S4_S4_Pi: ; @_ZN9rocsparseL18gtsv_LBM_wv_kernelILj256ELj16EfEEviiiPKT1_S3_S3_PS1_S4_S4_Pi
; %bb.0:
	s_load_dword s27, s[4:5], 0x0
	v_lshl_or_b32 v0, s6, 8, v0
	s_waitcnt lgkmcnt(0)
	s_lshr_b32 s26, s27, 4
	v_cmp_gt_i32_e32 vcc, s26, v0
	s_and_saveexec_b64 s[0:1], vcc
	s_cbranch_execz .LBB40_30
; %bb.1:
	s_load_dwordx2 s[16:17], s[4:5], 0x10
	s_load_dwordx8 s[8:15], s[4:5], 0x20
	v_ashrrev_i32_e32 v1, 31, v0
	v_lshlrev_b64 v[4:5], 2, v[0:1]
	s_mul_i32 s28, s26, 15
	s_waitcnt lgkmcnt(0)
	v_mov_b32_e32 v2, s17
	v_add_co_u32_e32 v1, vcc, s16, v4
	v_addc_co_u32_e32 v2, vcc, v2, v5, vcc
	global_load_dword v8, v[1:2], off
	v_add_u32_e32 v2, s28, v0
	v_mov_b32_e32 v3, 0
	v_lshlrev_b64 v[6:7], 2, v[2:3]
	v_mov_b32_e32 v2, s9
	v_add_co_u32_e32 v1, vcc, s8, v6
	v_addc_co_u32_e32 v2, vcc, v2, v7, vcc
	global_load_dword v9, v[1:2], off
	s_load_dwordx2 s[6:7], s[4:5], 0x40
	v_mov_b32_e32 v2, s11
	v_add_co_u32_e32 v1, vcc, s10, v4
	v_addc_co_u32_e32 v2, vcc, v2, v5, vcc
	s_cmp_lt_i32 s27, 1
	v_add_u32_e32 v10, s26, v0
	v_mov_b32_e32 v11, s13
	v_add_co_u32_e32 v6, vcc, s12, v6
	v_addc_co_u32_e32 v7, vcc, v11, v7, vcc
	s_waitcnt vmcnt(1)
	global_store_dword v[1:2], v8, off
	s_waitcnt vmcnt(1)
	global_store_dword v[6:7], v9, off
	s_cbranch_scc1 .LBB40_23
; %bb.2:
	s_load_dwordx2 s[18:19], s[4:5], 0x18
	s_mov_b32 s22, 0x372fe950
	s_mul_i32 s29, s26, 14
	s_lshl_b32 s30, s26, 1
	v_add_u32_e32 v11, s26, v10
	s_waitcnt lgkmcnt(0)
	v_mov_b32_e32 v6, s19
	v_add_co_u32_e32 v3, vcc, s18, v4
	v_addc_co_u32_e32 v4, vcc, v6, v5, vcc
	global_load_dword v15, v[3:4], off
	v_mov_b32_e32 v3, 0
	s_mov_b64 s[20:21], 0
	s_mov_b32 s23, 0x3fe3c6ef
	v_mov_b32_e32 v12, 2
	v_mov_b32_e32 v13, 1
	;; [unrolled: 1-line block ×3, first 2 shown]
	s_branch .LBB40_5
.LBB40_3:                               ;   in Loop: Header=BB40_5 Depth=1
	s_or_b64 exec, exec, s[4:5]
	v_fma_f32 v15, -v5, v7, v17
	v_mov_b32_e32 v4, s26
.LBB40_4:                               ;   in Loop: Header=BB40_5 Depth=1
	s_or_b64 exec, exec, s[2:3]
	v_add_u32_e32 v3, v4, v3
	v_cmp_le_i32_e32 vcc, s27, v3
	s_or_b64 s[20:21], vcc, s[20:21]
	s_andn2_b64 exec, exec, s[20:21]
	s_cbranch_execz .LBB40_22
.LBB40_5:                               ; =>This Inner Loop Header: Depth=1
	v_add_u32_e32 v4, v3, v0
	v_ashrrev_i32_e32 v5, 31, v4
	v_lshlrev_b64 v[5:6], 2, v[4:5]
	v_cmp_gt_u32_e64 s[0:1], s28, v3
	v_add_co_u32_e32 v7, vcc, s8, v5
	v_addc_co_u32_e32 v8, vcc, v14, v6, vcc
	global_load_dword v18, v[7:8], off
	v_mov_b32_e32 v16, 0
	s_and_saveexec_b64 s[2:3], s[0:1]
	s_cbranch_execz .LBB40_7
; %bb.6:                                ;   in Loop: Header=BB40_5 Depth=1
	v_add_u32_e32 v7, v10, v3
	v_ashrrev_i32_e32 v8, 31, v7
	v_lshlrev_b64 v[7:8], 2, v[7:8]
	v_mov_b32_e32 v4, s17
	v_add_co_u32_e32 v7, vcc, s16, v7
	v_addc_co_u32_e32 v8, vcc, v4, v8, vcc
	global_load_dword v16, v[7:8], off
.LBB40_7:                               ;   in Loop: Header=BB40_5 Depth=1
	s_or_b64 exec, exec, s[2:3]
	v_mov_b32_e32 v19, 0
	v_mov_b32_e32 v17, 0
	s_and_saveexec_b64 s[2:3], s[0:1]
	s_cbranch_execz .LBB40_9
; %bb.8:                                ;   in Loop: Header=BB40_5 Depth=1
	v_add_u32_e32 v7, v10, v3
	v_ashrrev_i32_e32 v8, 31, v7
	v_lshlrev_b64 v[7:8], 2, v[7:8]
	v_mov_b32_e32 v4, s19
	v_add_co_u32_e32 v7, vcc, s18, v7
	v_addc_co_u32_e32 v8, vcc, v4, v8, vcc
	global_load_dword v17, v[7:8], off
.LBB40_9:                               ;   in Loop: Header=BB40_5 Depth=1
	s_or_b64 exec, exec, s[2:3]
	s_and_saveexec_b64 s[2:3], s[0:1]
	s_cbranch_execz .LBB40_11
; %bb.10:                               ;   in Loop: Header=BB40_5 Depth=1
	v_add_u32_e32 v7, v10, v3
	v_ashrrev_i32_e32 v8, 31, v7
	v_lshlrev_b64 v[7:8], 2, v[7:8]
	v_mov_b32_e32 v4, s9
	v_add_co_u32_e32 v7, vcc, s8, v7
	v_addc_co_u32_e32 v8, vcc, v4, v8, vcc
	global_load_dword v19, v[7:8], off
.LBB40_11:                              ;   in Loop: Header=BB40_5 Depth=1
	s_or_b64 exec, exec, s[2:3]
	v_cmp_gt_u32_e64 s[2:3], s29, v3
	v_mov_b32_e32 v20, 0
	s_and_saveexec_b64 s[4:5], s[2:3]
	s_cbranch_execz .LBB40_13
; %bb.12:                               ;   in Loop: Header=BB40_5 Depth=1
	v_add_u32_e32 v7, v11, v3
	v_ashrrev_i32_e32 v8, 31, v7
	v_lshlrev_b64 v[7:8], 2, v[7:8]
	v_mov_b32_e32 v4, s17
	v_add_co_u32_e32 v7, vcc, s16, v7
	v_addc_co_u32_e32 v8, vcc, v4, v8, vcc
	global_load_dword v20, v[7:8], off
.LBB40_13:                              ;   in Loop: Header=BB40_5 Depth=1
	s_or_b64 exec, exec, s[4:5]
	s_waitcnt vmcnt(0)
	v_cmp_gt_f32_e32 vcc, 0, v16
	v_cndmask_b32_e64 v4, v16, -v16, vcc
	v_cmp_gt_f32_e32 vcc, 0, v20
	v_cndmask_b32_e64 v7, v20, -v20, vcc
	v_cmp_lt_f32_e32 vcc, v4, v7
	v_cndmask_b32_e32 v4, v4, v7, vcc
	v_cmp_gt_f32_e32 vcc, 0, v17
	v_cndmask_b32_e64 v7, v17, -v17, vcc
	v_cmp_lt_f32_e32 vcc, v7, v4
	v_cndmask_b32_e32 v4, v7, v4, vcc
	;; [unrolled: 4-line block ×4, first 2 shown]
	v_cmp_gt_f32_e32 vcc, 0, v15
	v_cvt_f64_f32_e32 v[7:8], v4
	v_cndmask_b32_e64 v4, v15, -v15, vcc
	v_cvt_f64_f32_e32 v[21:22], v4
	v_cmp_ne_u32_e64 s[4:5], s28, v3
	v_mul_f64 v[8:9], v[21:22], v[7:8]
	v_mul_f32_e32 v7, v18, v16
	v_cmp_gt_f32_e32 vcc, 0, v7
	v_cndmask_b32_e64 v4, v7, -v7, vcc
	v_cvt_f64_f32_e32 v[21:22], v4
	v_mul_f64 v[21:22], v[21:22], s[22:23]
	v_cmp_nge_f64_e32 vcc, v[8:9], v[21:22]
	s_and_b64 s[4:5], s[4:5], vcc
	s_and_saveexec_b64 s[24:25], s[4:5]
	s_xor_b64 s[4:5], exec, s[24:25]
	s_cbranch_execz .LBB40_19
; %bb.14:                               ;   in Loop: Header=BB40_5 Depth=1
	v_mov_b32_e32 v4, s13
	v_add_co_u32_e32 v25, vcc, s12, v5
	v_addc_co_u32_e32 v26, vcc, v4, v6, vcc
	v_mov_b32_e32 v4, s15
	v_add_co_u32_e32 v8, vcc, s14, v5
	v_addc_co_u32_e32 v9, vcc, v4, v6, vcc
	;; [unrolled: 3-line block ×3, first 2 shown]
	v_fma_f32 v4, v15, v17, -v7
	v_div_scale_f32 v5, s[24:25], v4, v4, 1.0
	v_rcp_f32_e32 v6, v5
	v_fma_f32 v7, -v5, v6, 1.0
	v_fmac_f32_e32 v6, v7, v6
	v_div_scale_f32 v7, vcc, 1.0, v4, 1.0
	v_mul_f32_e32 v21, v7, v6
	v_fma_f32 v22, -v5, v21, v7
	v_fmac_f32_e32 v21, v22, v6
	v_fma_f32 v5, -v5, v21, v7
	v_div_fmas_f32 v5, v5, v6, v21
	v_mov_b32_e32 v7, s11
	v_div_fixup_f32 v21, v5, v4, 1.0
	v_mul_f32_e64 v4, v19, -v18
	v_mul_f32_e32 v4, v21, v4
	global_store_dword v[8:9], v4, off
	v_ashrrev_i32_e32 v4, 31, v3
	v_lshlrev_b64 v[4:5], 2, v[3:4]
	v_add_co_u32_e32 v8, vcc, v1, v4
	v_add_u32_e32 v4, v10, v3
	v_addc_co_u32_e32 v9, vcc, v2, v5, vcc
	v_ashrrev_i32_e32 v5, 31, v4
	v_lshlrev_b64 v[4:5], 2, v[4:5]
	v_add_co_u32_e32 v6, vcc, s10, v4
	v_addc_co_u32_e32 v7, vcc, v7, v5, vcc
	global_load_dword v23, v[6:7], off
	global_load_dword v22, v[8:9], off
	s_waitcnt vmcnt(1)
	v_mul_f32_e32 v24, v18, v23
	s_waitcnt vmcnt(0)
	v_fma_f32 v24, v17, v22, -v24
	v_mul_f32_e32 v24, v21, v24
	global_store_dword v[8:9], v24, off
	v_mov_b32_e32 v9, s13
	v_add_co_u32_e32 v8, vcc, s12, v4
	v_addc_co_u32_e32 v9, vcc, v9, v5, vcc
	global_load_dword v24, v[8:9], off
	s_waitcnt vmcnt(0)
	v_mul_f32_e32 v29, v18, v24
	global_load_dword v18, v[25:26], off
	s_waitcnt vmcnt(0)
	v_fma_f32 v17, v17, v18, -v29
	v_mul_f32_e32 v17, v21, v17
	global_store_dword v[25:26], v17, off
	global_store_dword v[27:28], v12, off
	s_and_saveexec_b64 s[24:25], s[0:1]
	s_cbranch_execz .LBB40_16
; %bb.15:                               ;   in Loop: Header=BB40_5 Depth=1
	v_mul_f32_e32 v17, v16, v22
	v_fma_f32 v17, v15, v23, -v17
	v_mul_f32_e32 v17, v21, v17
	global_store_dword v[6:7], v17, off
	v_mul_f32_e32 v6, v16, v18
	v_fma_f32 v6, v15, v24, -v6
	v_mul_f32_e32 v6, v21, v6
	global_store_dword v[8:9], v6, off
	v_mul_f32_e32 v6, v15, v19
	v_mul_f32_e32 v8, v21, v6
	v_mov_b32_e32 v7, s15
	v_add_co_u32_e32 v6, vcc, s14, v4
	v_addc_co_u32_e32 v7, vcc, v7, v5, vcc
	global_store_dword v[6:7], v8, off
	v_mov_b32_e32 v6, s7
	v_add_co_u32_e32 v4, vcc, s6, v4
	v_addc_co_u32_e32 v5, vcc, v6, v5, vcc
	global_store_dword v[4:5], v12, off
.LBB40_16:                              ;   in Loop: Header=BB40_5 Depth=1
	s_or_b64 exec, exec, s[24:25]
	v_mov_b32_e32 v4, 0
	s_and_saveexec_b64 s[24:25], s[2:3]
	s_cbranch_execz .LBB40_18
; %bb.17:                               ;   in Loop: Header=BB40_5 Depth=1
	v_add_u32_e32 v4, v11, v3
	v_ashrrev_i32_e32 v5, 31, v4
	v_lshlrev_b64 v[4:5], 2, v[4:5]
	v_mov_b32_e32 v7, s11
	v_add_co_u32_e32 v6, vcc, s10, v4
	v_addc_co_u32_e32 v7, vcc, v7, v5, vcc
	v_mov_b32_e32 v9, s19
	v_add_co_u32_e32 v4, vcc, s18, v4
	v_addc_co_u32_e32 v5, vcc, v9, v5, vcc
	global_load_dword v8, v[6:7], off
	v_mul_f32_e32 v9, v15, v20
	global_load_dword v4, v[4:5], off
	v_mul_f32_e32 v5, v20, v16
	v_mul_f32_e32 v15, v21, v9
	;; [unrolled: 1-line block ×5, first 2 shown]
	v_fma_f32 v5, v5, v22, -v15
	s_waitcnt vmcnt(1)
	v_add_f32_e32 v5, v5, v8
	global_store_dword v[6:7], v5, off
	s_waitcnt vmcnt(1)
	v_fma_f32 v4, -v21, v9, v4
.LBB40_18:                              ;   in Loop: Header=BB40_5 Depth=1
	s_or_b64 exec, exec, s[24:25]
	v_mov_b32_e32 v15, v4
                                        ; implicit-def: $vgpr7
                                        ; implicit-def: $vgpr17
                                        ; implicit-def: $vgpr18
                                        ; implicit-def: $vgpr5_vgpr6
                                        ; implicit-def: $vgpr16
.LBB40_19:                              ;   in Loop: Header=BB40_5 Depth=1
	s_or_saveexec_b64 s[2:3], s[4:5]
	v_mov_b32_e32 v4, s30
	s_xor_b64 exec, exec, s[2:3]
	s_cbranch_execz .LBB40_4
; %bb.20:                               ;   in Loop: Header=BB40_5 Depth=1
	v_ashrrev_i32_e32 v4, 31, v3
	v_lshlrev_b64 v[8:9], 2, v[3:4]
	v_mov_b32_e32 v4, s13
	v_add_co_u32_e32 v19, vcc, s12, v5
	v_addc_co_u32_e32 v20, vcc, v4, v6, vcc
	v_add_co_u32_e32 v8, vcc, v1, v8
	global_load_dword v25, v[19:20], off
	v_addc_co_u32_e32 v9, vcc, v2, v9, vcc
	global_load_dword v4, v[8:9], off
	v_div_scale_f32 v21, s[4:5], v15, v15, 1.0
	v_div_scale_f32 v22, vcc, 1.0, v15, 1.0
	v_rcp_f32_e32 v23, v21
	v_fma_f32 v24, -v21, v23, 1.0
	v_fmac_f32_e32 v23, v24, v23
	v_mul_f32_e32 v24, v22, v23
	v_fma_f32 v26, -v21, v24, v22
	v_fmac_f32_e32 v24, v26, v23
	v_fma_f32 v21, -v21, v24, v22
	v_div_fmas_f32 v26, v21, v23, v24
	v_mov_b32_e32 v22, s15
	v_add_co_u32_e32 v21, vcc, s14, v5
	v_addc_co_u32_e32 v22, vcc, v22, v6, vcc
	v_mov_b32_e32 v24, s7
	v_add_co_u32_e32 v23, vcc, s6, v5
	v_addc_co_u32_e32 v24, vcc, v24, v6, vcc
	v_div_fixup_f32 v5, v26, v15, 1.0
	v_mul_f32_e32 v6, v5, v18
	global_store_dword v[21:22], v6, off
	s_waitcnt vmcnt(2)
	v_mul_f32_e32 v6, v5, v25
	global_store_dword v[19:20], v6, off
	s_waitcnt vmcnt(2)
	v_mul_f32_e32 v6, v5, v4
	global_store_dword v[8:9], v6, off
	global_store_dword v[23:24], v13, off
	s_and_saveexec_b64 s[4:5], s[0:1]
	s_cbranch_execz .LBB40_3
; %bb.21:                               ;   in Loop: Header=BB40_5 Depth=1
	v_add_u32_e32 v8, v10, v3
	v_ashrrev_i32_e32 v9, 31, v8
	v_lshlrev_b64 v[8:9], 2, v[8:9]
	v_mov_b32_e32 v6, s11
	v_add_co_u32_e32 v8, vcc, s10, v8
	v_addc_co_u32_e32 v9, vcc, v6, v9, vcc
	global_load_dword v6, v[8:9], off
	v_mul_f32_e32 v15, v16, v5
	s_waitcnt vmcnt(0)
	v_fma_f32 v4, -v15, v4, v6
	global_store_dword v[8:9], v4, off
	s_branch .LBB40_3
.LBB40_22:
	s_or_b64 exec, exec, s[20:21]
.LBB40_23:
	v_subrev_u32_e32 v5, s26, v3
	v_add_u32_e32 v3, v5, v0
	v_ashrrev_i32_e32 v4, 31, v3
	v_lshlrev_b64 v[3:4], 2, v[3:4]
	s_waitcnt lgkmcnt(0)
	v_mov_b32_e32 v6, s7
	v_add_co_u32_e32 v3, vcc, s6, v3
	v_addc_co_u32_e32 v4, vcc, v6, v4, vcc
	s_waitcnt vmcnt(0)
	buffer_wbinvl1_vol
	global_load_dword v3, v[3:4], off
	s_waitcnt vmcnt(0)
	v_mul_lo_u32 v3, v3, s26
	v_sub_u32_e32 v3, v5, v3
	v_cmp_lt_i32_e32 vcc, -1, v3
	s_and_b64 exec, exec, vcc
	s_cbranch_execz .LBB40_30
; %bb.24:
	v_subrev_u32_e32 v7, s26, v0
	s_lshl_b32 s4, s26, 1
	s_mov_b64 s[0:1], 0
	v_mov_b32_e32 v8, s7
	v_mov_b32_e32 v9, s15
	s_branch .LBB40_26
.LBB40_25:                              ;   in Loop: Header=BB40_26 Depth=1
	s_or_b64 exec, exec, s[2:3]
	v_sub_u32_e32 v3, v3, v4
	v_cmp_gt_i32_e32 vcc, 0, v3
	s_or_b64 s[0:1], vcc, s[0:1]
	s_andn2_b64 exec, exec, s[0:1]
	s_cbranch_execz .LBB40_30
.LBB40_26:                              ; =>This Inner Loop Header: Depth=1
	v_add_u32_e32 v4, v3, v0
	v_ashrrev_i32_e32 v5, 31, v4
	v_lshlrev_b64 v[5:6], 2, v[4:5]
	s_waitcnt vmcnt(0)
	v_add_co_u32_e32 v11, vcc, s6, v5
	v_addc_co_u32_e32 v12, vcc, v8, v6, vcc
	global_load_dword v4, v[11:12], off
	v_add_co_u32_e32 v11, vcc, s14, v5
	v_addc_co_u32_e32 v12, vcc, v9, v6, vcc
	global_load_dword v11, v[11:12], off
	s_waitcnt vmcnt(1)
	v_cmp_ne_u32_e32 vcc, 1, v4
	s_and_saveexec_b64 s[2:3], vcc
	s_xor_b64 s[2:3], exec, s[2:3]
	s_cbranch_execz .LBB40_28
; %bb.27:                               ;   in Loop: Header=BB40_26 Depth=1
	v_add_u32_e32 v12, v10, v3
	v_ashrrev_i32_e32 v13, 31, v12
	v_lshlrev_b64 v[12:13], 2, v[12:13]
	v_mov_b32_e32 v4, s11
	v_add_co_u32_e32 v14, vcc, s10, v12
	v_addc_co_u32_e32 v15, vcc, v4, v13, vcc
	v_ashrrev_i32_e32 v4, 31, v3
	v_lshlrev_b64 v[16:17], 2, v[3:4]
	v_mov_b32_e32 v4, s13
	v_add_co_u32_e32 v16, vcc, v1, v16
	v_addc_co_u32_e32 v17, vcc, v2, v17, vcc
	v_add_co_u32_e32 v12, vcc, s12, v12
	v_addc_co_u32_e32 v13, vcc, v4, v13, vcc
	global_load_dword v24, v[14:15], off
	global_load_dword v25, v[16:17], off
	v_mov_b32_e32 v18, s13
	v_add_co_u32_e32 v4, vcc, s12, v5
	v_addc_co_u32_e32 v5, vcc, v18, v6, vcc
	global_load_dword v6, v[12:13], off
	global_load_dword v26, v[4:5], off
	v_add_u32_e32 v18, v7, v3
	v_ashrrev_i32_e32 v19, 31, v18
	v_lshlrev_b64 v[18:19], 2, v[18:19]
	v_mov_b32_e32 v21, s11
	v_add_co_u32_e32 v20, vcc, s10, v18
	v_addc_co_u32_e32 v21, vcc, v21, v19, vcc
	v_mov_b32_e32 v23, s13
	v_add_co_u32_e32 v22, vcc, s12, v18
	v_addc_co_u32_e32 v23, vcc, v23, v19, vcc
	v_add_co_u32_e32 v18, vcc, s14, v18
	v_addc_co_u32_e32 v19, vcc, v9, v19, vcc
	global_load_dword v18, v[18:19], off
	s_waitcnt vmcnt(3)
	v_fma_f32 v19, -v11, v24, v25
	s_waitcnt vmcnt(1)
	v_fma_f32 v6, -v11, v6, v26
	global_store_dword v[16:17], v19, off
	global_store_dword v[4:5], v6, off
	global_load_dword v4, v[14:15], off
	s_nop 0
	global_load_dword v5, v[20:21], off
	global_load_dword v6, v[12:13], off
	;; [unrolled: 1-line block ×3, first 2 shown]
	s_waitcnt vmcnt(2)
	v_fma_f32 v4, -v18, v4, v5
	s_waitcnt vmcnt(0)
	v_fma_f32 v5, -v18, v6, v11
	global_store_dword v[20:21], v4, off
	global_store_dword v[22:23], v5, off
                                        ; implicit-def: $vgpr11
                                        ; implicit-def: $vgpr5_vgpr6
.LBB40_28:                              ;   in Loop: Header=BB40_26 Depth=1
	s_or_saveexec_b64 s[2:3], s[2:3]
	v_mov_b32_e32 v4, s4
	s_xor_b64 exec, exec, s[2:3]
	s_cbranch_execz .LBB40_25
; %bb.29:                               ;   in Loop: Header=BB40_26 Depth=1
	v_add_u32_e32 v12, v10, v3
	v_ashrrev_i32_e32 v13, 31, v12
	v_lshlrev_b64 v[12:13], 2, v[12:13]
	v_mov_b32_e32 v4, s11
	v_add_co_u32_e32 v14, vcc, s10, v12
	v_addc_co_u32_e32 v15, vcc, v4, v13, vcc
	v_ashrrev_i32_e32 v4, 31, v3
	v_lshlrev_b64 v[16:17], 2, v[3:4]
	v_mov_b32_e32 v4, s13
	v_add_co_u32_e32 v16, vcc, v1, v16
	v_addc_co_u32_e32 v17, vcc, v2, v17, vcc
	v_add_co_u32_e32 v12, vcc, s12, v12
	v_addc_co_u32_e32 v13, vcc, v4, v13, vcc
	global_load_dword v18, v[14:15], off
	global_load_dword v19, v[16:17], off
	v_mov_b32_e32 v14, s13
	v_add_co_u32_e32 v4, vcc, s12, v5
	v_addc_co_u32_e32 v5, vcc, v14, v6, vcc
	global_load_dword v6, v[12:13], off
	global_load_dword v14, v[4:5], off
	s_waitcnt vmcnt(2)
	v_fma_f32 v12, -v11, v18, v19
	s_waitcnt vmcnt(0)
	v_fma_f32 v6, -v11, v6, v14
	global_store_dword v[16:17], v12, off
	global_store_dword v[4:5], v6, off
	v_mov_b32_e32 v4, s26
	s_branch .LBB40_25
.LBB40_30:
	s_endpgm
	.section	.rodata,"a",@progbits
	.p2align	6, 0x0
	.amdhsa_kernel _ZN9rocsparseL18gtsv_LBM_wv_kernelILj256ELj16EfEEviiiPKT1_S3_S3_PS1_S4_S4_Pi
		.amdhsa_group_segment_fixed_size 0
		.amdhsa_private_segment_fixed_size 0
		.amdhsa_kernarg_size 72
		.amdhsa_user_sgpr_count 6
		.amdhsa_user_sgpr_private_segment_buffer 1
		.amdhsa_user_sgpr_dispatch_ptr 0
		.amdhsa_user_sgpr_queue_ptr 0
		.amdhsa_user_sgpr_kernarg_segment_ptr 1
		.amdhsa_user_sgpr_dispatch_id 0
		.amdhsa_user_sgpr_flat_scratch_init 0
		.amdhsa_user_sgpr_private_segment_size 0
		.amdhsa_uses_dynamic_stack 0
		.amdhsa_system_sgpr_private_segment_wavefront_offset 0
		.amdhsa_system_sgpr_workgroup_id_x 1
		.amdhsa_system_sgpr_workgroup_id_y 0
		.amdhsa_system_sgpr_workgroup_id_z 0
		.amdhsa_system_sgpr_workgroup_info 0
		.amdhsa_system_vgpr_workitem_id 0
		.amdhsa_next_free_vgpr 30
		.amdhsa_next_free_sgpr 31
		.amdhsa_reserve_vcc 1
		.amdhsa_reserve_flat_scratch 0
		.amdhsa_float_round_mode_32 0
		.amdhsa_float_round_mode_16_64 0
		.amdhsa_float_denorm_mode_32 3
		.amdhsa_float_denorm_mode_16_64 3
		.amdhsa_dx10_clamp 1
		.amdhsa_ieee_mode 1
		.amdhsa_fp16_overflow 0
		.amdhsa_exception_fp_ieee_invalid_op 0
		.amdhsa_exception_fp_denorm_src 0
		.amdhsa_exception_fp_ieee_div_zero 0
		.amdhsa_exception_fp_ieee_overflow 0
		.amdhsa_exception_fp_ieee_underflow 0
		.amdhsa_exception_fp_ieee_inexact 0
		.amdhsa_exception_int_div_zero 0
	.end_amdhsa_kernel
	.section	.text._ZN9rocsparseL18gtsv_LBM_wv_kernelILj256ELj16EfEEviiiPKT1_S3_S3_PS1_S4_S4_Pi,"axG",@progbits,_ZN9rocsparseL18gtsv_LBM_wv_kernelILj256ELj16EfEEviiiPKT1_S3_S3_PS1_S4_S4_Pi,comdat
.Lfunc_end40:
	.size	_ZN9rocsparseL18gtsv_LBM_wv_kernelILj256ELj16EfEEviiiPKT1_S3_S3_PS1_S4_S4_Pi, .Lfunc_end40-_ZN9rocsparseL18gtsv_LBM_wv_kernelILj256ELj16EfEEviiiPKT1_S3_S3_PS1_S4_S4_Pi
                                        ; -- End function
	.set _ZN9rocsparseL18gtsv_LBM_wv_kernelILj256ELj16EfEEviiiPKT1_S3_S3_PS1_S4_S4_Pi.num_vgpr, 30
	.set _ZN9rocsparseL18gtsv_LBM_wv_kernelILj256ELj16EfEEviiiPKT1_S3_S3_PS1_S4_S4_Pi.num_agpr, 0
	.set _ZN9rocsparseL18gtsv_LBM_wv_kernelILj256ELj16EfEEviiiPKT1_S3_S3_PS1_S4_S4_Pi.numbered_sgpr, 31
	.set _ZN9rocsparseL18gtsv_LBM_wv_kernelILj256ELj16EfEEviiiPKT1_S3_S3_PS1_S4_S4_Pi.num_named_barrier, 0
	.set _ZN9rocsparseL18gtsv_LBM_wv_kernelILj256ELj16EfEEviiiPKT1_S3_S3_PS1_S4_S4_Pi.private_seg_size, 0
	.set _ZN9rocsparseL18gtsv_LBM_wv_kernelILj256ELj16EfEEviiiPKT1_S3_S3_PS1_S4_S4_Pi.uses_vcc, 1
	.set _ZN9rocsparseL18gtsv_LBM_wv_kernelILj256ELj16EfEEviiiPKT1_S3_S3_PS1_S4_S4_Pi.uses_flat_scratch, 0
	.set _ZN9rocsparseL18gtsv_LBM_wv_kernelILj256ELj16EfEEviiiPKT1_S3_S3_PS1_S4_S4_Pi.has_dyn_sized_stack, 0
	.set _ZN9rocsparseL18gtsv_LBM_wv_kernelILj256ELj16EfEEviiiPKT1_S3_S3_PS1_S4_S4_Pi.has_recursion, 0
	.set _ZN9rocsparseL18gtsv_LBM_wv_kernelILj256ELj16EfEEviiiPKT1_S3_S3_PS1_S4_S4_Pi.has_indirect_call, 0
	.section	.AMDGPU.csdata,"",@progbits
; Kernel info:
; codeLenInByte = 2240
; TotalNumSgprs: 35
; NumVgprs: 30
; ScratchSize: 0
; MemoryBound: 0
; FloatMode: 240
; IeeeMode: 1
; LDSByteSize: 0 bytes/workgroup (compile time only)
; SGPRBlocks: 4
; VGPRBlocks: 7
; NumSGPRsForWavesPerEU: 35
; NumVGPRsForWavesPerEU: 30
; Occupancy: 8
; WaveLimiterHint : 0
; COMPUTE_PGM_RSRC2:SCRATCH_EN: 0
; COMPUTE_PGM_RSRC2:USER_SGPR: 6
; COMPUTE_PGM_RSRC2:TRAP_HANDLER: 0
; COMPUTE_PGM_RSRC2:TGID_X_EN: 1
; COMPUTE_PGM_RSRC2:TGID_Y_EN: 0
; COMPUTE_PGM_RSRC2:TGID_Z_EN: 0
; COMPUTE_PGM_RSRC2:TIDIG_COMP_CNT: 0
	.section	.text._ZN9rocsparseL19gtsv_LBM_rhs_kernelILj256ELj16ELj8EfEEviiiPKT2_S3_S3_PS1_S3_PKi,"axG",@progbits,_ZN9rocsparseL19gtsv_LBM_rhs_kernelILj256ELj16ELj8EfEEviiiPKT2_S3_S3_PS1_S3_PKi,comdat
	.globl	_ZN9rocsparseL19gtsv_LBM_rhs_kernelILj256ELj16ELj8EfEEviiiPKT2_S3_S3_PS1_S3_PKi ; -- Begin function _ZN9rocsparseL19gtsv_LBM_rhs_kernelILj256ELj16ELj8EfEEviiiPKT2_S3_S3_PS1_S3_PKi
	.p2align	8
	.type	_ZN9rocsparseL19gtsv_LBM_rhs_kernelILj256ELj16ELj8EfEEviiiPKT2_S3_S3_PS1_S3_PKi,@function
_ZN9rocsparseL19gtsv_LBM_rhs_kernelILj256ELj16ELj8EfEEviiiPKT2_S3_S3_PS1_S3_PKi: ; @_ZN9rocsparseL19gtsv_LBM_rhs_kernelILj256ELj16ELj8EfEEviiiPKT2_S3_S3_PS1_S3_PKi
; %bb.0:
	s_load_dword s23, s[4:5], 0x0
	v_lshl_or_b32 v0, s6, 8, v0
	s_waitcnt lgkmcnt(0)
	s_lshr_b32 s22, s23, 4
	v_cmp_gt_i32_e32 vcc, s22, v0
	s_and_saveexec_b64 s[0:1], vcc
	s_cbranch_execz .LBB41_29
; %bb.1:
	s_load_dwordx4 s[8:11], s[4:5], 0x28
	s_load_dwordx2 s[16:17], s[4:5], 0x38
	s_cmp_lt_i32 s23, 1
	v_add_u32_e32 v19, s22, v0
	s_mul_i32 s24, s7, s23
	s_cbranch_scc1 .LBB41_21
; %bb.2:
	s_load_dwordx4 s[12:15], s[4:5], 0x10
	s_load_dwordx2 s[6:7], s[4:5], 0x20
	v_ashrrev_i32_e32 v1, 31, v0
	v_lshlrev_b64 v[1:2], 2, v[0:1]
	s_lshl_b32 s28, s24, 3
	s_waitcnt lgkmcnt(0)
	v_mov_b32_e32 v3, s15
	v_add_co_u32_e32 v1, vcc, s14, v1
	v_addc_co_u32_e32 v2, vcc, v3, v2, vcc
	global_load_dword v24, v[1:2], off
	s_add_i32 s29, s28, s23
	s_add_i32 s30, s29, s23
	;; [unrolled: 1-line block ×6, first 2 shown]
	s_mul_i32 s25, s22, 15
	s_mul_i32 s26, s22, 14
	s_lshl_b32 s27, s22, 1
	v_add_u32_e32 v20, s22, v19
	s_add_i32 s36, s35, s23
	v_mov_b32_e32 v2, 0
	s_mov_b64 s[18:19], 0
	v_mov_b32_e32 v22, s7
	v_mov_b32_e32 v21, 0
	s_branch .LBB41_5
.LBB41_3:                               ;   in Loop: Header=BB41_5 Depth=1
	s_or_b64 exec, exec, s[4:5]
	v_fma_f32 v24, -v24, v29, v25
	v_mov_b32_e32 v1, s22
.LBB41_4:                               ;   in Loop: Header=BB41_5 Depth=1
	s_or_b64 exec, exec, s[2:3]
	v_add_u32_e32 v21, v1, v21
	v_cmp_le_i32_e32 vcc, s23, v21
	s_or_b64 s[18:19], vcc, s[18:19]
	s_andn2_b64 exec, exec, s[18:19]
	s_cbranch_execz .LBB41_20
.LBB41_5:                               ; =>This Inner Loop Header: Depth=1
	v_add_u32_e32 v15, v21, v0
	v_ashrrev_i32_e32 v16, 31, v15
	v_lshlrev_b64 v[3:4], 2, v[15:16]
	v_cmp_gt_u32_e64 s[0:1], s25, v21
	v_add_co_u32_e32 v5, vcc, s6, v3
	v_addc_co_u32_e32 v6, vcc, v22, v4, vcc
	global_load_dword v27, v[5:6], off
	v_mov_b32_e32 v23, 0
	s_and_saveexec_b64 s[2:3], s[0:1]
	s_cbranch_execz .LBB41_7
; %bb.6:                                ;   in Loop: Header=BB41_5 Depth=1
	v_add_u32_e32 v5, v19, v21
	v_ashrrev_i32_e32 v6, 31, v5
	v_lshlrev_b64 v[5:6], 2, v[5:6]
	v_mov_b32_e32 v1, s13
	v_add_co_u32_e32 v5, vcc, s12, v5
	v_addc_co_u32_e32 v6, vcc, v1, v6, vcc
	global_load_dword v23, v[5:6], off
.LBB41_7:                               ;   in Loop: Header=BB41_5 Depth=1
	s_or_b64 exec, exec, s[2:3]
	v_mov_b32_e32 v26, 0
	v_mov_b32_e32 v25, 0
	s_and_saveexec_b64 s[2:3], s[0:1]
	s_cbranch_execz .LBB41_9
; %bb.8:                                ;   in Loop: Header=BB41_5 Depth=1
	v_add_u32_e32 v5, v19, v21
	v_ashrrev_i32_e32 v6, 31, v5
	v_lshlrev_b64 v[5:6], 2, v[5:6]
	v_mov_b32_e32 v1, s15
	v_add_co_u32_e32 v5, vcc, s14, v5
	v_addc_co_u32_e32 v6, vcc, v1, v6, vcc
	global_load_dword v25, v[5:6], off
.LBB41_9:                               ;   in Loop: Header=BB41_5 Depth=1
	s_or_b64 exec, exec, s[2:3]
	s_and_saveexec_b64 s[2:3], s[0:1]
	s_cbranch_execz .LBB41_11
; %bb.10:                               ;   in Loop: Header=BB41_5 Depth=1
	v_add_u32_e32 v5, v19, v21
	v_ashrrev_i32_e32 v6, 31, v5
	v_lshlrev_b64 v[5:6], 2, v[5:6]
	v_mov_b32_e32 v1, s7
	v_add_co_u32_e32 v5, vcc, s6, v5
	v_addc_co_u32_e32 v6, vcc, v1, v6, vcc
	global_load_dword v26, v[5:6], off
.LBB41_11:                              ;   in Loop: Header=BB41_5 Depth=1
	s_or_b64 exec, exec, s[2:3]
	v_cmp_gt_u32_e64 s[2:3], s26, v21
	v_mov_b32_e32 v28, 0
	s_and_saveexec_b64 s[4:5], s[2:3]
	s_cbranch_execz .LBB41_13
; %bb.12:                               ;   in Loop: Header=BB41_5 Depth=1
	v_add_u32_e32 v5, v20, v21
	v_ashrrev_i32_e32 v6, 31, v5
	v_lshlrev_b64 v[5:6], 2, v[5:6]
	v_mov_b32_e32 v1, s13
	v_add_co_u32_e32 v5, vcc, s12, v5
	v_addc_co_u32_e32 v6, vcc, v1, v6, vcc
	global_load_dword v28, v[5:6], off
.LBB41_13:                              ;   in Loop: Header=BB41_5 Depth=1
	s_or_b64 exec, exec, s[4:5]
	v_mov_b32_e32 v1, s17
	v_add_co_u32_e32 v3, vcc, s16, v3
	v_addc_co_u32_e32 v4, vcc, v1, v4, vcc
	v_add_u32_e32 v1, s28, v15
	global_load_dword v29, v[3:4], off
	v_lshlrev_b64 v[3:4], 2, v[1:2]
	s_waitcnt vmcnt(2)
	v_mov_b32_e32 v30, s9
	v_add_co_u32_e32 v17, vcc, s8, v3
	v_add_u32_e32 v1, s29, v15
	v_addc_co_u32_e32 v18, vcc, v30, v4, vcc
	v_lshlrev_b64 v[3:4], 2, v[1:2]
	v_add_u32_e32 v1, s30, v15
	v_add_co_u32_e32 v7, vcc, s8, v3
	v_addc_co_u32_e32 v8, vcc, v30, v4, vcc
	v_lshlrev_b64 v[3:4], 2, v[1:2]
	v_add_u32_e32 v1, s31, v15
	v_add_co_u32_e32 v11, vcc, s8, v3
	;; [unrolled: 4-line block ×3, first 2 shown]
	v_lshlrev_b64 v[5:6], 2, v[1:2]
	v_addc_co_u32_e32 v4, vcc, v30, v4, vcc
	v_add_u32_e32 v1, s34, v15
	v_add_co_u32_e32 v5, vcc, s8, v5
	v_lshlrev_b64 v[9:10], 2, v[1:2]
	v_addc_co_u32_e32 v6, vcc, v30, v6, vcc
	v_add_u32_e32 v1, s35, v15
	v_add_co_u32_e32 v9, vcc, s8, v9
	;; [unrolled: 4-line block ×3, first 2 shown]
	v_lshlrev_b64 v[15:16], 2, v[1:2]
	v_addc_co_u32_e32 v14, vcc, v30, v14, vcc
	v_add_co_u32_e32 v15, vcc, s8, v15
	v_addc_co_u32_e32 v16, vcc, v30, v16, vcc
	global_load_dword v37, v[17:18], off
	global_load_dword v36, v[7:8], off
	;; [unrolled: 1-line block ×8, first 2 shown]
	v_cmp_ne_u32_e64 s[4:5], s25, v21
	s_waitcnt vmcnt(8)
	v_cmp_ne_u32_e32 vcc, 1, v29
	s_and_b64 s[4:5], s[4:5], vcc
	v_mul_f32_e32 v29, v27, v23
	s_and_saveexec_b64 s[20:21], s[4:5]
	s_xor_b64 s[4:5], exec, s[20:21]
	s_cbranch_execz .LBB41_17
; %bb.14:                               ;   in Loop: Header=BB41_5 Depth=1
	v_add_u32_e32 v54, v19, v21
	v_add_u32_e32 v1, s28, v54
	v_lshlrev_b64 v[38:39], 2, v[1:2]
	v_mov_b32_e32 v55, s9
	v_add_co_u32_e32 v40, vcc, s8, v38
	v_add_u32_e32 v1, s29, v54
	v_addc_co_u32_e32 v41, vcc, v55, v39, vcc
	v_lshlrev_b64 v[38:39], 2, v[1:2]
	v_add_u32_e32 v1, s30, v54
	v_add_co_u32_e32 v42, vcc, s8, v38
	v_addc_co_u32_e32 v43, vcc, v55, v39, vcc
	v_lshlrev_b64 v[38:39], 2, v[1:2]
	v_add_u32_e32 v1, s31, v54
	v_add_co_u32_e32 v44, vcc, s8, v38
	;; [unrolled: 4-line block ×6, first 2 shown]
	v_addc_co_u32_e32 v53, vcc, v55, v39, vcc
	v_lshlrev_b64 v[38:39], 2, v[1:2]
	v_fma_f32 v1, v24, v25, -v29
	v_div_scale_f32 v29, s[20:21], v1, v1, 1.0
	v_add_co_u32_e32 v54, vcc, s8, v38
	v_addc_co_u32_e32 v55, vcc, v55, v39, vcc
	v_rcp_f32_e32 v38, v29
	v_fma_f32 v39, -v29, v38, 1.0
	v_fmac_f32_e32 v38, v39, v38
	v_div_scale_f32 v39, vcc, 1.0, v1, 1.0
	v_mul_f32_e32 v56, v39, v38
	v_fma_f32 v57, -v29, v56, v39
	v_fmac_f32_e32 v56, v57, v38
	v_fma_f32 v29, -v29, v56, v39
	v_div_fmas_f32 v29, v29, v38, v56
	v_div_fixup_f32 v29, v29, v1, 1.0
	global_load_dword v1, v[40:41], off
	global_load_dword v39, v[42:43], off
	;; [unrolled: 1-line block ×8, first 2 shown]
	s_waitcnt vmcnt(15)
	v_mul_f32_e32 v37, v29, v37
	s_waitcnt vmcnt(13)
	v_mul_f32_e32 v35, v29, v35
	;; [unrolled: 2-line block ×3, first 2 shown]
	v_mul_f32_e32 v1, v27, v38
	v_fma_f32 v1, v25, v37, -v1
	global_store_dword v[17:18], v1, off
	v_mul_f32_e32 v18, v29, v36
	s_waitcnt vmcnt(7)
	v_mul_f32_e32 v36, v29, v39
	v_mul_f32_e32 v1, v27, v36
	v_fma_f32 v1, v25, v18, -v1
	s_waitcnt vmcnt(6)
	v_mul_f32_e32 v39, v29, v56
	global_store_dword v[7:8], v1, off
	v_mul_f32_e32 v1, v27, v39
	v_fma_f32 v1, v25, v35, -v1
	global_store_dword v[11:12], v1, off
	s_waitcnt vmcnt(7)
	v_mul_f32_e32 v12, v29, v57
	v_mul_f32_e32 v7, v29, v34
	;; [unrolled: 1-line block ×3, first 2 shown]
	v_fma_f32 v1, v25, v7, -v1
	v_mul_f32_e32 v17, v29, v33
	s_waitcnt vmcnt(6)
	v_mul_f32_e32 v33, v29, v58
	global_store_dword v[3:4], v1, off
	v_mul_f32_e32 v1, v27, v33
	v_fma_f32 v1, v25, v17, -v1
	s_waitcnt vmcnt(6)
	v_mul_f32_e32 v11, v29, v59
	global_store_dword v[5:6], v1, off
	v_mul_f32_e32 v8, v29, v32
	v_mul_f32_e32 v1, v27, v11
	v_fma_f32 v1, v25, v8, -v1
	s_waitcnt vmcnt(6)
	v_mul_f32_e32 v6, v29, v60
	global_store_dword v[9:10], v1, off
	v_mul_f32_e32 v5, v29, v31
	;; [unrolled: 6-line block ×3, first 2 shown]
	v_mul_f32_e32 v1, v27, v4
	v_fma_f32 v1, v25, v3, -v1
	global_store_dword v[15:16], v1, off
	v_mul_f32_e32 v1, v23, v37
	v_fma_f32 v1, v24, v38, -v1
	global_store_dword v[40:41], v1, off
	;; [unrolled: 3-line block ×9, first 2 shown]
	v_mov_b32_e32 v1, 0
	s_and_saveexec_b64 s[20:21], s[2:3]
	s_cbranch_execz .LBB41_16
; %bb.15:                               ;   in Loop: Header=BB41_5 Depth=1
	v_add_u32_e32 v9, v20, v21
	v_add_u32_e32 v1, s28, v9
	v_lshlrev_b64 v[13:14], 2, v[1:2]
	v_mov_b32_e32 v25, s9
	v_add_co_u32_e32 v13, vcc, s8, v13
	v_addc_co_u32_e32 v14, vcc, v25, v14, vcc
	global_load_dword v10, v[13:14], off
	v_mul_f32_e32 v31, v24, v28
	v_mul_f32_e32 v30, v23, v28
	;; [unrolled: 1-line block ×3, first 2 shown]
	v_fma_f32 v27, v30, v37, -v1
	v_add_u32_e32 v1, s29, v9
	v_lshlrev_b64 v[15:16], 2, v[1:2]
	v_add_u32_e32 v1, s30, v9
	v_lshlrev_b64 v[23:24], 2, v[1:2]
	v_add_co_u32_e32 v15, vcc, s8, v15
	v_addc_co_u32_e32 v16, vcc, v25, v16, vcc
	global_load_dword v32, v[15:16], off
	v_add_co_u32_e32 v23, vcc, s8, v23
	v_addc_co_u32_e32 v24, vcc, v25, v24, vcc
	v_mul_f32_e32 v4, v31, v4
	v_fma_f32 v3, v30, v3, -v4
	s_waitcnt vmcnt(1)
	v_add_f32_e32 v1, v27, v10
	global_store_dword v[13:14], v1, off
	global_load_dword v10, v[23:24], off
	v_mul_f32_e32 v1, v31, v36
	v_mul_f32_e32 v13, v31, v39
	v_fma_f32 v18, v30, v18, -v1
	v_add_u32_e32 v1, s31, v9
	v_fma_f32 v34, v30, v35, -v13
	v_lshlrev_b64 v[13:14], 2, v[1:2]
	v_add_u32_e32 v1, s33, v9
	v_lshlrev_b64 v[27:28], 2, v[1:2]
	v_add_co_u32_e32 v13, vcc, s8, v13
	s_waitcnt vmcnt(2)
	v_add_f32_e32 v1, v18, v32
	v_addc_co_u32_e32 v14, vcc, v25, v14, vcc
	global_store_dword v[15:16], v1, off
	v_add_co_u32_e32 v27, vcc, s8, v27
	global_load_dword v18, v[13:14], off
	v_addc_co_u32_e32 v28, vcc, v25, v28, vcc
	s_waitcnt vmcnt(2)
	v_add_f32_e32 v1, v34, v10
	global_store_dword v[23:24], v1, off
	global_load_dword v10, v[27:28], off
	v_mul_f32_e32 v1, v31, v12
	v_fma_f32 v7, v30, v7, -v1
	v_add_u32_e32 v1, s34, v9
	v_mul_f32_e32 v12, v31, v33
	v_lshlrev_b64 v[15:16], 2, v[1:2]
	v_fma_f32 v12, v30, v17, -v12
	v_add_co_u32_e32 v15, vcc, s8, v15
	v_addc_co_u32_e32 v16, vcc, v25, v16, vcc
	s_waitcnt vmcnt(2)
	v_add_f32_e32 v1, v7, v18
	global_store_dword v[13:14], v1, off
	s_waitcnt vmcnt(1)
	v_add_f32_e32 v1, v12, v10
	global_store_dword v[27:28], v1, off
	global_load_dword v10, v[15:16], off
	v_mul_f32_e32 v1, v31, v11
	v_fma_f32 v11, v30, v8, -v1
	v_add_u32_e32 v1, s35, v9
	v_lshlrev_b64 v[7:8], 2, v[1:2]
	v_mov_b32_e32 v12, s15
	v_add_co_u32_e32 v7, vcc, s8, v7
	v_addc_co_u32_e32 v8, vcc, v25, v8, vcc
	s_waitcnt vmcnt(0)
	v_add_f32_e32 v1, v11, v10
	global_store_dword v[15:16], v1, off
	global_load_dword v11, v[7:8], off
	v_mul_f32_e32 v1, v31, v6
	v_ashrrev_i32_e32 v10, 31, v9
	v_fma_f32 v13, v30, v5, -v1
	v_add_u32_e32 v1, s36, v9
	v_lshlrev_b64 v[5:6], 2, v[9:10]
	v_lshlrev_b64 v[9:10], 2, v[1:2]
	v_add_co_u32_e32 v9, vcc, s8, v9
	v_addc_co_u32_e32 v10, vcc, v25, v10, vcc
	v_add_co_u32_e32 v5, vcc, s14, v5
	v_addc_co_u32_e32 v6, vcc, v12, v6, vcc
	global_load_dword v5, v[5:6], off
	v_mul_f32_e32 v6, v26, v31
	s_waitcnt vmcnt(1)
	v_add_f32_e32 v1, v13, v11
	global_store_dword v[7:8], v1, off
	global_load_dword v1, v[9:10], off
	s_waitcnt vmcnt(0)
	v_add_f32_e32 v1, v3, v1
	global_store_dword v[9:10], v1, off
	v_fma_f32 v1, -v29, v6, v5
.LBB41_16:                              ;   in Loop: Header=BB41_5 Depth=1
	s_or_b64 exec, exec, s[20:21]
	v_mov_b32_e32 v24, v1
                                        ; implicit-def: $vgpr23
                                        ; implicit-def: $vgpr25
                                        ; implicit-def: $vgpr29
                                        ; implicit-def: $vgpr17_vgpr18
                                        ; implicit-def: $vgpr37
                                        ; implicit-def: $vgpr7_vgpr8
                                        ; implicit-def: $vgpr36
                                        ; implicit-def: $vgpr11_vgpr12
                                        ; implicit-def: $vgpr35
                                        ; implicit-def: $vgpr3_vgpr4
                                        ; implicit-def: $vgpr34
                                        ; implicit-def: $vgpr5_vgpr6
                                        ; implicit-def: $vgpr33
                                        ; implicit-def: $vgpr9_vgpr10
                                        ; implicit-def: $vgpr32
                                        ; implicit-def: $vgpr13_vgpr14
                                        ; implicit-def: $vgpr31
                                        ; implicit-def: $vgpr15_vgpr16
                                        ; implicit-def: $vgpr30
.LBB41_17:                              ;   in Loop: Header=BB41_5 Depth=1
	s_or_saveexec_b64 s[2:3], s[4:5]
	v_mov_b32_e32 v1, s27
	s_xor_b64 exec, exec, s[2:3]
	s_cbranch_execz .LBB41_4
; %bb.18:                               ;   in Loop: Header=BB41_5 Depth=1
	v_div_scale_f32 v1, s[4:5], v24, v24, 1.0
	v_div_scale_f32 v26, vcc, 1.0, v24, 1.0
	v_rcp_f32_e32 v27, v1
	v_fma_f32 v28, -v1, v27, 1.0
	v_fmac_f32_e32 v27, v28, v27
	v_mul_f32_e32 v28, v26, v27
	v_fma_f32 v38, -v1, v28, v26
	v_fmac_f32_e32 v28, v38, v27
	v_fma_f32 v1, -v1, v28, v26
	v_div_fmas_f32 v1, v1, v27, v28
	v_div_fixup_f32 v24, v1, v24, 1.0
	s_waitcnt vmcnt(7)
	v_mul_f32_e32 v37, v24, v37
	s_waitcnt vmcnt(6)
	v_mul_f32_e32 v36, v24, v36
	;; [unrolled: 2-line block ×8, first 2 shown]
	global_store_dword v[17:18], v37, off
	global_store_dword v[7:8], v36, off
	;; [unrolled: 1-line block ×8, first 2 shown]
	s_and_saveexec_b64 s[4:5], s[0:1]
	s_cbranch_execz .LBB41_3
; %bb.19:                               ;   in Loop: Header=BB41_5 Depth=1
	v_add_u32_e32 v11, v19, v21
	v_add_u32_e32 v1, s28, v11
	v_lshlrev_b64 v[3:4], 2, v[1:2]
	v_mov_b32_e32 v12, s9
	v_add_co_u32_e32 v3, vcc, s8, v3
	v_addc_co_u32_e32 v4, vcc, v12, v4, vcc
	global_load_dword v9, v[3:4], off
	v_add_u32_e32 v1, s29, v11
	v_lshlrev_b64 v[5:6], 2, v[1:2]
	v_add_u32_e32 v1, s30, v11
	v_lshlrev_b64 v[7:8], 2, v[1:2]
	v_add_co_u32_e32 v5, vcc, s8, v5
	v_addc_co_u32_e32 v6, vcc, v12, v6, vcc
	global_load_dword v13, v[5:6], off
	v_add_co_u32_e32 v7, vcc, s8, v7
	v_addc_co_u32_e32 v8, vcc, v12, v8, vcc
	s_waitcnt vmcnt(1)
	v_fma_f32 v1, -v23, v37, v9
	global_store_dword v[3:4], v1, off
	global_load_dword v14, v[7:8], off
	v_add_u32_e32 v1, s31, v11
	v_lshlrev_b64 v[3:4], 2, v[1:2]
	v_add_u32_e32 v1, s33, v11
	v_lshlrev_b64 v[9:10], 2, v[1:2]
	v_add_co_u32_e32 v3, vcc, s8, v3
	s_waitcnt vmcnt(2)
	v_fma_f32 v1, -v23, v36, v13
	v_addc_co_u32_e32 v4, vcc, v12, v4, vcc
	global_store_dword v[5:6], v1, off
	v_add_co_u32_e32 v9, vcc, s8, v9
	global_load_dword v13, v[3:4], off
	v_addc_co_u32_e32 v10, vcc, v12, v10, vcc
	s_waitcnt vmcnt(2)
	v_fma_f32 v1, -v23, v35, v14
	global_store_dword v[7:8], v1, off
	global_load_dword v7, v[9:10], off
	v_add_u32_e32 v1, s34, v11
	v_lshlrev_b64 v[5:6], 2, v[1:2]
	v_add_co_u32_e32 v5, vcc, s8, v5
	v_addc_co_u32_e32 v6, vcc, v12, v6, vcc
	s_waitcnt vmcnt(2)
	v_fma_f32 v1, -v23, v34, v13
	global_store_dword v[3:4], v1, off
	s_waitcnt vmcnt(1)
	v_fma_f32 v1, -v23, v33, v7
	global_store_dword v[9:10], v1, off
	global_load_dword v7, v[5:6], off
	v_add_u32_e32 v1, s35, v11
	v_lshlrev_b64 v[3:4], 2, v[1:2]
	v_add_co_u32_e32 v3, vcc, s8, v3
	v_addc_co_u32_e32 v4, vcc, v12, v4, vcc
	s_waitcnt vmcnt(0)
	v_fma_f32 v1, -v23, v28, v7
	global_store_dword v[5:6], v1, off
	global_load_dword v7, v[3:4], off
	v_add_u32_e32 v1, s36, v11
	v_lshlrev_b64 v[5:6], 2, v[1:2]
	s_waitcnt vmcnt(0)
	v_fma_f32 v1, -v23, v27, v7
	global_store_dword v[3:4], v1, off
	v_add_co_u32_e32 v3, vcc, s8, v5
	v_addc_co_u32_e32 v4, vcc, v12, v6, vcc
	global_load_dword v1, v[3:4], off
	s_waitcnt vmcnt(0)
	v_fma_f32 v1, -v23, v26, v1
	global_store_dword v[3:4], v1, off
	s_branch .LBB41_3
.LBB41_20:
	s_or_b64 exec, exec, s[18:19]
	s_branch .LBB41_22
.LBB41_21:
	v_mov_b32_e32 v21, 0
.LBB41_22:
	v_subrev_u32_e32 v3, s22, v21
	v_add_u32_e32 v1, v3, v0
	v_ashrrev_i32_e32 v2, 31, v1
	v_lshlrev_b64 v[1:2], 2, v[1:2]
	s_waitcnt lgkmcnt(0)
	v_mov_b32_e32 v4, s17
	v_add_co_u32_e32 v1, vcc, s16, v1
	v_addc_co_u32_e32 v2, vcc, v4, v2, vcc
	s_waitcnt vmcnt(0)
	buffer_wbinvl1_vol
	global_load_dword v1, v[1:2], off
	s_waitcnt vmcnt(0)
	v_mul_lo_u32 v1, v1, s22
	v_sub_u32_e32 v5, v3, v1
	v_cmp_lt_i32_e32 vcc, -1, v5
	s_and_b64 exec, exec, vcc
	s_cbranch_execz .LBB41_29
; %bb.23:
	s_lshl_b32 s4, s24, 3
	s_add_i32 s5, s4, s23
	s_add_i32 s6, s5, s23
	;; [unrolled: 1-line block ×7, first 2 shown]
	s_lshl_b32 s18, s22, 1
	s_mov_b64 s[0:1], 0
	v_mov_b32_e32 v6, s17
	v_mov_b32_e32 v7, s11
	;; [unrolled: 1-line block ×3, first 2 shown]
	s_branch .LBB41_25
.LBB41_24:                              ;   in Loop: Header=BB41_25 Depth=1
	s_or_b64 exec, exec, s[2:3]
	v_sub_u32_e32 v5, v5, v1
	v_cmp_gt_i32_e32 vcc, 0, v5
	s_or_b64 s[0:1], vcc, s[0:1]
	s_andn2_b64 exec, exec, s[0:1]
	s_cbranch_execz .LBB41_29
.LBB41_25:                              ; =>This Inner Loop Header: Depth=1
	v_add_u32_e32 v3, v5, v0
	s_waitcnt vmcnt(0)
	v_ashrrev_i32_e32 v4, 31, v3
	v_lshlrev_b64 v[8:9], 2, v[3:4]
	v_add_co_u32_e32 v10, vcc, s16, v8
	v_addc_co_u32_e32 v11, vcc, v6, v9, vcc
	v_add_co_u32_e32 v8, vcc, s10, v8
	global_load_dword v1, v[10:11], off
	v_addc_co_u32_e32 v9, vcc, v7, v9, vcc
	global_load_dword v4, v[8:9], off
	s_waitcnt vmcnt(1)
	v_cmp_ne_u32_e32 vcc, 1, v1
	s_and_saveexec_b64 s[2:3], vcc
	s_xor_b64 s[2:3], exec, s[2:3]
	s_cbranch_execz .LBB41_27
; %bb.26:                               ;   in Loop: Header=BB41_25 Depth=1
	v_add_u32_e32 v18, v19, v5
	v_add_u32_e32 v1, s4, v18
	v_lshlrev_b64 v[8:9], 2, v[1:2]
	v_mov_b32_e32 v1, s9
	v_add_co_u32_e32 v8, vcc, s8, v8
	v_addc_co_u32_e32 v9, vcc, v1, v9, vcc
	v_add_u32_e32 v1, s5, v18
	global_load_dword v28, v[8:9], off
	v_lshlrev_b64 v[8:9], 2, v[1:2]
	v_add_u32_e32 v1, s6, v18
	v_lshlrev_b64 v[10:11], 2, v[1:2]
	v_add_u32_e32 v1, s7, v18
	;; [unrolled: 2-line block ×7, first 2 shown]
	v_lshlrev_b64 v[24:25], 2, v[1:2]
	v_mov_b32_e32 v1, s9
	v_add_co_u32_e32 v24, vcc, s8, v24
	v_addc_co_u32_e32 v25, vcc, v1, v25, vcc
	global_load_dword v18, v[24:25], off
	v_add_co_u32_e32 v8, vcc, s8, v8
	v_addc_co_u32_e32 v9, vcc, v1, v9, vcc
	v_mov_b32_e32 v26, s9
	v_add_co_u32_e32 v10, vcc, s8, v10
	v_addc_co_u32_e32 v11, vcc, v26, v11, vcc
	v_mov_b32_e32 v27, s9
	;; [unrolled: 3-line block ×5, first 2 shown]
	v_add_co_u32_e32 v20, vcc, s8, v20
	v_addc_co_u32_e32 v21, vcc, v31, v21, vcc
	v_add_u32_e32 v1, s5, v3
	v_mov_b32_e32 v32, s9
	v_add_co_u32_e32 v22, vcc, s8, v22
	v_lshlrev_b64 v[26:27], 2, v[1:2]
	v_addc_co_u32_e32 v23, vcc, v32, v23, vcc
	v_mov_b32_e32 v33, s9
	global_load_dword v29, v[8:9], off
	global_load_dword v30, v[10:11], off
	;; [unrolled: 1-line block ×7, first 2 shown]
	v_add_co_u32_e32 v8, vcc, s8, v26
	v_addc_co_u32_e32 v9, vcc, v33, v27, vcc
	v_mov_b32_e32 v13, s9
	s_waitcnt vmcnt(7)
	v_fma_f32 v1, -v4, v28, v18
	global_store_dword v[24:25], v1, off
	global_load_dword v12, v[8:9], off
	v_add_u32_e32 v1, s6, v3
	v_lshlrev_b64 v[10:11], 2, v[1:2]
	v_add_co_u32_e32 v10, vcc, s8, v10
	v_addc_co_u32_e32 v11, vcc, v13, v11, vcc
	s_waitcnt vmcnt(0)
	v_fma_f32 v1, -v4, v29, v12
	global_store_dword v[8:9], v1, off
	global_load_dword v12, v[10:11], off
	v_add_u32_e32 v1, s7, v3
	v_lshlrev_b64 v[8:9], 2, v[1:2]
	v_add_co_u32_e32 v8, vcc, s8, v8
	v_addc_co_u32_e32 v9, vcc, v13, v9, vcc
	;; [unrolled: 8-line block ×6, first 2 shown]
	s_waitcnt vmcnt(0)
	v_fma_f32 v1, -v4, v35, v12
	global_store_dword v[10:11], v1, off
	global_load_dword v3, v[8:9], off
	v_subrev_u32_e32 v1, s22, v5
	v_add_u32_e32 v10, v1, v0
	v_ashrrev_i32_e32 v11, 31, v10
	v_lshlrev_b64 v[11:12], 2, v[10:11]
	v_add_u32_e32 v1, s4, v10
	v_add_co_u32_e32 v11, vcc, s10, v11
	v_addc_co_u32_e32 v12, vcc, v7, v12, vcc
	global_load_dword v14, v[11:12], off
	v_lshlrev_b64 v[11:12], 2, v[1:2]
	v_add_co_u32_e32 v11, vcc, s8, v11
	v_addc_co_u32_e32 v12, vcc, v13, v12, vcc
	s_waitcnt vmcnt(1)
	v_fma_f32 v1, -v4, v36, v3
	global_store_dword v[8:9], v1, off
	global_load_dword v8, v[11:12], off
	v_add_u32_e32 v1, s5, v10
	v_lshlrev_b64 v[3:4], 2, v[1:2]
	v_mov_b32_e32 v9, s9
	v_add_co_u32_e32 v3, vcc, s8, v3
	v_addc_co_u32_e32 v4, vcc, v9, v4, vcc
	s_waitcnt vmcnt(0)
	v_fma_f32 v1, -v14, v28, v8
	global_store_dword v[11:12], v1, off
	global_load_dword v11, v[3:4], off
	v_add_u32_e32 v1, s6, v10
	v_lshlrev_b64 v[8:9], 2, v[1:2]
	v_mov_b32_e32 v12, s9
	v_add_co_u32_e32 v8, vcc, s8, v8
	v_addc_co_u32_e32 v9, vcc, v12, v9, vcc
	s_waitcnt vmcnt(0)
	v_fma_f32 v1, -v14, v29, v11
	global_store_dword v[3:4], v1, off
	global_load_dword v11, v[8:9], off
	v_add_u32_e32 v1, s7, v10
	v_lshlrev_b64 v[3:4], 2, v[1:2]
	v_add_co_u32_e32 v3, vcc, s8, v3
	v_addc_co_u32_e32 v4, vcc, v12, v4, vcc
	s_waitcnt vmcnt(0)
	v_fma_f32 v1, -v14, v30, v11
	global_store_dword v[8:9], v1, off
	global_load_dword v11, v[3:4], off
	v_add_u32_e32 v1, s12, v10
	v_lshlrev_b64 v[8:9], 2, v[1:2]
	;; [unrolled: 8-line block ×5, first 2 shown]
	v_add_co_u32_e32 v3, vcc, s8, v3
	v_addc_co_u32_e32 v4, vcc, v12, v4, vcc
	s_waitcnt vmcnt(0)
	v_fma_f32 v1, -v14, v35, v11
	global_store_dword v[8:9], v1, off
	global_load_dword v1, v[3:4], off
	s_waitcnt vmcnt(0)
	v_fma_f32 v1, -v14, v36, v1
	global_store_dword v[3:4], v1, off
                                        ; implicit-def: $vgpr3
                                        ; implicit-def: $vgpr4
.LBB41_27:                              ;   in Loop: Header=BB41_25 Depth=1
	s_or_saveexec_b64 s[2:3], s[2:3]
	v_mov_b32_e32 v1, s18
	s_xor_b64 exec, exec, s[2:3]
	s_cbranch_execz .LBB41_24
; %bb.28:                               ;   in Loop: Header=BB41_25 Depth=1
	v_add_u32_e32 v14, v19, v5
	v_add_u32_e32 v1, s4, v14
	v_lshlrev_b64 v[8:9], 2, v[1:2]
	v_mov_b32_e32 v1, s9
	v_add_co_u32_e32 v8, vcc, s8, v8
	v_addc_co_u32_e32 v9, vcc, v1, v9, vcc
	v_add_u32_e32 v1, s4, v3
	v_lshlrev_b64 v[10:11], 2, v[1:2]
	v_mov_b32_e32 v1, s9
	v_add_co_u32_e32 v10, vcc, s8, v10
	v_addc_co_u32_e32 v11, vcc, v1, v11, vcc
	global_load_dword v15, v[8:9], off
	global_load_dword v16, v[10:11], off
	v_add_u32_e32 v1, s5, v14
	v_lshlrev_b64 v[8:9], 2, v[1:2]
	v_add_u32_e32 v1, s5, v3
	v_mov_b32_e32 v17, s9
	v_lshlrev_b64 v[12:13], 2, v[1:2]
	v_add_co_u32_e32 v8, vcc, s8, v8
	v_addc_co_u32_e32 v9, vcc, v17, v9, vcc
	v_mov_b32_e32 v18, s9
	v_add_co_u32_e32 v12, vcc, s8, v12
	v_addc_co_u32_e32 v13, vcc, v18, v13, vcc
	s_waitcnt vmcnt(0)
	v_fma_f32 v1, -v4, v15, v16
	global_store_dword v[10:11], v1, off
	global_load_dword v15, v[8:9], off
	global_load_dword v16, v[12:13], off
	v_add_u32_e32 v1, s6, v14
	v_lshlrev_b64 v[8:9], 2, v[1:2]
	v_add_u32_e32 v1, s6, v3
	v_lshlrev_b64 v[10:11], 2, v[1:2]
	v_add_co_u32_e32 v8, vcc, s8, v8
	v_addc_co_u32_e32 v9, vcc, v17, v9, vcc
	v_add_co_u32_e32 v10, vcc, s8, v10
	v_addc_co_u32_e32 v11, vcc, v18, v11, vcc
	s_waitcnt vmcnt(0)
	v_fma_f32 v1, -v4, v15, v16
	global_store_dword v[12:13], v1, off
	global_load_dword v15, v[8:9], off
	global_load_dword v16, v[10:11], off
	v_add_u32_e32 v1, s7, v14
	v_lshlrev_b64 v[8:9], 2, v[1:2]
	v_add_u32_e32 v1, s7, v3
	v_lshlrev_b64 v[12:13], 2, v[1:2]
	v_add_co_u32_e32 v8, vcc, s8, v8
	v_addc_co_u32_e32 v9, vcc, v17, v9, vcc
	;; [unrolled: 13-line block ×6, first 2 shown]
	v_add_co_u32_e32 v12, vcc, s8, v12
	v_addc_co_u32_e32 v13, vcc, v18, v13, vcc
	s_waitcnt vmcnt(0)
	v_fma_f32 v1, -v4, v15, v16
	global_store_dword v[10:11], v1, off
	global_load_dword v1, v[8:9], off
	s_nop 0
	global_load_dword v3, v[12:13], off
	s_waitcnt vmcnt(0)
	v_fma_f32 v1, -v4, v1, v3
	global_store_dword v[12:13], v1, off
	v_mov_b32_e32 v1, s22
	s_branch .LBB41_24
.LBB41_29:
	s_endpgm
	.section	.rodata,"a",@progbits
	.p2align	6, 0x0
	.amdhsa_kernel _ZN9rocsparseL19gtsv_LBM_rhs_kernelILj256ELj16ELj8EfEEviiiPKT2_S3_S3_PS1_S3_PKi
		.amdhsa_group_segment_fixed_size 0
		.amdhsa_private_segment_fixed_size 0
		.amdhsa_kernarg_size 64
		.amdhsa_user_sgpr_count 6
		.amdhsa_user_sgpr_private_segment_buffer 1
		.amdhsa_user_sgpr_dispatch_ptr 0
		.amdhsa_user_sgpr_queue_ptr 0
		.amdhsa_user_sgpr_kernarg_segment_ptr 1
		.amdhsa_user_sgpr_dispatch_id 0
		.amdhsa_user_sgpr_flat_scratch_init 0
		.amdhsa_user_sgpr_private_segment_size 0
		.amdhsa_uses_dynamic_stack 0
		.amdhsa_system_sgpr_private_segment_wavefront_offset 0
		.amdhsa_system_sgpr_workgroup_id_x 1
		.amdhsa_system_sgpr_workgroup_id_y 1
		.amdhsa_system_sgpr_workgroup_id_z 0
		.amdhsa_system_sgpr_workgroup_info 0
		.amdhsa_system_vgpr_workitem_id 0
		.amdhsa_next_free_vgpr 62
		.amdhsa_next_free_sgpr 37
		.amdhsa_reserve_vcc 1
		.amdhsa_reserve_flat_scratch 0
		.amdhsa_float_round_mode_32 0
		.amdhsa_float_round_mode_16_64 0
		.amdhsa_float_denorm_mode_32 3
		.amdhsa_float_denorm_mode_16_64 3
		.amdhsa_dx10_clamp 1
		.amdhsa_ieee_mode 1
		.amdhsa_fp16_overflow 0
		.amdhsa_exception_fp_ieee_invalid_op 0
		.amdhsa_exception_fp_denorm_src 0
		.amdhsa_exception_fp_ieee_div_zero 0
		.amdhsa_exception_fp_ieee_overflow 0
		.amdhsa_exception_fp_ieee_underflow 0
		.amdhsa_exception_fp_ieee_inexact 0
		.amdhsa_exception_int_div_zero 0
	.end_amdhsa_kernel
	.section	.text._ZN9rocsparseL19gtsv_LBM_rhs_kernelILj256ELj16ELj8EfEEviiiPKT2_S3_S3_PS1_S3_PKi,"axG",@progbits,_ZN9rocsparseL19gtsv_LBM_rhs_kernelILj256ELj16ELj8EfEEviiiPKT2_S3_S3_PS1_S3_PKi,comdat
.Lfunc_end41:
	.size	_ZN9rocsparseL19gtsv_LBM_rhs_kernelILj256ELj16ELj8EfEEviiiPKT2_S3_S3_PS1_S3_PKi, .Lfunc_end41-_ZN9rocsparseL19gtsv_LBM_rhs_kernelILj256ELj16ELj8EfEEviiiPKT2_S3_S3_PS1_S3_PKi
                                        ; -- End function
	.set _ZN9rocsparseL19gtsv_LBM_rhs_kernelILj256ELj16ELj8EfEEviiiPKT2_S3_S3_PS1_S3_PKi.num_vgpr, 62
	.set _ZN9rocsparseL19gtsv_LBM_rhs_kernelILj256ELj16ELj8EfEEviiiPKT2_S3_S3_PS1_S3_PKi.num_agpr, 0
	.set _ZN9rocsparseL19gtsv_LBM_rhs_kernelILj256ELj16ELj8EfEEviiiPKT2_S3_S3_PS1_S3_PKi.numbered_sgpr, 37
	.set _ZN9rocsparseL19gtsv_LBM_rhs_kernelILj256ELj16ELj8EfEEviiiPKT2_S3_S3_PS1_S3_PKi.num_named_barrier, 0
	.set _ZN9rocsparseL19gtsv_LBM_rhs_kernelILj256ELj16ELj8EfEEviiiPKT2_S3_S3_PS1_S3_PKi.private_seg_size, 0
	.set _ZN9rocsparseL19gtsv_LBM_rhs_kernelILj256ELj16ELj8EfEEviiiPKT2_S3_S3_PS1_S3_PKi.uses_vcc, 1
	.set _ZN9rocsparseL19gtsv_LBM_rhs_kernelILj256ELj16ELj8EfEEviiiPKT2_S3_S3_PS1_S3_PKi.uses_flat_scratch, 0
	.set _ZN9rocsparseL19gtsv_LBM_rhs_kernelILj256ELj16ELj8EfEEviiiPKT2_S3_S3_PS1_S3_PKi.has_dyn_sized_stack, 0
	.set _ZN9rocsparseL19gtsv_LBM_rhs_kernelILj256ELj16ELj8EfEEviiiPKT2_S3_S3_PS1_S3_PKi.has_recursion, 0
	.set _ZN9rocsparseL19gtsv_LBM_rhs_kernelILj256ELj16ELj8EfEEviiiPKT2_S3_S3_PS1_S3_PKi.has_indirect_call, 0
	.section	.AMDGPU.csdata,"",@progbits
; Kernel info:
; codeLenInByte = 4644
; TotalNumSgprs: 41
; NumVgprs: 62
; ScratchSize: 0
; MemoryBound: 0
; FloatMode: 240
; IeeeMode: 1
; LDSByteSize: 0 bytes/workgroup (compile time only)
; SGPRBlocks: 5
; VGPRBlocks: 15
; NumSGPRsForWavesPerEU: 41
; NumVGPRsForWavesPerEU: 62
; Occupancy: 4
; WaveLimiterHint : 0
; COMPUTE_PGM_RSRC2:SCRATCH_EN: 0
; COMPUTE_PGM_RSRC2:USER_SGPR: 6
; COMPUTE_PGM_RSRC2:TRAP_HANDLER: 0
; COMPUTE_PGM_RSRC2:TGID_X_EN: 1
; COMPUTE_PGM_RSRC2:TGID_Y_EN: 1
; COMPUTE_PGM_RSRC2:TGID_Z_EN: 0
; COMPUTE_PGM_RSRC2:TIDIG_COMP_CNT: 0
	.section	.text._ZN9rocsparseL19gtsv_LBM_rhs_kernelILj256ELj16ELj4EfEEviiiPKT2_S3_S3_PS1_S3_PKi,"axG",@progbits,_ZN9rocsparseL19gtsv_LBM_rhs_kernelILj256ELj16ELj4EfEEviiiPKT2_S3_S3_PS1_S3_PKi,comdat
	.globl	_ZN9rocsparseL19gtsv_LBM_rhs_kernelILj256ELj16ELj4EfEEviiiPKT2_S3_S3_PS1_S3_PKi ; -- Begin function _ZN9rocsparseL19gtsv_LBM_rhs_kernelILj256ELj16ELj4EfEEviiiPKT2_S3_S3_PS1_S3_PKi
	.p2align	8
	.type	_ZN9rocsparseL19gtsv_LBM_rhs_kernelILj256ELj16ELj4EfEEviiiPKT2_S3_S3_PS1_S3_PKi,@function
_ZN9rocsparseL19gtsv_LBM_rhs_kernelILj256ELj16ELj4EfEEviiiPKT2_S3_S3_PS1_S3_PKi: ; @_ZN9rocsparseL19gtsv_LBM_rhs_kernelILj256ELj16ELj4EfEEviiiPKT2_S3_S3_PS1_S3_PKi
; %bb.0:
	s_load_dword s23, s[4:5], 0x0
	v_lshl_or_b32 v0, s6, 8, v0
	s_waitcnt lgkmcnt(0)
	s_lshr_b32 s22, s23, 4
	v_cmp_gt_i32_e32 vcc, s22, v0
	s_and_saveexec_b64 s[0:1], vcc
	s_cbranch_execz .LBB42_29
; %bb.1:
	s_load_dwordx4 s[8:11], s[4:5], 0x28
	s_load_dwordx2 s[16:17], s[4:5], 0x38
	s_cmp_lt_i32 s23, 1
	v_add_u32_e32 v11, s22, v0
	s_mul_i32 s24, s7, s23
	s_cbranch_scc1 .LBB42_21
; %bb.2:
	s_load_dwordx4 s[12:15], s[4:5], 0x10
	s_load_dwordx2 s[6:7], s[4:5], 0x20
	v_ashrrev_i32_e32 v1, 31, v0
	v_lshlrev_b64 v[1:2], 2, v[0:1]
	s_lshl_b32 s28, s24, 2
	s_waitcnt lgkmcnt(0)
	v_mov_b32_e32 v3, s15
	v_add_co_u32_e32 v1, vcc, s14, v1
	v_addc_co_u32_e32 v2, vcc, v3, v2, vcc
	global_load_dword v16, v[1:2], off
	s_add_i32 s29, s28, s23
	s_add_i32 s30, s29, s23
	s_mul_i32 s25, s22, 15
	s_mul_i32 s26, s22, 14
	s_lshl_b32 s27, s22, 1
	v_add_u32_e32 v13, s22, v11
	s_add_i32 s31, s30, s23
	v_mov_b32_e32 v2, 0
	s_mov_b64 s[18:19], 0
	v_mov_b32_e32 v14, s7
	v_mov_b32_e32 v12, 0
	s_branch .LBB42_5
.LBB42_3:                               ;   in Loop: Header=BB42_5 Depth=1
	s_or_b64 exec, exec, s[4:5]
	v_fma_f32 v16, -v16, v22, v18
	v_mov_b32_e32 v1, s22
.LBB42_4:                               ;   in Loop: Header=BB42_5 Depth=1
	s_or_b64 exec, exec, s[2:3]
	v_add_u32_e32 v12, v1, v12
	v_cmp_le_i32_e32 vcc, s23, v12
	s_or_b64 s[18:19], vcc, s[18:19]
	s_andn2_b64 exec, exec, s[18:19]
	s_cbranch_execz .LBB42_20
.LBB42_5:                               ; =>This Inner Loop Header: Depth=1
	v_add_u32_e32 v9, v12, v0
	v_ashrrev_i32_e32 v10, 31, v9
	v_lshlrev_b64 v[3:4], 2, v[9:10]
	v_cmp_gt_u32_e64 s[0:1], s25, v12
	v_add_co_u32_e32 v5, vcc, s6, v3
	v_addc_co_u32_e32 v6, vcc, v14, v4, vcc
	global_load_dword v19, v[5:6], off
	v_mov_b32_e32 v15, 0
	s_and_saveexec_b64 s[2:3], s[0:1]
	s_cbranch_execz .LBB42_7
; %bb.6:                                ;   in Loop: Header=BB42_5 Depth=1
	v_add_u32_e32 v5, v11, v12
	v_ashrrev_i32_e32 v6, 31, v5
	v_lshlrev_b64 v[5:6], 2, v[5:6]
	v_mov_b32_e32 v1, s13
	v_add_co_u32_e32 v5, vcc, s12, v5
	v_addc_co_u32_e32 v6, vcc, v1, v6, vcc
	global_load_dword v15, v[5:6], off
.LBB42_7:                               ;   in Loop: Header=BB42_5 Depth=1
	s_or_b64 exec, exec, s[2:3]
	v_mov_b32_e32 v17, 0
	v_mov_b32_e32 v18, 0
	s_and_saveexec_b64 s[2:3], s[0:1]
	s_cbranch_execz .LBB42_9
; %bb.8:                                ;   in Loop: Header=BB42_5 Depth=1
	v_add_u32_e32 v5, v11, v12
	v_ashrrev_i32_e32 v6, 31, v5
	v_lshlrev_b64 v[5:6], 2, v[5:6]
	v_mov_b32_e32 v1, s15
	v_add_co_u32_e32 v5, vcc, s14, v5
	v_addc_co_u32_e32 v6, vcc, v1, v6, vcc
	global_load_dword v18, v[5:6], off
.LBB42_9:                               ;   in Loop: Header=BB42_5 Depth=1
	s_or_b64 exec, exec, s[2:3]
	s_and_saveexec_b64 s[2:3], s[0:1]
	s_cbranch_execz .LBB42_11
; %bb.10:                               ;   in Loop: Header=BB42_5 Depth=1
	v_add_u32_e32 v5, v11, v12
	v_ashrrev_i32_e32 v6, 31, v5
	v_lshlrev_b64 v[5:6], 2, v[5:6]
	v_mov_b32_e32 v1, s7
	v_add_co_u32_e32 v5, vcc, s6, v5
	v_addc_co_u32_e32 v6, vcc, v1, v6, vcc
	global_load_dword v17, v[5:6], off
.LBB42_11:                              ;   in Loop: Header=BB42_5 Depth=1
	s_or_b64 exec, exec, s[2:3]
	v_cmp_gt_u32_e64 s[2:3], s26, v12
	v_mov_b32_e32 v20, 0
	s_and_saveexec_b64 s[4:5], s[2:3]
	s_cbranch_execz .LBB42_13
; %bb.12:                               ;   in Loop: Header=BB42_5 Depth=1
	v_add_u32_e32 v5, v13, v12
	v_ashrrev_i32_e32 v6, 31, v5
	v_lshlrev_b64 v[5:6], 2, v[5:6]
	v_mov_b32_e32 v1, s13
	v_add_co_u32_e32 v5, vcc, s12, v5
	v_addc_co_u32_e32 v6, vcc, v1, v6, vcc
	global_load_dword v20, v[5:6], off
.LBB42_13:                              ;   in Loop: Header=BB42_5 Depth=1
	s_or_b64 exec, exec, s[4:5]
	v_mov_b32_e32 v1, s17
	v_add_co_u32_e32 v3, vcc, s16, v3
	v_addc_co_u32_e32 v4, vcc, v1, v4, vcc
	v_add_u32_e32 v1, s28, v9
	global_load_dword v22, v[3:4], off
	v_lshlrev_b64 v[3:4], 2, v[1:2]
	v_add_u32_e32 v1, s29, v9
	s_waitcnt vmcnt(2)
	v_mov_b32_e32 v21, s9
	v_add_co_u32_e32 v3, vcc, s8, v3
	v_lshlrev_b64 v[5:6], 2, v[1:2]
	v_addc_co_u32_e32 v4, vcc, v21, v4, vcc
	v_add_u32_e32 v1, s30, v9
	v_add_co_u32_e32 v5, vcc, s8, v5
	v_lshlrev_b64 v[7:8], 2, v[1:2]
	v_addc_co_u32_e32 v6, vcc, v21, v6, vcc
	v_add_u32_e32 v1, s31, v9
	v_add_co_u32_e32 v7, vcc, s8, v7
	v_lshlrev_b64 v[9:10], 2, v[1:2]
	v_addc_co_u32_e32 v8, vcc, v21, v8, vcc
	v_add_co_u32_e32 v9, vcc, s8, v9
	v_addc_co_u32_e32 v10, vcc, v21, v10, vcc
	global_load_dword v25, v[3:4], off
	global_load_dword v24, v[5:6], off
	;; [unrolled: 1-line block ×4, first 2 shown]
	v_cmp_ne_u32_e64 s[4:5], s25, v12
	s_waitcnt vmcnt(4)
	v_cmp_ne_u32_e32 vcc, 1, v22
	s_and_b64 s[4:5], s[4:5], vcc
	v_mul_f32_e32 v22, v19, v15
	s_and_saveexec_b64 s[20:21], s[4:5]
	s_xor_b64 s[4:5], exec, s[20:21]
	s_cbranch_execz .LBB42_17
; %bb.14:                               ;   in Loop: Header=BB42_5 Depth=1
	v_add_u32_e32 v34, v11, v12
	v_add_u32_e32 v1, s28, v34
	v_lshlrev_b64 v[26:27], 2, v[1:2]
	v_mov_b32_e32 v35, s9
	v_add_co_u32_e32 v28, vcc, s8, v26
	v_add_u32_e32 v1, s29, v34
	v_addc_co_u32_e32 v29, vcc, v35, v27, vcc
	v_lshlrev_b64 v[26:27], 2, v[1:2]
	v_add_u32_e32 v1, s30, v34
	v_add_co_u32_e32 v30, vcc, s8, v26
	v_addc_co_u32_e32 v31, vcc, v35, v27, vcc
	v_lshlrev_b64 v[26:27], 2, v[1:2]
	v_add_u32_e32 v1, s31, v34
	v_add_co_u32_e32 v32, vcc, s8, v26
	v_addc_co_u32_e32 v33, vcc, v35, v27, vcc
	v_lshlrev_b64 v[26:27], 2, v[1:2]
	v_fma_f32 v1, v16, v18, -v22
	v_div_scale_f32 v22, s[20:21], v1, v1, 1.0
	v_add_co_u32_e32 v34, vcc, s8, v26
	v_addc_co_u32_e32 v35, vcc, v35, v27, vcc
	v_rcp_f32_e32 v26, v22
	v_fma_f32 v27, -v22, v26, 1.0
	v_fmac_f32_e32 v26, v27, v26
	v_div_scale_f32 v27, vcc, 1.0, v1, 1.0
	v_mul_f32_e32 v36, v27, v26
	v_fma_f32 v37, -v22, v36, v27
	v_fmac_f32_e32 v36, v37, v26
	v_fma_f32 v22, -v22, v36, v27
	v_div_fmas_f32 v22, v22, v26, v36
	v_div_fixup_f32 v22, v22, v1, 1.0
	global_load_dword v1, v[28:29], off
	global_load_dword v27, v[30:31], off
	;; [unrolled: 1-line block ×4, first 2 shown]
	s_waitcnt vmcnt(7)
	v_mul_f32_e32 v25, v22, v25
	s_waitcnt vmcnt(6)
	v_mul_f32_e32 v24, v22, v24
	s_waitcnt vmcnt(2)
	v_mul_f32_e32 v27, v22, v27
	v_mul_f32_e32 v26, v22, v1
	v_mul_f32_e32 v1, v19, v26
	v_fma_f32 v1, v18, v25, -v1
	global_store_dword v[3:4], v1, off
	v_mul_f32_e32 v1, v19, v27
	v_fma_f32 v1, v18, v24, -v1
	s_waitcnt vmcnt(2)
	v_mul_f32_e32 v4, v22, v36
	global_store_dword v[5:6], v1, off
	v_mul_f32_e32 v3, v22, v23
	v_mul_f32_e32 v1, v19, v4
	v_fma_f32 v1, v18, v3, -v1
	s_waitcnt vmcnt(2)
	v_mul_f32_e32 v6, v22, v37
	global_store_dword v[7:8], v1, off
	v_mul_f32_e32 v5, v22, v21
	v_mul_f32_e32 v1, v19, v6
	v_fma_f32 v1, v18, v5, -v1
	global_store_dword v[9:10], v1, off
	v_mul_f32_e32 v1, v15, v25
	v_fma_f32 v1, v16, v26, -v1
	v_mul_f32_e32 v7, v15, v24
	global_store_dword v[28:29], v1, off
	v_mul_f32_e32 v1, v15, v3
	v_mul_f32_e32 v8, v15, v5
	v_fma_f32 v7, v16, v27, -v7
	v_fma_f32 v1, v16, v4, -v1
	;; [unrolled: 1-line block ×3, first 2 shown]
	global_store_dword v[30:31], v7, off
	global_store_dword v[32:33], v1, off
	;; [unrolled: 1-line block ×3, first 2 shown]
	v_mov_b32_e32 v1, 0
	s_and_saveexec_b64 s[20:21], s[2:3]
	s_cbranch_execz .LBB42_16
; %bb.15:                               ;   in Loop: Header=BB42_5 Depth=1
	v_add_u32_e32 v7, v13, v12
	v_add_u32_e32 v1, s28, v7
	v_lshlrev_b64 v[8:9], 2, v[1:2]
	v_mov_b32_e32 v10, s9
	v_add_co_u32_e32 v18, vcc, s8, v8
	v_add_u32_e32 v1, s29, v7
	v_addc_co_u32_e32 v19, vcc, v10, v9, vcc
	v_lshlrev_b64 v[8:9], 2, v[1:2]
	global_load_dword v23, v[18:19], off
	v_add_co_u32_e32 v28, vcc, s8, v8
	v_addc_co_u32_e32 v29, vcc, v10, v9, vcc
	global_load_dword v30, v[28:29], off
	v_mul_f32_e32 v32, v16, v20
	v_mul_f32_e32 v31, v15, v20
	;; [unrolled: 1-line block ×3, first 2 shown]
	v_fma_f32 v25, v31, v25, -v1
	v_add_u32_e32 v1, s30, v7
	v_lshlrev_b64 v[15:16], 2, v[1:2]
	v_add_u32_e32 v1, s31, v7
	v_lshlrev_b64 v[20:21], 2, v[1:2]
	v_add_co_u32_e32 v15, vcc, s8, v15
	v_mul_f32_e32 v9, v32, v27
	v_ashrrev_i32_e32 v8, 31, v7
	v_addc_co_u32_e32 v16, vcc, v10, v16, vcc
	v_fma_f32 v24, v31, v24, -v9
	v_lshlrev_b64 v[8:9], 2, v[7:8]
	v_add_co_u32_e32 v20, vcc, s8, v20
	v_addc_co_u32_e32 v21, vcc, v10, v21, vcc
	v_mov_b32_e32 v33, s15
	v_add_co_u32_e32 v7, vcc, s14, v8
	v_addc_co_u32_e32 v8, vcc, v33, v9, vcc
	v_mul_f32_e32 v4, v32, v4
	v_mul_f32_e32 v6, v32, v6
	v_fma_f32 v3, v31, v3, -v4
	v_fma_f32 v4, v31, v5, -v6
	s_waitcnt vmcnt(1)
	v_add_f32_e32 v1, v25, v23
	global_store_dword v[18:19], v1, off
	s_waitcnt vmcnt(1)
	v_add_f32_e32 v1, v24, v30
	global_store_dword v[28:29], v1, off
	global_load_dword v1, v[15:16], off
	s_nop 0
	global_load_dword v10, v[20:21], off
	s_waitcnt vmcnt(1)
	v_add_f32_e32 v1, v3, v1
	global_load_dword v7, v[7:8], off
	v_mul_f32_e32 v8, v17, v32
	global_store_dword v[15:16], v1, off
	s_waitcnt vmcnt(2)
	v_add_f32_e32 v1, v4, v10
	global_store_dword v[20:21], v1, off
	s_waitcnt vmcnt(2)
	v_fma_f32 v1, -v22, v8, v7
.LBB42_16:                              ;   in Loop: Header=BB42_5 Depth=1
	s_or_b64 exec, exec, s[20:21]
	v_mov_b32_e32 v16, v1
                                        ; implicit-def: $vgpr15
                                        ; implicit-def: $vgpr18
                                        ; implicit-def: $vgpr22
                                        ; implicit-def: $vgpr3_vgpr4
                                        ; implicit-def: $vgpr25
                                        ; implicit-def: $vgpr5_vgpr6
                                        ; implicit-def: $vgpr24
                                        ; implicit-def: $vgpr7_vgpr8
                                        ; implicit-def: $vgpr23
                                        ; implicit-def: $vgpr9_vgpr10
                                        ; implicit-def: $vgpr21
.LBB42_17:                              ;   in Loop: Header=BB42_5 Depth=1
	s_or_saveexec_b64 s[2:3], s[4:5]
	v_mov_b32_e32 v1, s27
	s_xor_b64 exec, exec, s[2:3]
	s_cbranch_execz .LBB42_4
; %bb.18:                               ;   in Loop: Header=BB42_5 Depth=1
	v_div_scale_f32 v1, s[4:5], v16, v16, 1.0
	v_div_scale_f32 v17, vcc, 1.0, v16, 1.0
	v_rcp_f32_e32 v19, v1
	v_fma_f32 v20, -v1, v19, 1.0
	v_fmac_f32_e32 v19, v20, v19
	v_mul_f32_e32 v20, v17, v19
	v_fma_f32 v26, -v1, v20, v17
	v_fmac_f32_e32 v20, v26, v19
	v_fma_f32 v1, -v1, v20, v17
	v_div_fmas_f32 v1, v1, v19, v20
	v_div_fixup_f32 v16, v1, v16, 1.0
	s_waitcnt vmcnt(3)
	v_mul_f32_e32 v25, v16, v25
	s_waitcnt vmcnt(2)
	v_mul_f32_e32 v20, v16, v24
	;; [unrolled: 2-line block ×4, first 2 shown]
	global_store_dword v[3:4], v25, off
	global_store_dword v[5:6], v20, off
	;; [unrolled: 1-line block ×4, first 2 shown]
	s_and_saveexec_b64 s[4:5], s[0:1]
	s_cbranch_execz .LBB42_3
; %bb.19:                               ;   in Loop: Header=BB42_5 Depth=1
	v_add_u32_e32 v9, v11, v12
	v_add_u32_e32 v1, s28, v9
	v_lshlrev_b64 v[3:4], 2, v[1:2]
	v_add_u32_e32 v1, s29, v9
	v_mov_b32_e32 v21, s9
	v_add_co_u32_e32 v3, vcc, s8, v3
	v_lshlrev_b64 v[5:6], 2, v[1:2]
	v_addc_co_u32_e32 v4, vcc, v21, v4, vcc
	v_add_co_u32_e32 v5, vcc, s8, v5
	global_load_dword v23, v[3:4], off
	v_addc_co_u32_e32 v6, vcc, v21, v6, vcc
	global_load_dword v24, v[5:6], off
	v_add_u32_e32 v1, s30, v9
	v_lshlrev_b64 v[7:8], 2, v[1:2]
	v_add_u32_e32 v1, s31, v9
	v_lshlrev_b64 v[9:10], 2, v[1:2]
	v_add_co_u32_e32 v7, vcc, s8, v7
	v_addc_co_u32_e32 v8, vcc, v21, v8, vcc
	v_add_co_u32_e32 v9, vcc, s8, v9
	v_addc_co_u32_e32 v10, vcc, v21, v10, vcc
	s_waitcnt vmcnt(1)
	v_fma_f32 v1, -v15, v25, v23
	global_store_dword v[3:4], v1, off
	global_load_dword v3, v[7:8], off
	s_waitcnt vmcnt(2)
	v_fma_f32 v1, -v15, v20, v24
	global_store_dword v[5:6], v1, off
	global_load_dword v1, v[9:10], off
	s_waitcnt vmcnt(2)
	v_fma_f32 v3, -v15, v19, v3
	global_store_dword v[7:8], v3, off
	s_waitcnt vmcnt(1)
	v_fma_f32 v1, -v15, v17, v1
	global_store_dword v[9:10], v1, off
	s_branch .LBB42_3
.LBB42_20:
	s_or_b64 exec, exec, s[18:19]
	s_branch .LBB42_22
.LBB42_21:
	v_mov_b32_e32 v12, 0
.LBB42_22:
	v_subrev_u32_e32 v3, s22, v12
	v_add_u32_e32 v1, v3, v0
	v_ashrrev_i32_e32 v2, 31, v1
	v_lshlrev_b64 v[1:2], 2, v[1:2]
	s_waitcnt lgkmcnt(0)
	v_mov_b32_e32 v4, s17
	v_add_co_u32_e32 v1, vcc, s16, v1
	v_addc_co_u32_e32 v2, vcc, v4, v2, vcc
	s_waitcnt vmcnt(0)
	buffer_wbinvl1_vol
	global_load_dword v1, v[1:2], off
	s_waitcnt vmcnt(0)
	v_mul_lo_u32 v1, v1, s22
	v_sub_u32_e32 v5, v3, v1
	v_cmp_lt_i32_e32 vcc, -1, v5
	s_and_b64 exec, exec, vcc
	s_cbranch_execz .LBB42_29
; %bb.23:
	s_lshl_b32 s4, s24, 2
	s_add_i32 s5, s4, s23
	s_add_i32 s6, s5, s23
	;; [unrolled: 1-line block ×3, first 2 shown]
	s_lshl_b32 s12, s22, 1
	s_mov_b64 s[0:1], 0
	v_mov_b32_e32 v6, s17
	v_mov_b32_e32 v7, s11
	;; [unrolled: 1-line block ×3, first 2 shown]
	s_branch .LBB42_25
.LBB42_24:                              ;   in Loop: Header=BB42_25 Depth=1
	s_or_b64 exec, exec, s[2:3]
	v_sub_u32_e32 v5, v5, v1
	v_cmp_gt_i32_e32 vcc, 0, v5
	s_or_b64 s[0:1], vcc, s[0:1]
	s_andn2_b64 exec, exec, s[0:1]
	s_cbranch_execz .LBB42_29
.LBB42_25:                              ; =>This Inner Loop Header: Depth=1
	v_add_u32_e32 v3, v5, v0
	s_waitcnt vmcnt(0)
	v_ashrrev_i32_e32 v4, 31, v3
	v_lshlrev_b64 v[8:9], 2, v[3:4]
	v_add_co_u32_e32 v12, vcc, s16, v8
	v_addc_co_u32_e32 v13, vcc, v6, v9, vcc
	v_add_co_u32_e32 v8, vcc, s10, v8
	global_load_dword v1, v[12:13], off
	v_addc_co_u32_e32 v9, vcc, v7, v9, vcc
	global_load_dword v4, v[8:9], off
	s_waitcnt vmcnt(1)
	v_cmp_ne_u32_e32 vcc, 1, v1
	s_and_saveexec_b64 s[2:3], vcc
	s_xor_b64 s[2:3], exec, s[2:3]
	s_cbranch_execz .LBB42_27
; %bb.26:                               ;   in Loop: Header=BB42_25 Depth=1
	v_add_u32_e32 v10, v11, v5
	v_add_u32_e32 v1, s4, v10
	v_lshlrev_b64 v[8:9], 2, v[1:2]
	v_mov_b32_e32 v1, s9
	v_add_co_u32_e32 v8, vcc, s8, v8
	v_addc_co_u32_e32 v9, vcc, v1, v9, vcc
	v_add_u32_e32 v1, s5, v10
	v_lshlrev_b64 v[12:13], 2, v[1:2]
	v_add_u32_e32 v1, s6, v10
	v_lshlrev_b64 v[14:15], 2, v[1:2]
	;; [unrolled: 2-line block ×4, first 2 shown]
	v_mov_b32_e32 v1, s9
	v_add_co_u32_e32 v18, vcc, s8, v18
	v_addc_co_u32_e32 v19, vcc, v1, v19, vcc
	global_load_dword v10, v[8:9], off
	global_load_dword v20, v[18:19], off
	v_add_co_u32_e32 v8, vcc, s8, v12
	v_addc_co_u32_e32 v9, vcc, v1, v13, vcc
	v_mov_b32_e32 v21, s9
	v_add_co_u32_e32 v12, vcc, s8, v14
	v_addc_co_u32_e32 v13, vcc, v21, v15, vcc
	v_mov_b32_e32 v22, s9
	v_add_co_u32_e32 v14, vcc, s8, v16
	v_add_u32_e32 v1, s5, v3
	v_addc_co_u32_e32 v15, vcc, v22, v17, vcc
	global_load_dword v16, v[8:9], off
	global_load_dword v17, v[12:13], off
	;; [unrolled: 1-line block ×3, first 2 shown]
	v_lshlrev_b64 v[8:9], 2, v[1:2]
	v_mov_b32_e32 v12, s9
	v_add_co_u32_e32 v8, vcc, s8, v8
	v_addc_co_u32_e32 v9, vcc, v12, v9, vcc
	v_mov_b32_e32 v15, s9
	s_waitcnt vmcnt(3)
	v_fma_f32 v1, -v4, v10, v20
	global_store_dword v[18:19], v1, off
	global_load_dword v14, v[8:9], off
	v_add_u32_e32 v1, s6, v3
	v_lshlrev_b64 v[12:13], 2, v[1:2]
	v_add_co_u32_e32 v12, vcc, s8, v12
	v_addc_co_u32_e32 v13, vcc, v15, v13, vcc
	s_waitcnt vmcnt(0)
	v_fma_f32 v1, -v4, v16, v14
	global_store_dword v[8:9], v1, off
	global_load_dword v14, v[12:13], off
	v_add_u32_e32 v1, s7, v3
	v_lshlrev_b64 v[8:9], 2, v[1:2]
	v_add_co_u32_e32 v8, vcc, s8, v8
	v_addc_co_u32_e32 v9, vcc, v15, v9, vcc
	s_waitcnt vmcnt(0)
	v_fma_f32 v1, -v4, v17, v14
	global_store_dword v[12:13], v1, off
	global_load_dword v3, v[8:9], off
	v_subrev_u32_e32 v1, s22, v5
	v_add_u32_e32 v12, v1, v0
	v_ashrrev_i32_e32 v13, 31, v12
	v_lshlrev_b64 v[13:14], 2, v[12:13]
	v_add_u32_e32 v1, s4, v12
	v_add_co_u32_e32 v13, vcc, s10, v13
	v_addc_co_u32_e32 v14, vcc, v7, v14, vcc
	global_load_dword v18, v[13:14], off
	v_lshlrev_b64 v[13:14], 2, v[1:2]
	v_add_co_u32_e32 v13, vcc, s8, v13
	v_addc_co_u32_e32 v14, vcc, v15, v14, vcc
	s_waitcnt vmcnt(1)
	v_fma_f32 v1, -v4, v21, v3
	global_store_dword v[8:9], v1, off
	global_load_dword v8, v[13:14], off
	v_add_u32_e32 v1, s5, v12
	v_lshlrev_b64 v[3:4], 2, v[1:2]
	v_mov_b32_e32 v9, s9
	v_add_co_u32_e32 v3, vcc, s8, v3
	v_addc_co_u32_e32 v4, vcc, v9, v4, vcc
	s_waitcnt vmcnt(0)
	v_fma_f32 v1, -v18, v10, v8
	global_store_dword v[13:14], v1, off
	global_load_dword v10, v[3:4], off
	v_add_u32_e32 v1, s6, v12
	v_lshlrev_b64 v[8:9], 2, v[1:2]
	v_mov_b32_e32 v13, s9
	v_add_co_u32_e32 v8, vcc, s8, v8
	v_addc_co_u32_e32 v9, vcc, v13, v9, vcc
	s_waitcnt vmcnt(0)
	v_fma_f32 v1, -v18, v16, v10
	global_store_dword v[3:4], v1, off
	global_load_dword v10, v[8:9], off
	v_add_u32_e32 v1, s7, v12
	v_lshlrev_b64 v[3:4], 2, v[1:2]
	v_add_co_u32_e32 v3, vcc, s8, v3
	v_addc_co_u32_e32 v4, vcc, v13, v4, vcc
	s_waitcnt vmcnt(0)
	v_fma_f32 v1, -v18, v17, v10
	global_store_dword v[8:9], v1, off
	global_load_dword v1, v[3:4], off
	s_waitcnt vmcnt(0)
	v_fma_f32 v1, -v18, v21, v1
	global_store_dword v[3:4], v1, off
                                        ; implicit-def: $vgpr3
                                        ; implicit-def: $vgpr4
.LBB42_27:                              ;   in Loop: Header=BB42_25 Depth=1
	s_or_saveexec_b64 s[2:3], s[2:3]
	v_mov_b32_e32 v1, s12
	s_xor_b64 exec, exec, s[2:3]
	s_cbranch_execz .LBB42_24
; %bb.28:                               ;   in Loop: Header=BB42_25 Depth=1
	v_add_u32_e32 v10, v11, v5
	v_add_u32_e32 v1, s4, v10
	v_lshlrev_b64 v[8:9], 2, v[1:2]
	v_mov_b32_e32 v1, s9
	v_add_co_u32_e32 v8, vcc, s8, v8
	v_addc_co_u32_e32 v9, vcc, v1, v9, vcc
	v_add_u32_e32 v1, s4, v3
	v_lshlrev_b64 v[12:13], 2, v[1:2]
	v_mov_b32_e32 v1, s9
	v_add_co_u32_e32 v12, vcc, s8, v12
	v_addc_co_u32_e32 v13, vcc, v1, v13, vcc
	global_load_dword v16, v[8:9], off
	global_load_dword v17, v[12:13], off
	v_add_u32_e32 v1, s5, v10
	v_lshlrev_b64 v[8:9], 2, v[1:2]
	v_add_u32_e32 v1, s5, v3
	v_mov_b32_e32 v18, s9
	v_lshlrev_b64 v[14:15], 2, v[1:2]
	v_add_co_u32_e32 v8, vcc, s8, v8
	v_addc_co_u32_e32 v9, vcc, v18, v9, vcc
	v_mov_b32_e32 v19, s9
	v_add_co_u32_e32 v14, vcc, s8, v14
	v_addc_co_u32_e32 v15, vcc, v19, v15, vcc
	s_waitcnt vmcnt(0)
	v_fma_f32 v1, -v4, v16, v17
	global_store_dword v[12:13], v1, off
	global_load_dword v16, v[8:9], off
	global_load_dword v17, v[14:15], off
	v_add_u32_e32 v1, s6, v10
	v_lshlrev_b64 v[8:9], 2, v[1:2]
	v_add_u32_e32 v1, s6, v3
	v_lshlrev_b64 v[12:13], 2, v[1:2]
	v_add_co_u32_e32 v8, vcc, s8, v8
	v_addc_co_u32_e32 v9, vcc, v18, v9, vcc
	v_add_co_u32_e32 v12, vcc, s8, v12
	v_addc_co_u32_e32 v13, vcc, v19, v13, vcc
	s_waitcnt vmcnt(0)
	v_fma_f32 v1, -v4, v16, v17
	global_store_dword v[14:15], v1, off
	global_load_dword v16, v[8:9], off
	global_load_dword v17, v[12:13], off
	v_add_u32_e32 v1, s7, v10
	v_lshlrev_b64 v[8:9], 2, v[1:2]
	v_add_u32_e32 v1, s7, v3
	v_lshlrev_b64 v[14:15], 2, v[1:2]
	v_add_co_u32_e32 v8, vcc, s8, v8
	v_addc_co_u32_e32 v9, vcc, v18, v9, vcc
	v_add_co_u32_e32 v14, vcc, s8, v14
	v_addc_co_u32_e32 v15, vcc, v19, v15, vcc
	s_waitcnt vmcnt(0)
	v_fma_f32 v1, -v4, v16, v17
	global_store_dword v[12:13], v1, off
	global_load_dword v1, v[8:9], off
	s_nop 0
	global_load_dword v3, v[14:15], off
	s_waitcnt vmcnt(0)
	v_fma_f32 v1, -v4, v1, v3
	global_store_dword v[14:15], v1, off
	v_mov_b32_e32 v1, s22
	s_branch .LBB42_24
.LBB42_29:
	s_endpgm
	.section	.rodata,"a",@progbits
	.p2align	6, 0x0
	.amdhsa_kernel _ZN9rocsparseL19gtsv_LBM_rhs_kernelILj256ELj16ELj4EfEEviiiPKT2_S3_S3_PS1_S3_PKi
		.amdhsa_group_segment_fixed_size 0
		.amdhsa_private_segment_fixed_size 0
		.amdhsa_kernarg_size 64
		.amdhsa_user_sgpr_count 6
		.amdhsa_user_sgpr_private_segment_buffer 1
		.amdhsa_user_sgpr_dispatch_ptr 0
		.amdhsa_user_sgpr_queue_ptr 0
		.amdhsa_user_sgpr_kernarg_segment_ptr 1
		.amdhsa_user_sgpr_dispatch_id 0
		.amdhsa_user_sgpr_flat_scratch_init 0
		.amdhsa_user_sgpr_private_segment_size 0
		.amdhsa_uses_dynamic_stack 0
		.amdhsa_system_sgpr_private_segment_wavefront_offset 0
		.amdhsa_system_sgpr_workgroup_id_x 1
		.amdhsa_system_sgpr_workgroup_id_y 1
		.amdhsa_system_sgpr_workgroup_id_z 0
		.amdhsa_system_sgpr_workgroup_info 0
		.amdhsa_system_vgpr_workitem_id 0
		.amdhsa_next_free_vgpr 38
		.amdhsa_next_free_sgpr 32
		.amdhsa_reserve_vcc 1
		.amdhsa_reserve_flat_scratch 0
		.amdhsa_float_round_mode_32 0
		.amdhsa_float_round_mode_16_64 0
		.amdhsa_float_denorm_mode_32 3
		.amdhsa_float_denorm_mode_16_64 3
		.amdhsa_dx10_clamp 1
		.amdhsa_ieee_mode 1
		.amdhsa_fp16_overflow 0
		.amdhsa_exception_fp_ieee_invalid_op 0
		.amdhsa_exception_fp_denorm_src 0
		.amdhsa_exception_fp_ieee_div_zero 0
		.amdhsa_exception_fp_ieee_overflow 0
		.amdhsa_exception_fp_ieee_underflow 0
		.amdhsa_exception_fp_ieee_inexact 0
		.amdhsa_exception_int_div_zero 0
	.end_amdhsa_kernel
	.section	.text._ZN9rocsparseL19gtsv_LBM_rhs_kernelILj256ELj16ELj4EfEEviiiPKT2_S3_S3_PS1_S3_PKi,"axG",@progbits,_ZN9rocsparseL19gtsv_LBM_rhs_kernelILj256ELj16ELj4EfEEviiiPKT2_S3_S3_PS1_S3_PKi,comdat
.Lfunc_end42:
	.size	_ZN9rocsparseL19gtsv_LBM_rhs_kernelILj256ELj16ELj4EfEEviiiPKT2_S3_S3_PS1_S3_PKi, .Lfunc_end42-_ZN9rocsparseL19gtsv_LBM_rhs_kernelILj256ELj16ELj4EfEEviiiPKT2_S3_S3_PS1_S3_PKi
                                        ; -- End function
	.set _ZN9rocsparseL19gtsv_LBM_rhs_kernelILj256ELj16ELj4EfEEviiiPKT2_S3_S3_PS1_S3_PKi.num_vgpr, 38
	.set _ZN9rocsparseL19gtsv_LBM_rhs_kernelILj256ELj16ELj4EfEEviiiPKT2_S3_S3_PS1_S3_PKi.num_agpr, 0
	.set _ZN9rocsparseL19gtsv_LBM_rhs_kernelILj256ELj16ELj4EfEEviiiPKT2_S3_S3_PS1_S3_PKi.numbered_sgpr, 32
	.set _ZN9rocsparseL19gtsv_LBM_rhs_kernelILj256ELj16ELj4EfEEviiiPKT2_S3_S3_PS1_S3_PKi.num_named_barrier, 0
	.set _ZN9rocsparseL19gtsv_LBM_rhs_kernelILj256ELj16ELj4EfEEviiiPKT2_S3_S3_PS1_S3_PKi.private_seg_size, 0
	.set _ZN9rocsparseL19gtsv_LBM_rhs_kernelILj256ELj16ELj4EfEEviiiPKT2_S3_S3_PS1_S3_PKi.uses_vcc, 1
	.set _ZN9rocsparseL19gtsv_LBM_rhs_kernelILj256ELj16ELj4EfEEviiiPKT2_S3_S3_PS1_S3_PKi.uses_flat_scratch, 0
	.set _ZN9rocsparseL19gtsv_LBM_rhs_kernelILj256ELj16ELj4EfEEviiiPKT2_S3_S3_PS1_S3_PKi.has_dyn_sized_stack, 0
	.set _ZN9rocsparseL19gtsv_LBM_rhs_kernelILj256ELj16ELj4EfEEviiiPKT2_S3_S3_PS1_S3_PKi.has_recursion, 0
	.set _ZN9rocsparseL19gtsv_LBM_rhs_kernelILj256ELj16ELj4EfEEviiiPKT2_S3_S3_PS1_S3_PKi.has_indirect_call, 0
	.section	.AMDGPU.csdata,"",@progbits
; Kernel info:
; codeLenInByte = 2888
; TotalNumSgprs: 36
; NumVgprs: 38
; ScratchSize: 0
; MemoryBound: 0
; FloatMode: 240
; IeeeMode: 1
; LDSByteSize: 0 bytes/workgroup (compile time only)
; SGPRBlocks: 4
; VGPRBlocks: 9
; NumSGPRsForWavesPerEU: 36
; NumVGPRsForWavesPerEU: 38
; Occupancy: 6
; WaveLimiterHint : 0
; COMPUTE_PGM_RSRC2:SCRATCH_EN: 0
; COMPUTE_PGM_RSRC2:USER_SGPR: 6
; COMPUTE_PGM_RSRC2:TRAP_HANDLER: 0
; COMPUTE_PGM_RSRC2:TGID_X_EN: 1
; COMPUTE_PGM_RSRC2:TGID_Y_EN: 1
; COMPUTE_PGM_RSRC2:TGID_Z_EN: 0
; COMPUTE_PGM_RSRC2:TIDIG_COMP_CNT: 0
	.section	.text._ZN9rocsparseL19gtsv_LBM_rhs_kernelILj256ELj16ELj2EfEEviiiPKT2_S3_S3_PS1_S3_PKi,"axG",@progbits,_ZN9rocsparseL19gtsv_LBM_rhs_kernelILj256ELj16ELj2EfEEviiiPKT2_S3_S3_PS1_S3_PKi,comdat
	.globl	_ZN9rocsparseL19gtsv_LBM_rhs_kernelILj256ELj16ELj2EfEEviiiPKT2_S3_S3_PS1_S3_PKi ; -- Begin function _ZN9rocsparseL19gtsv_LBM_rhs_kernelILj256ELj16ELj2EfEEviiiPKT2_S3_S3_PS1_S3_PKi
	.p2align	8
	.type	_ZN9rocsparseL19gtsv_LBM_rhs_kernelILj256ELj16ELj2EfEEviiiPKT2_S3_S3_PS1_S3_PKi,@function
_ZN9rocsparseL19gtsv_LBM_rhs_kernelILj256ELj16ELj2EfEEviiiPKT2_S3_S3_PS1_S3_PKi: ; @_ZN9rocsparseL19gtsv_LBM_rhs_kernelILj256ELj16ELj2EfEEviiiPKT2_S3_S3_PS1_S3_PKi
; %bb.0:
	s_load_dword s23, s[4:5], 0x0
	v_lshl_or_b32 v0, s6, 8, v0
	s_waitcnt lgkmcnt(0)
	s_lshr_b32 s22, s23, 4
	v_cmp_gt_i32_e32 vcc, s22, v0
	s_and_saveexec_b64 s[0:1], vcc
	s_cbranch_execz .LBB43_29
; %bb.1:
	s_load_dwordx4 s[8:11], s[4:5], 0x28
	s_load_dwordx2 s[16:17], s[4:5], 0x38
	s_cmp_lt_i32 s23, 1
	v_add_u32_e32 v7, s22, v0
	s_mul_i32 s24, s7, s23
	s_cbranch_scc1 .LBB43_21
; %bb.2:
	s_load_dwordx4 s[12:15], s[4:5], 0x10
	s_load_dwordx2 s[6:7], s[4:5], 0x20
	v_ashrrev_i32_e32 v1, 31, v0
	v_lshlrev_b64 v[1:2], 2, v[0:1]
	s_lshl_b32 s28, s24, 1
	s_waitcnt lgkmcnt(0)
	v_mov_b32_e32 v3, s15
	v_add_co_u32_e32 v1, vcc, s14, v1
	v_addc_co_u32_e32 v2, vcc, v3, v2, vcc
	global_load_dword v11, v[1:2], off
	s_mul_i32 s25, s22, 15
	s_mul_i32 s26, s22, 14
	s_lshl_b32 s27, s22, 1
	v_add_u32_e32 v9, s22, v7
	s_add_i32 s29, s28, s23
	v_mov_b32_e32 v2, 0
	s_mov_b64 s[18:19], 0
	v_mov_b32_e32 v10, s7
	v_mov_b32_e32 v8, 0
	s_branch .LBB43_5
.LBB43_3:                               ;   in Loop: Header=BB43_5 Depth=1
	s_or_b64 exec, exec, s[4:5]
	v_fma_f32 v11, -v11, v18, v14
	v_mov_b32_e32 v1, s22
.LBB43_4:                               ;   in Loop: Header=BB43_5 Depth=1
	s_or_b64 exec, exec, s[2:3]
	v_add_u32_e32 v8, v1, v8
	v_cmp_le_i32_e32 vcc, s23, v8
	s_or_b64 s[18:19], vcc, s[18:19]
	s_andn2_b64 exec, exec, s[18:19]
	s_cbranch_execz .LBB43_20
.LBB43_5:                               ; =>This Inner Loop Header: Depth=1
	v_add_u32_e32 v3, v8, v0
	v_ashrrev_i32_e32 v4, 31, v3
	v_lshlrev_b64 v[4:5], 2, v[3:4]
	v_cmp_gt_u32_e64 s[0:1], s25, v8
	v_add_co_u32_e32 v12, vcc, s6, v4
	v_addc_co_u32_e32 v13, vcc, v10, v5, vcc
	global_load_dword v16, v[12:13], off
	v_mov_b32_e32 v12, 0
	s_and_saveexec_b64 s[2:3], s[0:1]
	s_cbranch_execz .LBB43_7
; %bb.6:                                ;   in Loop: Header=BB43_5 Depth=1
	v_add_u32_e32 v12, v7, v8
	v_ashrrev_i32_e32 v13, 31, v12
	v_lshlrev_b64 v[12:13], 2, v[12:13]
	v_mov_b32_e32 v1, s13
	v_add_co_u32_e32 v12, vcc, s12, v12
	v_addc_co_u32_e32 v13, vcc, v1, v13, vcc
	global_load_dword v12, v[12:13], off
.LBB43_7:                               ;   in Loop: Header=BB43_5 Depth=1
	s_or_b64 exec, exec, s[2:3]
	v_mov_b32_e32 v13, 0
	v_mov_b32_e32 v14, 0
	s_and_saveexec_b64 s[2:3], s[0:1]
	s_cbranch_execz .LBB43_9
; %bb.8:                                ;   in Loop: Header=BB43_5 Depth=1
	v_add_u32_e32 v14, v7, v8
	v_ashrrev_i32_e32 v15, 31, v14
	v_lshlrev_b64 v[14:15], 2, v[14:15]
	v_mov_b32_e32 v1, s15
	v_add_co_u32_e32 v14, vcc, s14, v14
	v_addc_co_u32_e32 v15, vcc, v1, v15, vcc
	global_load_dword v14, v[14:15], off
.LBB43_9:                               ;   in Loop: Header=BB43_5 Depth=1
	s_or_b64 exec, exec, s[2:3]
	s_and_saveexec_b64 s[2:3], s[0:1]
	s_cbranch_execz .LBB43_11
; %bb.10:                               ;   in Loop: Header=BB43_5 Depth=1
	s_waitcnt vmcnt(1)
	v_add_u32_e32 v17, v7, v8
	v_ashrrev_i32_e32 v18, 31, v17
	v_lshlrev_b64 v[17:18], 2, v[17:18]
	v_mov_b32_e32 v1, s7
	v_add_co_u32_e32 v17, vcc, s6, v17
	v_addc_co_u32_e32 v18, vcc, v1, v18, vcc
	global_load_dword v13, v[17:18], off
.LBB43_11:                              ;   in Loop: Header=BB43_5 Depth=1
	s_or_b64 exec, exec, s[2:3]
	v_cmp_gt_u32_e64 s[2:3], s26, v8
	v_mov_b32_e32 v15, 0
	s_and_saveexec_b64 s[4:5], s[2:3]
	s_cbranch_execz .LBB43_13
; %bb.12:                               ;   in Loop: Header=BB43_5 Depth=1
	s_waitcnt vmcnt(1)
	v_add_u32_e32 v17, v9, v8
	v_ashrrev_i32_e32 v18, 31, v17
	v_lshlrev_b64 v[17:18], 2, v[17:18]
	v_mov_b32_e32 v1, s13
	v_add_co_u32_e32 v17, vcc, s12, v17
	v_addc_co_u32_e32 v18, vcc, v1, v18, vcc
	global_load_dword v15, v[17:18], off
.LBB43_13:                              ;   in Loop: Header=BB43_5 Depth=1
	s_or_b64 exec, exec, s[4:5]
	v_mov_b32_e32 v1, s17
	v_add_co_u32_e32 v4, vcc, s16, v4
	v_addc_co_u32_e32 v5, vcc, v1, v5, vcc
	v_add_u32_e32 v1, s28, v3
	global_load_dword v18, v[4:5], off
	v_lshlrev_b64 v[5:6], 2, v[1:2]
	v_add_u32_e32 v1, s29, v3
	s_waitcnt vmcnt(2)
	v_mov_b32_e32 v17, s9
	v_add_co_u32_e32 v5, vcc, s8, v5
	v_lshlrev_b64 v[3:4], 2, v[1:2]
	v_addc_co_u32_e32 v6, vcc, v17, v6, vcc
	v_add_co_u32_e32 v3, vcc, s8, v3
	v_addc_co_u32_e32 v4, vcc, v17, v4, vcc
	global_load_dword v19, v[5:6], off
	global_load_dword v17, v[3:4], off
	v_cmp_ne_u32_e64 s[4:5], s25, v8
	s_waitcnt vmcnt(2)
	v_cmp_ne_u32_e32 vcc, 1, v18
	s_and_b64 s[4:5], s[4:5], vcc
	v_mul_f32_e32 v18, v16, v12
	s_and_saveexec_b64 s[20:21], s[4:5]
	s_xor_b64 s[4:5], exec, s[20:21]
	s_cbranch_execz .LBB43_17
; %bb.14:                               ;   in Loop: Header=BB43_5 Depth=1
	v_add_u32_e32 v24, v7, v8
	v_add_u32_e32 v1, s28, v24
	v_lshlrev_b64 v[20:21], 2, v[1:2]
	v_mov_b32_e32 v25, s9
	v_add_co_u32_e32 v22, vcc, s8, v20
	v_add_u32_e32 v1, s29, v24
	v_addc_co_u32_e32 v23, vcc, v25, v21, vcc
	v_lshlrev_b64 v[20:21], 2, v[1:2]
	v_fma_f32 v1, v11, v14, -v18
	v_div_scale_f32 v18, s[20:21], v1, v1, 1.0
	v_add_co_u32_e32 v24, vcc, s8, v20
	v_addc_co_u32_e32 v25, vcc, v25, v21, vcc
	v_rcp_f32_e32 v20, v18
	v_fma_f32 v21, -v18, v20, 1.0
	v_fmac_f32_e32 v20, v21, v20
	v_div_scale_f32 v21, vcc, 1.0, v1, 1.0
	v_mul_f32_e32 v26, v21, v20
	v_fma_f32 v27, -v18, v26, v21
	v_fmac_f32_e32 v26, v27, v20
	v_fma_f32 v18, -v18, v26, v21
	v_div_fmas_f32 v18, v18, v20, v26
	global_load_dword v21, v[24:25], off
	v_div_fixup_f32 v18, v18, v1, 1.0
	global_load_dword v1, v[22:23], off
	s_waitcnt vmcnt(3)
	v_mul_f32_e32 v19, v18, v19
	s_waitcnt vmcnt(0)
	v_mul_f32_e32 v20, v18, v1
	v_mul_f32_e32 v1, v16, v20
	v_fma_f32 v1, v14, v19, -v1
	global_store_dword v[5:6], v1, off
	v_mul_f32_e32 v6, v18, v21
	v_mul_f32_e32 v5, v18, v17
	;; [unrolled: 1-line block ×3, first 2 shown]
	v_fma_f32 v1, v14, v5, -v1
	global_store_dword v[3:4], v1, off
	v_mul_f32_e32 v1, v12, v19
	v_fma_f32 v1, v11, v20, -v1
	global_store_dword v[22:23], v1, off
	v_mul_f32_e32 v1, v12, v5
	v_fma_f32 v1, v11, v6, -v1
	global_store_dword v[24:25], v1, off
	v_mov_b32_e32 v1, 0
	s_and_saveexec_b64 s[20:21], s[2:3]
	s_cbranch_execz .LBB43_16
; %bb.15:                               ;   in Loop: Header=BB43_5 Depth=1
	v_add_u32_e32 v3, v9, v8
	v_add_u32_e32 v1, s28, v3
	v_lshlrev_b64 v[16:17], 2, v[1:2]
	v_add_u32_e32 v1, s29, v3
	v_mov_b32_e32 v4, s9
	v_add_co_u32_e32 v16, vcc, s8, v16
	v_lshlrev_b64 v[21:22], 2, v[1:2]
	v_addc_co_u32_e32 v17, vcc, v4, v17, vcc
	v_add_co_u32_e32 v21, vcc, s8, v21
	v_addc_co_u32_e32 v22, vcc, v4, v22, vcc
	v_ashrrev_i32_e32 v4, 31, v3
	v_lshlrev_b64 v[3:4], 2, v[3:4]
	v_mov_b32_e32 v23, s15
	v_add_co_u32_e32 v3, vcc, s14, v3
	global_load_dword v1, v[16:17], off
	global_load_dword v14, v[21:22], off
	v_addc_co_u32_e32 v4, vcc, v23, v4, vcc
	global_load_dword v3, v[3:4], off
	v_mul_f32_e32 v11, v11, v15
	v_mul_f32_e32 v4, v12, v15
	;; [unrolled: 1-line block ×4, first 2 shown]
	v_fma_f32 v12, v4, v19, -v12
	v_fma_f32 v4, v4, v5, -v6
	v_mul_f32_e32 v11, v13, v11
	s_waitcnt vmcnt(2)
	v_add_f32_e32 v1, v12, v1
	global_store_dword v[16:17], v1, off
	s_waitcnt vmcnt(2)
	v_add_f32_e32 v1, v4, v14
	global_store_dword v[21:22], v1, off
	s_waitcnt vmcnt(2)
	v_fma_f32 v1, -v18, v11, v3
.LBB43_16:                              ;   in Loop: Header=BB43_5 Depth=1
	s_or_b64 exec, exec, s[20:21]
	v_mov_b32_e32 v11, v1
                                        ; implicit-def: $vgpr18
                                        ; implicit-def: $vgpr14
                                        ; implicit-def: $vgpr19
                                        ; implicit-def: $vgpr17
                                        ; implicit-def: $vgpr5_vgpr6
                                        ; implicit-def: $vgpr3_vgpr4
                                        ; implicit-def: $vgpr12
.LBB43_17:                              ;   in Loop: Header=BB43_5 Depth=1
	s_or_saveexec_b64 s[2:3], s[4:5]
	v_mov_b32_e32 v1, s27
	s_xor_b64 exec, exec, s[2:3]
	s_cbranch_execz .LBB43_4
; %bb.18:                               ;   in Loop: Header=BB43_5 Depth=1
	v_div_scale_f32 v1, s[4:5], v11, v11, 1.0
	v_div_scale_f32 v13, vcc, 1.0, v11, 1.0
	v_rcp_f32_e32 v15, v1
	v_fma_f32 v16, -v1, v15, 1.0
	v_fmac_f32_e32 v15, v16, v15
	v_mul_f32_e32 v16, v13, v15
	v_fma_f32 v20, -v1, v16, v13
	v_fmac_f32_e32 v16, v20, v15
	v_fma_f32 v1, -v1, v16, v13
	v_div_fmas_f32 v1, v1, v15, v16
	v_div_fixup_f32 v11, v1, v11, 1.0
	s_waitcnt vmcnt(1)
	v_mul_f32_e32 v15, v11, v19
	s_waitcnt vmcnt(0)
	v_mul_f32_e32 v13, v11, v17
	global_store_dword v[5:6], v15, off
	global_store_dword v[3:4], v13, off
	s_and_saveexec_b64 s[4:5], s[0:1]
	s_cbranch_execz .LBB43_3
; %bb.19:                               ;   in Loop: Header=BB43_5 Depth=1
	v_add_u32_e32 v5, v7, v8
	v_add_u32_e32 v1, s28, v5
	v_lshlrev_b64 v[3:4], 2, v[1:2]
	v_add_u32_e32 v1, s29, v5
	v_mov_b32_e32 v16, s9
	v_add_co_u32_e32 v3, vcc, s8, v3
	v_lshlrev_b64 v[5:6], 2, v[1:2]
	v_addc_co_u32_e32 v4, vcc, v16, v4, vcc
	v_add_co_u32_e32 v5, vcc, s8, v5
	v_addc_co_u32_e32 v6, vcc, v16, v6, vcc
	global_load_dword v17, v[3:4], off
	global_load_dword v1, v[5:6], off
	s_waitcnt vmcnt(1)
	v_fma_f32 v15, -v12, v15, v17
	s_waitcnt vmcnt(0)
	v_fma_f32 v1, -v12, v13, v1
	global_store_dword v[3:4], v15, off
	global_store_dword v[5:6], v1, off
	s_branch .LBB43_3
.LBB43_20:
	s_or_b64 exec, exec, s[18:19]
	s_branch .LBB43_22
.LBB43_21:
	v_mov_b32_e32 v8, 0
.LBB43_22:
	v_subrev_u32_e32 v3, s22, v8
	v_add_u32_e32 v1, v3, v0
	v_ashrrev_i32_e32 v2, 31, v1
	v_lshlrev_b64 v[1:2], 2, v[1:2]
	s_waitcnt lgkmcnt(0)
	v_mov_b32_e32 v4, s17
	v_add_co_u32_e32 v1, vcc, s16, v1
	v_addc_co_u32_e32 v2, vcc, v4, v2, vcc
	s_waitcnt vmcnt(0)
	buffer_wbinvl1_vol
	global_load_dword v1, v[1:2], off
	s_waitcnt vmcnt(0)
	v_mul_lo_u32 v1, v1, s22
	v_sub_u32_e32 v5, v3, v1
	v_cmp_lt_i32_e32 vcc, -1, v5
	s_and_b64 exec, exec, vcc
	s_cbranch_execz .LBB43_29
; %bb.23:
	s_lshl_b32 s4, s24, 1
	s_add_i32 s5, s4, s23
	s_lshl_b32 s6, s22, 1
	s_mov_b64 s[0:1], 0
	v_mov_b32_e32 v6, s17
	v_mov_b32_e32 v8, s11
	;; [unrolled: 1-line block ×3, first 2 shown]
	s_branch .LBB43_25
.LBB43_24:                              ;   in Loop: Header=BB43_25 Depth=1
	s_or_b64 exec, exec, s[2:3]
	v_sub_u32_e32 v5, v5, v1
	v_cmp_gt_i32_e32 vcc, 0, v5
	s_or_b64 s[0:1], vcc, s[0:1]
	s_andn2_b64 exec, exec, s[0:1]
	s_cbranch_execz .LBB43_29
.LBB43_25:                              ; =>This Inner Loop Header: Depth=1
	v_add_u32_e32 v3, v5, v0
	s_waitcnt vmcnt(0)
	v_ashrrev_i32_e32 v4, 31, v3
	v_lshlrev_b64 v[9:10], 2, v[3:4]
	v_add_co_u32_e32 v11, vcc, s16, v9
	v_addc_co_u32_e32 v12, vcc, v6, v10, vcc
	v_add_co_u32_e32 v9, vcc, s10, v9
	global_load_dword v1, v[11:12], off
	v_addc_co_u32_e32 v10, vcc, v8, v10, vcc
	global_load_dword v4, v[9:10], off
	s_waitcnt vmcnt(1)
	v_cmp_ne_u32_e32 vcc, 1, v1
	s_and_saveexec_b64 s[2:3], vcc
	s_xor_b64 s[2:3], exec, s[2:3]
	s_cbranch_execz .LBB43_27
; %bb.26:                               ;   in Loop: Header=BB43_25 Depth=1
	v_add_u32_e32 v11, v7, v5
	v_add_u32_e32 v1, s4, v11
	v_lshlrev_b64 v[9:10], 2, v[1:2]
	v_mov_b32_e32 v1, s9
	v_add_co_u32_e32 v9, vcc, s8, v9
	v_addc_co_u32_e32 v10, vcc, v1, v10, vcc
	v_add_u32_e32 v1, s5, v11
	v_lshlrev_b64 v[11:12], 2, v[1:2]
	v_add_u32_e32 v1, s4, v3
	v_lshlrev_b64 v[13:14], 2, v[1:2]
	v_mov_b32_e32 v1, s9
	v_add_co_u32_e32 v13, vcc, s8, v13
	v_addc_co_u32_e32 v14, vcc, v1, v14, vcc
	global_load_dword v15, v[9:10], off
	global_load_dword v16, v[13:14], off
	v_add_co_u32_e32 v9, vcc, s8, v11
	v_addc_co_u32_e32 v10, vcc, v1, v12, vcc
	v_add_u32_e32 v1, s5, v3
	global_load_dword v17, v[9:10], off
	v_lshlrev_b64 v[9:10], 2, v[1:2]
	v_mov_b32_e32 v11, s9
	v_add_co_u32_e32 v9, vcc, s8, v9
	v_addc_co_u32_e32 v10, vcc, v11, v10, vcc
	s_waitcnt vmcnt(1)
	v_fma_f32 v1, -v4, v15, v16
	global_store_dword v[13:14], v1, off
	global_load_dword v3, v[9:10], off
	v_subrev_u32_e32 v1, s22, v5
	v_add_u32_e32 v11, v1, v0
	v_ashrrev_i32_e32 v12, 31, v11
	v_lshlrev_b64 v[12:13], 2, v[11:12]
	v_add_u32_e32 v1, s4, v11
	v_add_co_u32_e32 v12, vcc, s10, v12
	v_addc_co_u32_e32 v13, vcc, v8, v13, vcc
	global_load_dword v16, v[12:13], off
	v_lshlrev_b64 v[12:13], 2, v[1:2]
	v_mov_b32_e32 v14, s9
	v_add_co_u32_e32 v12, vcc, s8, v12
	v_addc_co_u32_e32 v13, vcc, v14, v13, vcc
	s_waitcnt vmcnt(1)
	v_fma_f32 v1, -v4, v17, v3
	global_store_dword v[9:10], v1, off
	global_load_dword v9, v[12:13], off
	v_add_u32_e32 v1, s5, v11
	v_lshlrev_b64 v[3:4], 2, v[1:2]
	v_mov_b32_e32 v10, s9
	v_add_co_u32_e32 v3, vcc, s8, v3
	v_addc_co_u32_e32 v4, vcc, v10, v4, vcc
	s_waitcnt vmcnt(0)
	v_fma_f32 v1, -v16, v15, v9
	global_store_dword v[12:13], v1, off
	global_load_dword v1, v[3:4], off
	s_waitcnt vmcnt(0)
	v_fma_f32 v1, -v16, v17, v1
	global_store_dword v[3:4], v1, off
                                        ; implicit-def: $vgpr3
                                        ; implicit-def: $vgpr4
.LBB43_27:                              ;   in Loop: Header=BB43_25 Depth=1
	s_or_saveexec_b64 s[2:3], s[2:3]
	v_mov_b32_e32 v1, s6
	s_xor_b64 exec, exec, s[2:3]
	s_cbranch_execz .LBB43_24
; %bb.28:                               ;   in Loop: Header=BB43_25 Depth=1
	v_add_u32_e32 v13, v7, v5
	v_add_u32_e32 v1, s4, v13
	v_lshlrev_b64 v[9:10], 2, v[1:2]
	v_mov_b32_e32 v1, s9
	v_add_co_u32_e32 v9, vcc, s8, v9
	v_addc_co_u32_e32 v10, vcc, v1, v10, vcc
	v_add_u32_e32 v1, s4, v3
	v_lshlrev_b64 v[11:12], 2, v[1:2]
	v_mov_b32_e32 v1, s9
	v_add_co_u32_e32 v11, vcc, s8, v11
	v_addc_co_u32_e32 v12, vcc, v1, v12, vcc
	global_load_dword v15, v[9:10], off
	global_load_dword v16, v[11:12], off
	v_add_u32_e32 v1, s5, v13
	v_lshlrev_b64 v[9:10], 2, v[1:2]
	v_add_u32_e32 v1, s5, v3
	v_mov_b32_e32 v17, s9
	v_lshlrev_b64 v[13:14], 2, v[1:2]
	v_add_co_u32_e32 v9, vcc, s8, v9
	v_addc_co_u32_e32 v10, vcc, v17, v10, vcc
	v_mov_b32_e32 v18, s9
	v_add_co_u32_e32 v13, vcc, s8, v13
	v_addc_co_u32_e32 v14, vcc, v18, v14, vcc
	s_waitcnt vmcnt(0)
	v_fma_f32 v1, -v4, v15, v16
	global_store_dword v[11:12], v1, off
	global_load_dword v1, v[9:10], off
	s_nop 0
	global_load_dword v3, v[13:14], off
	s_waitcnt vmcnt(0)
	v_fma_f32 v1, -v4, v1, v3
	global_store_dword v[13:14], v1, off
	v_mov_b32_e32 v1, s22
	s_branch .LBB43_24
.LBB43_29:
	s_endpgm
	.section	.rodata,"a",@progbits
	.p2align	6, 0x0
	.amdhsa_kernel _ZN9rocsparseL19gtsv_LBM_rhs_kernelILj256ELj16ELj2EfEEviiiPKT2_S3_S3_PS1_S3_PKi
		.amdhsa_group_segment_fixed_size 0
		.amdhsa_private_segment_fixed_size 0
		.amdhsa_kernarg_size 64
		.amdhsa_user_sgpr_count 6
		.amdhsa_user_sgpr_private_segment_buffer 1
		.amdhsa_user_sgpr_dispatch_ptr 0
		.amdhsa_user_sgpr_queue_ptr 0
		.amdhsa_user_sgpr_kernarg_segment_ptr 1
		.amdhsa_user_sgpr_dispatch_id 0
		.amdhsa_user_sgpr_flat_scratch_init 0
		.amdhsa_user_sgpr_private_segment_size 0
		.amdhsa_uses_dynamic_stack 0
		.amdhsa_system_sgpr_private_segment_wavefront_offset 0
		.amdhsa_system_sgpr_workgroup_id_x 1
		.amdhsa_system_sgpr_workgroup_id_y 1
		.amdhsa_system_sgpr_workgroup_id_z 0
		.amdhsa_system_sgpr_workgroup_info 0
		.amdhsa_system_vgpr_workitem_id 0
		.amdhsa_next_free_vgpr 28
		.amdhsa_next_free_sgpr 30
		.amdhsa_reserve_vcc 1
		.amdhsa_reserve_flat_scratch 0
		.amdhsa_float_round_mode_32 0
		.amdhsa_float_round_mode_16_64 0
		.amdhsa_float_denorm_mode_32 3
		.amdhsa_float_denorm_mode_16_64 3
		.amdhsa_dx10_clamp 1
		.amdhsa_ieee_mode 1
		.amdhsa_fp16_overflow 0
		.amdhsa_exception_fp_ieee_invalid_op 0
		.amdhsa_exception_fp_denorm_src 0
		.amdhsa_exception_fp_ieee_div_zero 0
		.amdhsa_exception_fp_ieee_overflow 0
		.amdhsa_exception_fp_ieee_underflow 0
		.amdhsa_exception_fp_ieee_inexact 0
		.amdhsa_exception_int_div_zero 0
	.end_amdhsa_kernel
	.section	.text._ZN9rocsparseL19gtsv_LBM_rhs_kernelILj256ELj16ELj2EfEEviiiPKT2_S3_S3_PS1_S3_PKi,"axG",@progbits,_ZN9rocsparseL19gtsv_LBM_rhs_kernelILj256ELj16ELj2EfEEviiiPKT2_S3_S3_PS1_S3_PKi,comdat
.Lfunc_end43:
	.size	_ZN9rocsparseL19gtsv_LBM_rhs_kernelILj256ELj16ELj2EfEEviiiPKT2_S3_S3_PS1_S3_PKi, .Lfunc_end43-_ZN9rocsparseL19gtsv_LBM_rhs_kernelILj256ELj16ELj2EfEEviiiPKT2_S3_S3_PS1_S3_PKi
                                        ; -- End function
	.set _ZN9rocsparseL19gtsv_LBM_rhs_kernelILj256ELj16ELj2EfEEviiiPKT2_S3_S3_PS1_S3_PKi.num_vgpr, 28
	.set _ZN9rocsparseL19gtsv_LBM_rhs_kernelILj256ELj16ELj2EfEEviiiPKT2_S3_S3_PS1_S3_PKi.num_agpr, 0
	.set _ZN9rocsparseL19gtsv_LBM_rhs_kernelILj256ELj16ELj2EfEEviiiPKT2_S3_S3_PS1_S3_PKi.numbered_sgpr, 30
	.set _ZN9rocsparseL19gtsv_LBM_rhs_kernelILj256ELj16ELj2EfEEviiiPKT2_S3_S3_PS1_S3_PKi.num_named_barrier, 0
	.set _ZN9rocsparseL19gtsv_LBM_rhs_kernelILj256ELj16ELj2EfEEviiiPKT2_S3_S3_PS1_S3_PKi.private_seg_size, 0
	.set _ZN9rocsparseL19gtsv_LBM_rhs_kernelILj256ELj16ELj2EfEEviiiPKT2_S3_S3_PS1_S3_PKi.uses_vcc, 1
	.set _ZN9rocsparseL19gtsv_LBM_rhs_kernelILj256ELj16ELj2EfEEviiiPKT2_S3_S3_PS1_S3_PKi.uses_flat_scratch, 0
	.set _ZN9rocsparseL19gtsv_LBM_rhs_kernelILj256ELj16ELj2EfEEviiiPKT2_S3_S3_PS1_S3_PKi.has_dyn_sized_stack, 0
	.set _ZN9rocsparseL19gtsv_LBM_rhs_kernelILj256ELj16ELj2EfEEviiiPKT2_S3_S3_PS1_S3_PKi.has_recursion, 0
	.set _ZN9rocsparseL19gtsv_LBM_rhs_kernelILj256ELj16ELj2EfEEviiiPKT2_S3_S3_PS1_S3_PKi.has_indirect_call, 0
	.section	.AMDGPU.csdata,"",@progbits
; Kernel info:
; codeLenInByte = 2004
; TotalNumSgprs: 34
; NumVgprs: 28
; ScratchSize: 0
; MemoryBound: 0
; FloatMode: 240
; IeeeMode: 1
; LDSByteSize: 0 bytes/workgroup (compile time only)
; SGPRBlocks: 4
; VGPRBlocks: 6
; NumSGPRsForWavesPerEU: 34
; NumVGPRsForWavesPerEU: 28
; Occupancy: 9
; WaveLimiterHint : 0
; COMPUTE_PGM_RSRC2:SCRATCH_EN: 0
; COMPUTE_PGM_RSRC2:USER_SGPR: 6
; COMPUTE_PGM_RSRC2:TRAP_HANDLER: 0
; COMPUTE_PGM_RSRC2:TGID_X_EN: 1
; COMPUTE_PGM_RSRC2:TGID_Y_EN: 1
; COMPUTE_PGM_RSRC2:TGID_Z_EN: 0
; COMPUTE_PGM_RSRC2:TIDIG_COMP_CNT: 0
	.section	.text._ZN9rocsparseL19gtsv_LBM_rhs_kernelILj256ELj16ELj1EfEEviiiPKT2_S3_S3_PS1_S3_PKi,"axG",@progbits,_ZN9rocsparseL19gtsv_LBM_rhs_kernelILj256ELj16ELj1EfEEviiiPKT2_S3_S3_PS1_S3_PKi,comdat
	.globl	_ZN9rocsparseL19gtsv_LBM_rhs_kernelILj256ELj16ELj1EfEEviiiPKT2_S3_S3_PS1_S3_PKi ; -- Begin function _ZN9rocsparseL19gtsv_LBM_rhs_kernelILj256ELj16ELj1EfEEviiiPKT2_S3_S3_PS1_S3_PKi
	.p2align	8
	.type	_ZN9rocsparseL19gtsv_LBM_rhs_kernelILj256ELj16ELj1EfEEviiiPKT2_S3_S3_PS1_S3_PKi,@function
_ZN9rocsparseL19gtsv_LBM_rhs_kernelILj256ELj16ELj1EfEEviiiPKT2_S3_S3_PS1_S3_PKi: ; @_ZN9rocsparseL19gtsv_LBM_rhs_kernelILj256ELj16ELj1EfEEviiiPKT2_S3_S3_PS1_S3_PKi
; %bb.0:
	s_load_dword s24, s[4:5], 0x0
	v_lshl_or_b32 v0, s6, 8, v0
	s_waitcnt lgkmcnt(0)
	s_lshr_b32 s22, s24, 4
	v_cmp_gt_i32_e32 vcc, s22, v0
	s_and_saveexec_b64 s[0:1], vcc
	s_cbranch_execz .LBB44_29
; %bb.1:
	s_load_dwordx4 s[8:11], s[4:5], 0x28
	s_load_dwordx2 s[16:17], s[4:5], 0x38
	s_cmp_lt_i32 s24, 1
	s_mul_i32 s23, s24, s7
	s_cbranch_scc1 .LBB44_21
; %bb.2:
	s_load_dwordx4 s[12:15], s[4:5], 0x10
	s_load_dwordx2 s[6:7], s[4:5], 0x20
	v_ashrrev_i32_e32 v1, 31, v0
	v_lshlrev_b64 v[1:2], 2, v[0:1]
	v_add_u32_e32 v9, s22, v0
	s_waitcnt lgkmcnt(0)
	v_mov_b32_e32 v3, s15
	v_add_co_u32_e32 v1, vcc, s14, v1
	v_addc_co_u32_e32 v2, vcc, v3, v2, vcc
	global_load_dword v13, v[1:2], off
	s_mul_i32 s25, s22, 15
	s_mul_i32 s26, s22, 14
	s_lshl_b32 s27, s22, 1
	v_add_u32_e32 v10, s22, v9
	v_add_u32_e32 v11, s23, v9
	v_mov_b32_e32 v2, 0
	s_mov_b64 s[18:19], 0
	v_mov_b32_e32 v12, s7
	v_mov_b32_e32 v8, 0
	s_branch .LBB44_5
.LBB44_3:                               ;   in Loop: Header=BB44_5 Depth=1
	s_or_b64 exec, exec, s[4:5]
	v_fma_f32 v13, -v6, v5, v16
	v_mov_b32_e32 v6, s22
.LBB44_4:                               ;   in Loop: Header=BB44_5 Depth=1
	s_or_b64 exec, exec, s[2:3]
	v_add_u32_e32 v8, v6, v8
	v_cmp_le_i32_e32 vcc, s24, v8
	s_or_b64 s[18:19], vcc, s[18:19]
	s_andn2_b64 exec, exec, s[18:19]
	s_cbranch_execz .LBB44_20
.LBB44_5:                               ; =>This Inner Loop Header: Depth=1
	v_add_u32_e32 v3, v8, v0
	v_ashrrev_i32_e32 v4, 31, v3
	v_lshlrev_b64 v[4:5], 2, v[3:4]
	v_cmp_gt_u32_e64 s[0:1], s25, v8
	v_add_co_u32_e32 v6, vcc, s6, v4
	v_addc_co_u32_e32 v7, vcc, v12, v5, vcc
	global_load_dword v17, v[6:7], off
	v_add_u32_e32 v6, v9, v8
	v_mov_b32_e32 v14, 0
	s_and_saveexec_b64 s[2:3], s[0:1]
	s_cbranch_execz .LBB44_7
; %bb.6:                                ;   in Loop: Header=BB44_5 Depth=1
	v_ashrrev_i32_e32 v7, 31, v6
	v_lshlrev_b64 v[14:15], 2, v[6:7]
	s_waitcnt vmcnt(1)
	v_mov_b32_e32 v1, s13
	v_add_co_u32_e32 v14, vcc, s12, v14
	v_addc_co_u32_e32 v15, vcc, v1, v15, vcc
	global_load_dword v14, v[14:15], off
.LBB44_7:                               ;   in Loop: Header=BB44_5 Depth=1
	s_or_b64 exec, exec, s[2:3]
	v_mov_b32_e32 v15, 0
	v_mov_b32_e32 v16, 0
	s_and_saveexec_b64 s[2:3], s[0:1]
	s_cbranch_execz .LBB44_9
; %bb.8:                                ;   in Loop: Header=BB44_5 Depth=1
	v_ashrrev_i32_e32 v7, 31, v6
	v_lshlrev_b64 v[18:19], 2, v[6:7]
	s_waitcnt vmcnt(1)
	v_mov_b32_e32 v1, s15
	v_add_co_u32_e32 v18, vcc, s14, v18
	v_addc_co_u32_e32 v19, vcc, v1, v19, vcc
	global_load_dword v16, v[18:19], off
.LBB44_9:                               ;   in Loop: Header=BB44_5 Depth=1
	s_or_b64 exec, exec, s[2:3]
	s_and_saveexec_b64 s[2:3], s[0:1]
	s_cbranch_execz .LBB44_11
; %bb.10:                               ;   in Loop: Header=BB44_5 Depth=1
	v_ashrrev_i32_e32 v7, 31, v6
	v_lshlrev_b64 v[6:7], 2, v[6:7]
	s_waitcnt vmcnt(1)
	v_mov_b32_e32 v1, s7
	v_add_co_u32_e32 v6, vcc, s6, v6
	v_addc_co_u32_e32 v7, vcc, v1, v7, vcc
	global_load_dword v15, v[6:7], off
.LBB44_11:                              ;   in Loop: Header=BB44_5 Depth=1
	s_or_b64 exec, exec, s[2:3]
	v_cmp_gt_u32_e64 s[2:3], s26, v8
	v_mov_b32_e32 v6, 0
	s_and_saveexec_b64 s[4:5], s[2:3]
	s_cbranch_execz .LBB44_13
; %bb.12:                               ;   in Loop: Header=BB44_5 Depth=1
	v_add_u32_e32 v6, v10, v8
	v_ashrrev_i32_e32 v7, 31, v6
	v_lshlrev_b64 v[6:7], 2, v[6:7]
	s_waitcnt vmcnt(1)
	v_mov_b32_e32 v1, s13
	v_add_co_u32_e32 v6, vcc, s12, v6
	v_addc_co_u32_e32 v7, vcc, v1, v7, vcc
	global_load_dword v6, v[6:7], off
.LBB44_13:                              ;   in Loop: Header=BB44_5 Depth=1
	s_or_b64 exec, exec, s[4:5]
	s_waitcnt vmcnt(1)
	v_mov_b32_e32 v1, s17
	v_add_co_u32_e32 v4, vcc, s16, v4
	v_addc_co_u32_e32 v5, vcc, v1, v5, vcc
	v_add_u32_e32 v1, s23, v3
	global_load_dword v5, v[4:5], off
	v_lshlrev_b64 v[3:4], 2, v[1:2]
	v_mov_b32_e32 v1, s9
	v_add_co_u32_e32 v3, vcc, s8, v3
	v_addc_co_u32_e32 v4, vcc, v1, v4, vcc
	global_load_dword v1, v[3:4], off
	v_cmp_ne_u32_e32 vcc, s25, v8
	s_waitcnt vmcnt(1)
	v_cmp_ne_u32_e64 s[4:5], 1, v5
	s_and_b64 s[4:5], vcc, s[4:5]
	v_mul_f32_e32 v5, v17, v14
	s_and_saveexec_b64 s[20:21], s[4:5]
	s_xor_b64 s[4:5], exec, s[20:21]
	s_cbranch_execz .LBB44_17
; %bb.14:                               ;   in Loop: Header=BB44_5 Depth=1
	v_fma_f32 v5, v13, v16, -v5
	v_div_scale_f32 v7, s[20:21], v5, v5, 1.0
	v_rcp_f32_e32 v18, v7
	v_fma_f32 v19, -v7, v18, 1.0
	v_fmac_f32_e32 v18, v19, v18
	v_div_scale_f32 v19, vcc, 1.0, v5, 1.0
	v_mul_f32_e32 v20, v19, v18
	v_fma_f32 v21, -v7, v20, v19
	v_fmac_f32_e32 v20, v21, v18
	v_fma_f32 v7, -v7, v20, v19
	v_div_fmas_f32 v7, v7, v18, v20
	v_div_fixup_f32 v5, v7, v5, 1.0
	s_waitcnt vmcnt(0)
	v_mul_f32_e32 v7, v5, v1
	v_add_u32_e32 v1, v11, v8
	v_lshlrev_b64 v[18:19], 2, v[1:2]
	v_mov_b32_e32 v1, s9
	v_add_co_u32_e32 v20, vcc, s8, v18
	v_addc_co_u32_e32 v21, vcc, v1, v19, vcc
	global_load_dword v1, v[20:21], off
	s_waitcnt vmcnt(0)
	v_mul_f32_e32 v18, v5, v1
	v_mul_f32_e32 v1, v17, v18
	v_fma_f32 v1, v16, v7, -v1
	global_store_dword v[3:4], v1, off
	v_mul_f32_e32 v1, v14, v7
	v_fma_f32 v1, v13, v18, -v1
	global_store_dword v[20:21], v1, off
	v_mov_b32_e32 v1, 0
	s_and_saveexec_b64 s[20:21], s[2:3]
	s_cbranch_execz .LBB44_16
; %bb.15:                               ;   in Loop: Header=BB44_5 Depth=1
	v_add_u32_e32 v3, v10, v8
	v_add_u32_e32 v1, s23, v3
	v_lshlrev_b64 v[16:17], 2, v[1:2]
	v_ashrrev_i32_e32 v4, 31, v3
	v_mov_b32_e32 v1, s9
	v_add_co_u32_e32 v16, vcc, s8, v16
	v_lshlrev_b64 v[3:4], 2, v[3:4]
	v_addc_co_u32_e32 v17, vcc, v1, v17, vcc
	v_mov_b32_e32 v19, s15
	v_add_co_u32_e32 v3, vcc, s14, v3
	global_load_dword v1, v[16:17], off
	v_addc_co_u32_e32 v4, vcc, v19, v4, vcc
	global_load_dword v3, v[3:4], off
	v_mul_f32_e32 v4, v14, v6
	v_mul_f32_e32 v6, v13, v6
	;; [unrolled: 1-line block ×3, first 2 shown]
	v_fma_f32 v4, v4, v7, -v13
	v_mul_f32_e32 v6, v15, v6
	s_waitcnt vmcnt(1)
	v_add_f32_e32 v1, v4, v1
	global_store_dword v[16:17], v1, off
	s_waitcnt vmcnt(1)
	v_fma_f32 v1, -v5, v6, v3
.LBB44_16:                              ;   in Loop: Header=BB44_5 Depth=1
	s_or_b64 exec, exec, s[20:21]
	v_mov_b32_e32 v13, v1
                                        ; implicit-def: $vgpr5
                                        ; implicit-def: $vgpr16
                                        ; implicit-def: $vgpr1
                                        ; implicit-def: $vgpr3_vgpr4
                                        ; implicit-def: $vgpr14
.LBB44_17:                              ;   in Loop: Header=BB44_5 Depth=1
	s_or_saveexec_b64 s[2:3], s[4:5]
	v_mov_b32_e32 v6, s27
	s_xor_b64 exec, exec, s[2:3]
	s_cbranch_execz .LBB44_4
; %bb.18:                               ;   in Loop: Header=BB44_5 Depth=1
	v_div_scale_f32 v6, s[4:5], v13, v13, 1.0
	v_div_scale_f32 v7, vcc, 1.0, v13, 1.0
	v_rcp_f32_e32 v15, v6
	v_fma_f32 v17, -v6, v15, 1.0
	v_fmac_f32_e32 v15, v17, v15
	v_mul_f32_e32 v17, v7, v15
	v_fma_f32 v18, -v6, v17, v7
	v_fmac_f32_e32 v17, v18, v15
	v_fma_f32 v6, -v6, v17, v7
	v_div_fmas_f32 v6, v6, v15, v17
	v_div_fixup_f32 v6, v6, v13, 1.0
	s_waitcnt vmcnt(0)
	v_mul_f32_e32 v7, v6, v1
	global_store_dword v[3:4], v7, off
	s_and_saveexec_b64 s[4:5], s[0:1]
	s_cbranch_execz .LBB44_3
; %bb.19:                               ;   in Loop: Header=BB44_5 Depth=1
	v_add_u32_e32 v1, v11, v8
	v_lshlrev_b64 v[3:4], 2, v[1:2]
	v_mov_b32_e32 v1, s9
	v_add_co_u32_e32 v3, vcc, s8, v3
	v_addc_co_u32_e32 v4, vcc, v1, v4, vcc
	global_load_dword v1, v[3:4], off
	s_waitcnt vmcnt(0)
	v_fma_f32 v1, -v14, v7, v1
	global_store_dword v[3:4], v1, off
	s_branch .LBB44_3
.LBB44_20:
	s_or_b64 exec, exec, s[18:19]
	s_branch .LBB44_22
.LBB44_21:
	v_mov_b32_e32 v8, 0
.LBB44_22:
	v_subrev_u32_e32 v3, s22, v8
	s_waitcnt vmcnt(0)
	v_add_u32_e32 v1, v3, v0
	v_ashrrev_i32_e32 v2, 31, v1
	v_lshlrev_b64 v[1:2], 2, v[1:2]
	s_waitcnt lgkmcnt(0)
	v_mov_b32_e32 v4, s17
	v_add_co_u32_e32 v1, vcc, s16, v1
	v_addc_co_u32_e32 v2, vcc, v4, v2, vcc
	buffer_wbinvl1_vol
	global_load_dword v1, v[1:2], off
	s_waitcnt vmcnt(0)
	v_mul_lo_u32 v1, v1, s22
	v_sub_u32_e32 v5, v3, v1
	v_cmp_lt_i32_e32 vcc, -1, v5
	s_and_b64 exec, exec, vcc
	s_cbranch_execz .LBB44_29
; %bb.23:
	s_add_i32 s0, s23, s22
	v_add_u32_e32 v6, s0, v0
	s_lshl_b32 s4, s22, 1
	s_mov_b64 s[0:1], 0
	v_mov_b32_e32 v7, s17
	v_mov_b32_e32 v8, s11
	;; [unrolled: 1-line block ×3, first 2 shown]
	s_branch .LBB44_25
.LBB44_24:                              ;   in Loop: Header=BB44_25 Depth=1
	s_or_b64 exec, exec, s[2:3]
	v_sub_u32_e32 v5, v5, v1
	v_cmp_gt_i32_e32 vcc, 0, v5
	s_or_b64 s[0:1], vcc, s[0:1]
	s_andn2_b64 exec, exec, s[0:1]
	s_cbranch_execz .LBB44_29
.LBB44_25:                              ; =>This Inner Loop Header: Depth=1
	v_add_u32_e32 v3, v5, v0
	s_waitcnt vmcnt(0)
	v_ashrrev_i32_e32 v4, 31, v3
	v_lshlrev_b64 v[9:10], 2, v[3:4]
	v_add_co_u32_e32 v11, vcc, s16, v9
	v_addc_co_u32_e32 v12, vcc, v7, v10, vcc
	v_add_co_u32_e32 v9, vcc, s10, v9
	global_load_dword v1, v[11:12], off
	v_addc_co_u32_e32 v10, vcc, v8, v10, vcc
	global_load_dword v4, v[9:10], off
	s_waitcnt vmcnt(1)
	v_cmp_ne_u32_e32 vcc, 1, v1
	s_and_saveexec_b64 s[2:3], vcc
	s_xor_b64 s[2:3], exec, s[2:3]
	s_cbranch_execz .LBB44_27
; %bb.26:                               ;   in Loop: Header=BB44_25 Depth=1
	v_add_u32_e32 v1, v6, v5
	v_lshlrev_b64 v[9:10], 2, v[1:2]
	v_mov_b32_e32 v1, s9
	v_add_co_u32_e32 v9, vcc, s8, v9
	v_addc_co_u32_e32 v10, vcc, v1, v10, vcc
	v_add_u32_e32 v1, s23, v3
	v_lshlrev_b64 v[11:12], 2, v[1:2]
	v_mov_b32_e32 v1, s9
	v_add_co_u32_e32 v11, vcc, s8, v11
	v_addc_co_u32_e32 v12, vcc, v1, v12, vcc
	global_load_dword v15, v[9:10], off
	global_load_dword v3, v[11:12], off
	v_subrev_u32_e32 v1, s22, v5
	v_add_u32_e32 v9, v1, v0
	v_ashrrev_i32_e32 v10, 31, v9
	v_add_u32_e32 v1, s23, v9
	v_lshlrev_b64 v[9:10], 2, v[9:10]
	v_lshlrev_b64 v[13:14], 2, v[1:2]
	v_add_co_u32_e32 v9, vcc, s10, v9
	v_addc_co_u32_e32 v10, vcc, v8, v10, vcc
	v_mov_b32_e32 v16, s9
	global_load_dword v1, v[9:10], off
	s_waitcnt vmcnt(1)
	v_fma_f32 v3, -v4, v15, v3
	global_store_dword v[11:12], v3, off
	v_add_co_u32_e32 v3, vcc, s8, v13
	v_addc_co_u32_e32 v4, vcc, v16, v14, vcc
	global_load_dword v9, v[3:4], off
	s_waitcnt vmcnt(0)
	v_fma_f32 v1, -v1, v15, v9
	global_store_dword v[3:4], v1, off
                                        ; implicit-def: $vgpr3
                                        ; implicit-def: $vgpr4
.LBB44_27:                              ;   in Loop: Header=BB44_25 Depth=1
	s_or_saveexec_b64 s[2:3], s[2:3]
	v_mov_b32_e32 v1, s4
	s_xor_b64 exec, exec, s[2:3]
	s_cbranch_execz .LBB44_24
; %bb.28:                               ;   in Loop: Header=BB44_25 Depth=1
	v_add_u32_e32 v1, v6, v5
	v_lshlrev_b64 v[9:10], 2, v[1:2]
	v_mov_b32_e32 v1, s9
	v_add_co_u32_e32 v9, vcc, s8, v9
	v_addc_co_u32_e32 v10, vcc, v1, v10, vcc
	v_add_u32_e32 v1, s23, v3
	v_lshlrev_b64 v[11:12], 2, v[1:2]
	v_mov_b32_e32 v1, s9
	v_add_co_u32_e32 v11, vcc, s8, v11
	v_addc_co_u32_e32 v12, vcc, v1, v12, vcc
	global_load_dword v1, v[9:10], off
	global_load_dword v3, v[11:12], off
	s_waitcnt vmcnt(0)
	v_fma_f32 v1, -v4, v1, v3
	global_store_dword v[11:12], v1, off
	v_mov_b32_e32 v1, s22
	s_branch .LBB44_24
.LBB44_29:
	s_endpgm
	.section	.rodata,"a",@progbits
	.p2align	6, 0x0
	.amdhsa_kernel _ZN9rocsparseL19gtsv_LBM_rhs_kernelILj256ELj16ELj1EfEEviiiPKT2_S3_S3_PS1_S3_PKi
		.amdhsa_group_segment_fixed_size 0
		.amdhsa_private_segment_fixed_size 0
		.amdhsa_kernarg_size 64
		.amdhsa_user_sgpr_count 6
		.amdhsa_user_sgpr_private_segment_buffer 1
		.amdhsa_user_sgpr_dispatch_ptr 0
		.amdhsa_user_sgpr_queue_ptr 0
		.amdhsa_user_sgpr_kernarg_segment_ptr 1
		.amdhsa_user_sgpr_dispatch_id 0
		.amdhsa_user_sgpr_flat_scratch_init 0
		.amdhsa_user_sgpr_private_segment_size 0
		.amdhsa_uses_dynamic_stack 0
		.amdhsa_system_sgpr_private_segment_wavefront_offset 0
		.amdhsa_system_sgpr_workgroup_id_x 1
		.amdhsa_system_sgpr_workgroup_id_y 1
		.amdhsa_system_sgpr_workgroup_id_z 0
		.amdhsa_system_sgpr_workgroup_info 0
		.amdhsa_system_vgpr_workitem_id 0
		.amdhsa_next_free_vgpr 22
		.amdhsa_next_free_sgpr 28
		.amdhsa_reserve_vcc 1
		.amdhsa_reserve_flat_scratch 0
		.amdhsa_float_round_mode_32 0
		.amdhsa_float_round_mode_16_64 0
		.amdhsa_float_denorm_mode_32 3
		.amdhsa_float_denorm_mode_16_64 3
		.amdhsa_dx10_clamp 1
		.amdhsa_ieee_mode 1
		.amdhsa_fp16_overflow 0
		.amdhsa_exception_fp_ieee_invalid_op 0
		.amdhsa_exception_fp_denorm_src 0
		.amdhsa_exception_fp_ieee_div_zero 0
		.amdhsa_exception_fp_ieee_overflow 0
		.amdhsa_exception_fp_ieee_underflow 0
		.amdhsa_exception_fp_ieee_inexact 0
		.amdhsa_exception_int_div_zero 0
	.end_amdhsa_kernel
	.section	.text._ZN9rocsparseL19gtsv_LBM_rhs_kernelILj256ELj16ELj1EfEEviiiPKT2_S3_S3_PS1_S3_PKi,"axG",@progbits,_ZN9rocsparseL19gtsv_LBM_rhs_kernelILj256ELj16ELj1EfEEviiiPKT2_S3_S3_PS1_S3_PKi,comdat
.Lfunc_end44:
	.size	_ZN9rocsparseL19gtsv_LBM_rhs_kernelILj256ELj16ELj1EfEEviiiPKT2_S3_S3_PS1_S3_PKi, .Lfunc_end44-_ZN9rocsparseL19gtsv_LBM_rhs_kernelILj256ELj16ELj1EfEEviiiPKT2_S3_S3_PS1_S3_PKi
                                        ; -- End function
	.set _ZN9rocsparseL19gtsv_LBM_rhs_kernelILj256ELj16ELj1EfEEviiiPKT2_S3_S3_PS1_S3_PKi.num_vgpr, 22
	.set _ZN9rocsparseL19gtsv_LBM_rhs_kernelILj256ELj16ELj1EfEEviiiPKT2_S3_S3_PS1_S3_PKi.num_agpr, 0
	.set _ZN9rocsparseL19gtsv_LBM_rhs_kernelILj256ELj16ELj1EfEEviiiPKT2_S3_S3_PS1_S3_PKi.numbered_sgpr, 28
	.set _ZN9rocsparseL19gtsv_LBM_rhs_kernelILj256ELj16ELj1EfEEviiiPKT2_S3_S3_PS1_S3_PKi.num_named_barrier, 0
	.set _ZN9rocsparseL19gtsv_LBM_rhs_kernelILj256ELj16ELj1EfEEviiiPKT2_S3_S3_PS1_S3_PKi.private_seg_size, 0
	.set _ZN9rocsparseL19gtsv_LBM_rhs_kernelILj256ELj16ELj1EfEEviiiPKT2_S3_S3_PS1_S3_PKi.uses_vcc, 1
	.set _ZN9rocsparseL19gtsv_LBM_rhs_kernelILj256ELj16ELj1EfEEviiiPKT2_S3_S3_PS1_S3_PKi.uses_flat_scratch, 0
	.set _ZN9rocsparseL19gtsv_LBM_rhs_kernelILj256ELj16ELj1EfEEviiiPKT2_S3_S3_PS1_S3_PKi.has_dyn_sized_stack, 0
	.set _ZN9rocsparseL19gtsv_LBM_rhs_kernelILj256ELj16ELj1EfEEviiiPKT2_S3_S3_PS1_S3_PKi.has_recursion, 0
	.set _ZN9rocsparseL19gtsv_LBM_rhs_kernelILj256ELj16ELj1EfEEviiiPKT2_S3_S3_PS1_S3_PKi.has_indirect_call, 0
	.section	.AMDGPU.csdata,"",@progbits
; Kernel info:
; codeLenInByte = 1540
; TotalNumSgprs: 32
; NumVgprs: 22
; ScratchSize: 0
; MemoryBound: 0
; FloatMode: 240
; IeeeMode: 1
; LDSByteSize: 0 bytes/workgroup (compile time only)
; SGPRBlocks: 3
; VGPRBlocks: 5
; NumSGPRsForWavesPerEU: 32
; NumVGPRsForWavesPerEU: 22
; Occupancy: 10
; WaveLimiterHint : 0
; COMPUTE_PGM_RSRC2:SCRATCH_EN: 0
; COMPUTE_PGM_RSRC2:USER_SGPR: 6
; COMPUTE_PGM_RSRC2:TRAP_HANDLER: 0
; COMPUTE_PGM_RSRC2:TGID_X_EN: 1
; COMPUTE_PGM_RSRC2:TGID_Y_EN: 1
; COMPUTE_PGM_RSRC2:TGID_Z_EN: 0
; COMPUTE_PGM_RSRC2:TIDIG_COMP_CNT: 0
	.section	.text._ZN9rocsparseL29gtsv_spike_block_level_kernelILj256ELj16EfEEviiiPT1_PKS1_S4_S2_S2_S2_S2_S2_,"axG",@progbits,_ZN9rocsparseL29gtsv_spike_block_level_kernelILj256ELj16EfEEviiiPT1_PKS1_S4_S2_S2_S2_S2_S2_,comdat
	.globl	_ZN9rocsparseL29gtsv_spike_block_level_kernelILj256ELj16EfEEviiiPT1_PKS1_S4_S2_S2_S2_S2_S2_ ; -- Begin function _ZN9rocsparseL29gtsv_spike_block_level_kernelILj256ELj16EfEEviiiPT1_PKS1_S4_S2_S2_S2_S2_S2_
	.p2align	8
	.type	_ZN9rocsparseL29gtsv_spike_block_level_kernelILj256ELj16EfEEviiiPT1_PKS1_S4_S2_S2_S2_S2_S2_,@function
_ZN9rocsparseL29gtsv_spike_block_level_kernelILj256ELj16EfEEviiiPT1_PKS1_S4_S2_S2_S2_S2_S2_: ; @_ZN9rocsparseL29gtsv_spike_block_level_kernelILj256ELj16EfEEviiiPT1_PKS1_S4_S2_S2_S2_S2_S2_
; %bb.0:
	s_load_dword s14, s[4:5], 0x0
	s_load_dwordx2 s[8:9], s[4:5], 0x18
	v_lshl_or_b32 v1, s6, 8, v0
	v_mov_b32_e32 v3, 0
	v_mov_b32_e32 v2, 0
	s_waitcnt lgkmcnt(0)
	s_lshr_b32 s18, s14, 4
	v_cmp_gt_i32_e64 s[0:1], s18, v1
	s_and_saveexec_b64 s[2:3], s[0:1]
	s_cbranch_execz .LBB45_2
; %bb.1:
	v_ashrrev_i32_e32 v2, 31, v1
	v_lshlrev_b64 v[4:5], 2, v[1:2]
	v_mov_b32_e32 v2, s9
	v_add_co_u32_e32 v4, vcc, s8, v4
	v_addc_co_u32_e32 v5, vcc, v2, v5, vcc
	global_load_dword v2, v[4:5], off
.LBB45_2:
	s_or_b64 exec, exec, s[2:3]
	s_load_dwordx2 s[2:3], s[4:5], 0x20
	v_lshlrev_b32_e32 v5, 2, v0
	v_or_b32_e32 v6, 0x800, v5
	s_waitcnt vmcnt(0)
	ds_write_b32 v5, v2 offset:2048
	s_and_saveexec_b64 s[10:11], s[0:1]
	s_cbranch_execz .LBB45_4
; %bb.3:
	v_mad_u64_u32 v[2:3], s[12:13], s18, 15, v[1:2]
	v_mov_b32_e32 v3, 0
	v_mov_b32_e32 v4, s9
	v_lshlrev_b64 v[2:3], 2, v[2:3]
	v_add_co_u32_e32 v2, vcc, s8, v2
	v_addc_co_u32_e32 v3, vcc, v4, v3, vcc
	global_load_dword v3, v[2:3], off
.LBB45_4:
	s_or_b64 exec, exec, s[10:11]
	s_waitcnt vmcnt(0)
	ds_write_b32 v6, v3 offset:1024
	v_mov_b32_e32 v3, 0
	v_mov_b32_e32 v2, 0
	s_and_saveexec_b64 s[8:9], s[0:1]
	s_cbranch_execz .LBB45_6
; %bb.5:
	v_ashrrev_i32_e32 v2, 31, v1
	v_lshlrev_b64 v[7:8], 2, v[1:2]
	s_waitcnt lgkmcnt(0)
	v_mov_b32_e32 v2, s3
	v_add_co_u32_e32 v7, vcc, s2, v7
	v_addc_co_u32_e32 v8, vcc, v2, v8, vcc
	global_load_dword v2, v[7:8], off
.LBB45_6:
	s_or_b64 exec, exec, s[8:9]
	s_load_dwordx2 s[12:13], s[4:5], 0x10
	s_waitcnt vmcnt(0)
	ds_write_b32 v5, v2
	s_and_saveexec_b64 s[8:9], s[0:1]
	s_cbranch_execz .LBB45_8
; %bb.7:
	v_mad_u64_u32 v[2:3], s[10:11], s18, 15, v[1:2]
	v_mov_b32_e32 v3, 0
	s_waitcnt lgkmcnt(0)
	v_mov_b32_e32 v4, s3
	v_lshlrev_b64 v[2:3], 2, v[2:3]
	v_add_co_u32_e32 v2, vcc, s2, v2
	v_addc_co_u32_e32 v3, vcc, v4, v3, vcc
	global_load_dword v3, v[2:3], off
.LBB45_8:
	s_or_b64 exec, exec, s[8:9]
	s_mul_i32 s14, s14, s7
	s_waitcnt vmcnt(0)
	ds_write_b32 v5, v3 offset:1024
	v_mov_b32_e32 v2, 0
	v_add_u32_e32 v3, s14, v1
	v_mov_b32_e32 v7, 0
	s_waitcnt lgkmcnt(0)
	s_and_saveexec_b64 s[2:3], s[0:1]
	s_cbranch_execz .LBB45_10
; %bb.9:
	v_ashrrev_i32_e32 v4, 31, v3
	v_lshlrev_b64 v[7:8], 2, v[3:4]
	v_mov_b32_e32 v4, s13
	v_add_co_u32_e32 v7, vcc, s12, v7
	v_addc_co_u32_e32 v8, vcc, v4, v8, vcc
	global_load_dword v7, v[7:8], off
.LBB45_10:
	s_or_b64 exec, exec, s[2:3]
	v_or_b32_e32 v4, 0x1000, v5
	s_mul_i32 s19, s18, 15
	s_waitcnt vmcnt(0)
	ds_write_b32 v5, v7 offset:4096
	s_and_saveexec_b64 s[2:3], s[0:1]
	s_cbranch_execz .LBB45_12
; %bb.11:
	s_mul_i32 s8, s18, 15
	s_add_i32 s8, s8, s14
	v_add_u32_e32 v7, s8, v1
	v_mov_b32_e32 v8, 0
	v_lshlrev_b64 v[7:8], 2, v[7:8]
	v_mov_b32_e32 v2, s13
	v_add_co_u32_e32 v7, vcc, s12, v7
	v_addc_co_u32_e32 v8, vcc, v2, v8, vcc
	global_load_dword v2, v[7:8], off
.LBB45_12:
	s_or_b64 exec, exec, s[2:3]
	s_movk_i32 s2, 0x80
	v_cmp_gt_u32_e32 vcc, s2, v0
	s_waitcnt vmcnt(0)
	ds_write_b32 v4, v2 offset:1024
	s_waitcnt lgkmcnt(0)
	s_barrier
	s_and_saveexec_b64 s[2:3], vcc
	s_cbranch_execz .LBB45_14
; %bb.13:
	v_add_u32_e32 v2, v6, v5
	v_add_u32_e32 v21, v5, v5
	ds_read2st64_b64 v[7:10], v2 offset1:2
	ds_read2st64_b64 v[11:14], v21 offset1:2
	v_add_u32_e32 v22, v4, v5
	s_waitcnt lgkmcnt(0)
	v_fma_f32 v19, -v8, v13, 1.0
	v_div_scale_f32 v15, s[8:9], v19, v19, 1.0
	v_div_scale_f32 v16, vcc, 1.0, v19, 1.0
	v_rcp_f32_e32 v17, v15
	v_fma_f32 v18, -v15, v17, 1.0
	v_fmac_f32_e32 v17, v18, v17
	v_mul_f32_e32 v18, v16, v17
	v_fma_f32 v20, -v15, v18, v16
	v_fmac_f32_e32 v18, v20, v17
	v_fma_f32 v15, -v15, v18, v16
	v_div_fmas_f32 v20, v15, v17, v18
	ds_read2st64_b64 v[15:18], v22 offset1:2
	v_div_fixup_f32 v23, v20, v19, 1.0
	s_waitcnt lgkmcnt(0)
	v_fma_f32 v19, -v8, v17, v16
	v_mul_f32_e32 v20, v19, v23
	v_fma_f32 v19, -v20, v11, v15
	v_fma_f32 v15, -v13, v16, v17
	v_mul_f32_e32 v15, v23, v15
	v_mul_f32_e32 v8, v8, v9
	v_fma_f32 v16, -v10, v15, v18
	v_mul_f32_e64 v8, v8, -v23
	v_mul_f32_e32 v18, v23, v12
	v_fma_f32 v7, -v8, v11, v7
	v_mul_f32_e64 v17, v18, -v11
	v_mul_f32_e32 v11, v13, v12
	v_mul_f32_e64 v11, v11, -v23
	v_mul_f32_e32 v9, v23, v9
	v_fma_f32 v12, -v11, v10, v14
	v_mul_f32_e64 v10, v9, -v10
	ds_write2st64_b64 v22, v[19:20], v[15:16] offset1:2
	ds_write2st64_b64 v21, v[17:18], v[11:12] offset1:2
	;; [unrolled: 1-line block ×3, first 2 shown]
.LBB45_14:
	s_or_b64 exec, exec, s[2:3]
	v_cmp_gt_u32_e32 vcc, 64, v0
	s_waitcnt lgkmcnt(0)
	s_barrier
	s_and_saveexec_b64 s[2:3], vcc
	s_cbranch_execz .LBB45_16
; %bb.15:
	v_lshlrev_b32_e32 v2, 4, v0
	v_add_u32_e32 v18, 0x800, v2
	v_add_u32_e32 v19, 0x400, v2
	ds_read2_b32 v[7:8], v18 offset1:2
	ds_read2_b32 v[9:10], v19 offset0:1 offset1:3
	s_waitcnt lgkmcnt(0)
	v_fma_f32 v11, -v8, v9, 1.0
	v_div_scale_f32 v12, s[8:9], v11, v11, 1.0
	v_rcp_f32_e32 v13, v12
	v_fma_f32 v14, -v12, v13, 1.0
	v_fmac_f32_e32 v13, v14, v13
	v_div_scale_f32 v14, vcc, 1.0, v11, 1.0
	v_mul_f32_e32 v15, v14, v13
	v_fma_f32 v16, -v12, v15, v14
	v_fmac_f32_e32 v15, v16, v13
	v_fma_f32 v12, -v12, v15, v14
	v_div_fmas_f32 v12, v12, v13, v15
	v_mad_u32_u24 v16, v0, 12, v4
	v_add_u32_e32 v21, 0x400, v16
	v_div_fixup_f32 v20, v12, v11, 1.0
	ds_read2_b32 v[11:12], v21 offset0:1 offset1:3
	ds_read2_b32 v[13:14], v16 offset1:2
	s_waitcnt lgkmcnt(0)
	v_fma_f32 v15, -v9, v14, v11
	v_mul_f32_e32 v22, v20, v15
	v_fma_f32 v11, -v8, v11, v14
	ds_read2_b32 v[14:15], v2 offset1:2
	v_mul_f32_e32 v11, v11, v20
	s_waitcnt lgkmcnt(0)
	v_fma_f32 v13, -v11, v14, v13
	ds_write2_b32 v16, v13, v11 offset1:2
	v_add_u32_e32 v11, 0xc00, v2
	ds_read2_b32 v[16:17], v11 offset0:1 offset1:3
	v_mul_f32_e32 v9, v9, v15
	v_mul_f32_e64 v9, v9, -v20
	s_waitcnt lgkmcnt(0)
	v_mul_f32_e32 v8, v8, v16
	v_fma_f32 v12, -v17, v22, v12
	v_mul_f32_e64 v8, v8, -v20
	ds_write2_b32 v21, v22, v12 offset0:1 offset1:3
	v_mul_f32_e32 v12, v20, v15
	v_fma_f32 v7, -v8, v14, v7
	ds_write2_b32 v18, v7, v8 offset1:2
	v_mul_f32_e64 v7, v12, -v14
	v_mul_f32_e32 v13, v20, v16
	ds_write2_b32 v2, v7, v12 offset1:2
	v_fma_f32 v2, -v9, v17, v10
	ds_write2_b32 v19, v9, v2 offset0:1 offset1:3
	v_mul_f32_e64 v2, v13, -v17
	ds_write2_b32 v11, v13, v2 offset0:1 offset1:3
.LBB45_16:
	s_or_b64 exec, exec, s[2:3]
	v_cmp_gt_u32_e32 vcc, 32, v0
	s_waitcnt lgkmcnt(0)
	s_barrier
	s_and_saveexec_b64 s[2:3], vcc
	s_cbranch_execz .LBB45_18
; %bb.17:
	v_lshlrev_b32_e32 v2, 5, v0
	v_add_u32_e32 v18, 0x800, v2
	v_add_u32_e32 v19, 0x400, v2
	ds_read2_b32 v[7:8], v18 offset1:4
	ds_read2_b32 v[9:10], v19 offset0:3 offset1:7
	v_add_u32_e32 v21, 0x1400, v2
	s_waitcnt lgkmcnt(0)
	v_fma_f32 v11, -v8, v9, 1.0
	v_div_scale_f32 v12, s[8:9], v11, v11, 1.0
	v_rcp_f32_e32 v13, v12
	v_fma_f32 v14, -v12, v13, 1.0
	v_fmac_f32_e32 v13, v14, v13
	v_div_scale_f32 v14, vcc, 1.0, v11, 1.0
	v_mul_f32_e32 v15, v14, v13
	v_fma_f32 v16, -v12, v15, v14
	v_fmac_f32_e32 v15, v16, v13
	v_fma_f32 v12, -v12, v15, v14
	v_div_fmas_f32 v12, v12, v13, v15
	v_add_u32_e32 v16, 0x1000, v2
	ds_read2_b32 v[13:14], v16 offset1:4
	v_div_fixup_f32 v20, v12, v11, 1.0
	ds_read2_b32 v[11:12], v21 offset0:3 offset1:7
	s_waitcnt lgkmcnt(0)
	v_fma_f32 v15, -v9, v14, v11
	v_mul_f32_e32 v22, v20, v15
	v_fma_f32 v11, -v8, v11, v14
	ds_read2_b32 v[14:15], v2 offset1:4
	v_mul_f32_e32 v11, v11, v20
	s_waitcnt lgkmcnt(0)
	v_fma_f32 v13, -v11, v14, v13
	ds_write2_b32 v16, v13, v11 offset1:4
	v_add_u32_e32 v11, 0xc00, v2
	ds_read2_b32 v[16:17], v11 offset0:3 offset1:7
	v_mul_f32_e32 v9, v9, v15
	v_mul_f32_e64 v9, v9, -v20
	s_waitcnt lgkmcnt(0)
	v_mul_f32_e32 v8, v8, v16
	v_fma_f32 v12, -v17, v22, v12
	v_mul_f32_e64 v8, v8, -v20
	ds_write2_b32 v21, v22, v12 offset0:3 offset1:7
	v_mul_f32_e32 v12, v20, v15
	v_fma_f32 v7, -v8, v14, v7
	ds_write2_b32 v18, v7, v8 offset1:4
	v_mul_f32_e64 v7, v12, -v14
	v_mul_f32_e32 v13, v20, v16
	ds_write2_b32 v2, v7, v12 offset1:4
	v_fma_f32 v2, -v9, v17, v10
	ds_write2_b32 v19, v9, v2 offset0:3 offset1:7
	v_mul_f32_e64 v2, v13, -v17
	ds_write2_b32 v11, v13, v2 offset0:3 offset1:7
.LBB45_18:
	s_or_b64 exec, exec, s[2:3]
	v_cmp_gt_u32_e32 vcc, 16, v0
	s_waitcnt lgkmcnt(0)
	s_barrier
	s_and_saveexec_b64 s[2:3], vcc
	s_cbranch_execz .LBB45_20
; %bb.19:
	v_lshlrev_b32_e32 v2, 6, v0
	v_add_u32_e32 v18, 0x800, v2
	v_add_u32_e32 v19, 0x400, v2
	ds_read2_b32 v[7:8], v18 offset1:8
	ds_read2_b32 v[9:10], v19 offset0:7 offset1:15
	v_add_u32_e32 v21, 0x1400, v2
	s_waitcnt lgkmcnt(0)
	v_fma_f32 v11, -v8, v9, 1.0
	v_div_scale_f32 v12, s[8:9], v11, v11, 1.0
	v_rcp_f32_e32 v13, v12
	v_fma_f32 v14, -v12, v13, 1.0
	v_fmac_f32_e32 v13, v14, v13
	v_div_scale_f32 v14, vcc, 1.0, v11, 1.0
	v_mul_f32_e32 v15, v14, v13
	v_fma_f32 v16, -v12, v15, v14
	v_fmac_f32_e32 v15, v16, v13
	v_fma_f32 v12, -v12, v15, v14
	v_div_fmas_f32 v12, v12, v13, v15
	v_add_u32_e32 v16, 0x1000, v2
	ds_read2_b32 v[13:14], v16 offset1:8
	v_div_fixup_f32 v20, v12, v11, 1.0
	ds_read2_b32 v[11:12], v21 offset0:7 offset1:15
	s_waitcnt lgkmcnt(0)
	v_fma_f32 v15, -v9, v14, v11
	v_mul_f32_e32 v22, v20, v15
	v_fma_f32 v11, -v8, v11, v14
	ds_read2_b32 v[14:15], v2 offset1:8
	v_mul_f32_e32 v11, v11, v20
	s_waitcnt lgkmcnt(0)
	v_fma_f32 v13, -v11, v14, v13
	ds_write2_b32 v16, v13, v11 offset1:8
	v_add_u32_e32 v11, 0xc00, v2
	ds_read2_b32 v[16:17], v11 offset0:7 offset1:15
	v_mul_f32_e32 v9, v9, v15
	v_mul_f32_e64 v9, v9, -v20
	s_waitcnt lgkmcnt(0)
	v_mul_f32_e32 v8, v8, v16
	v_fma_f32 v12, -v17, v22, v12
	v_mul_f32_e64 v8, v8, -v20
	ds_write2_b32 v21, v22, v12 offset0:7 offset1:15
	v_mul_f32_e32 v12, v20, v15
	v_fma_f32 v7, -v8, v14, v7
	ds_write2_b32 v18, v7, v8 offset1:8
	v_mul_f32_e64 v7, v12, -v14
	v_mul_f32_e32 v13, v20, v16
	ds_write2_b32 v2, v7, v12 offset1:8
	v_fma_f32 v2, -v9, v17, v10
	ds_write2_b32 v19, v9, v2 offset0:7 offset1:15
	v_mul_f32_e64 v2, v13, -v17
	ds_write2_b32 v11, v13, v2 offset0:7 offset1:15
.LBB45_20:
	;; [unrolled: 58-line block ×4, first 2 shown]
	s_or_b64 exec, exec, s[2:3]
	v_cmp_gt_u32_e32 vcc, 2, v0
	s_waitcnt lgkmcnt(0)
	s_barrier
	s_and_saveexec_b64 s[2:3], vcc
	s_cbranch_execz .LBB45_26
; %bb.25:
	v_lshlrev_b32_e32 v2, 9, v0
	v_add_u32_e32 v19, 0xfc, v2
	ds_read2st64_b32 v[7:8], v19 offset0:4 offset1:5
	ds_read2st64_b32 v[9:10], v2 offset0:8 offset1:9
	;; [unrolled: 1-line block ×3, first 2 shown]
	ds_read2st64_b32 v[13:14], v2 offset1:1
	ds_read2st64_b32 v[15:16], v19 offset0:12 offset1:13
	s_waitcnt lgkmcnt(3)
	v_fma_f32 v20, -v10, v7, 1.0
	v_div_scale_f32 v17, s[8:9], v20, v20, 1.0
	v_div_scale_f32 v18, vcc, 1.0, v20, 1.0
	v_rcp_f32_e32 v21, v17
	v_fma_f32 v22, -v17, v21, 1.0
	v_fmac_f32_e32 v21, v22, v21
	v_mul_f32_e32 v22, v18, v21
	v_fma_f32 v23, -v17, v22, v18
	v_fmac_f32_e32 v22, v23, v21
	v_fma_f32 v17, -v17, v22, v18
	v_div_fmas_f32 v21, v17, v21, v22
	ds_read2st64_b32 v[17:18], v19 offset0:20 offset1:21
	s_waitcnt lgkmcnt(0)
	v_fma_f32 v22, -v7, v12, v17
	v_fma_f32 v12, -v10, v17, v12
	v_mul_f32_e32 v7, v7, v14
	v_mul_f32_e32 v10, v10, v15
	v_div_fixup_f32 v17, v21, v20, 1.0
	v_mul_f32_e32 v12, v12, v17
	v_mul_f32_e32 v20, v17, v22
	v_mul_f32_e64 v7, v7, -v17
	v_fma_f32 v11, -v12, v13, v11
	v_mul_f32_e32 v14, v17, v14
	v_mul_f32_e64 v10, v10, -v17
	v_mul_f32_e32 v15, v17, v15
	v_fma_f32 v17, -v16, v20, v18
	v_fma_f32 v9, -v10, v13, v9
	v_mul_f32_e64 v13, v14, -v13
	v_fma_f32 v8, -v7, v16, v8
	v_mul_f32_e64 v16, v15, -v16
	ds_write2st64_b32 v2, v11, v12 offset0:16 offset1:17
	ds_write2st64_b32 v19, v20, v17 offset0:20 offset1:21
	;; [unrolled: 1-line block ×3, first 2 shown]
	ds_write2st64_b32 v2, v13, v14 offset1:1
	ds_write2st64_b32 v19, v7, v8 offset0:4 offset1:5
	ds_write2st64_b32 v19, v15, v16 offset0:12 offset1:13
.LBB45_26:
	s_or_b64 exec, exec, s[2:3]
	v_cmp_eq_u32_e64 s[2:3], 0, v0
	s_waitcnt lgkmcnt(0)
	s_barrier
	s_and_saveexec_b64 s[8:9], s[2:3]
	s_cbranch_execz .LBB45_28
; %bb.27:
	s_movk_i32 s10, 0xa00
	v_add_u32_e64 v2, s10, 0
	v_mov_b32_e32 v0, 0
	ds_read2_b32 v[7:8], v2 offset1:255
	ds_read_b32 v13, v0 offset:1532
	v_mov_b32_e32 v17, 0xffc
	s_waitcnt lgkmcnt(0)
	v_fma_f32 v9, -v7, v13, 1.0
	v_div_scale_f32 v10, s[10:11], v9, v9, 1.0
	s_movk_i32 s10, 0x1200
	v_rcp_f32_e32 v11, v10
	v_fma_f32 v12, -v10, v11, 1.0
	v_fmac_f32_e32 v11, v12, v11
	v_div_scale_f32 v12, vcc, 1.0, v9, 1.0
	v_mul_f32_e32 v14, v12, v11
	v_fma_f32 v15, -v10, v14, v12
	v_fmac_f32_e32 v14, v15, v11
	v_fma_f32 v10, -v10, v14, v12
	v_div_fmas_f32 v10, v10, v11, v14
	v_add_u32_e64 v11, s10, 0
	v_div_fixup_f32 v14, v10, v9, 1.0
	ds_read2_b32 v[9:10], v11 offset1:255
	s_waitcnt lgkmcnt(0)
	v_fma_f32 v12, -v13, v9, v10
	v_fma_f32 v9, -v7, v10, v9
	v_mul_f32_e32 v15, v14, v12
	v_mul_f32_e32 v16, v9, v14
	ds_write2_b32 v11, v16, v15 offset1:255
	ds_read2_b32 v[9:10], v17 offset1:1
	ds_read2st64_b32 v[11:12], v0 offset1:2
	v_mul_f32_e32 v7, v7, v8
	s_waitcnt lgkmcnt(0)
	v_fma_f32 v10, -v16, v11, v10
	ds_read_b32 v16, v0 offset:6140
	v_mul_f32_e32 v13, v13, v12
	v_mul_f32_e64 v13, v13, -v14
	v_mul_f32_e32 v12, v14, v12
	ds_write_b32 v0, v13 offset:1532
	s_waitcnt lgkmcnt(1)
	v_fma_f32 v15, -v9, v15, v16
	ds_write_b32 v0, v15 offset:6140
	v_mul_f32_e64 v15, v7, -v14
	v_mul_f32_e32 v14, v14, v8
	ds_write2_b32 v2, v15, v14 offset1:255
	v_mov_b32_e32 v2, 0x7fc
	ds_read2_b32 v[7:8], v2 offset1:1
	s_waitcnt lgkmcnt(0)
	v_fma_f32 v8, -v15, v11, v8
	v_mul_f32_e64 v11, v12, -v11
	ds_write2st64_b32 v0, v11, v12 offset1:2
	v_fma_f32 v0, -v13, v9, v7
	ds_write2_b32 v2, v0, v8 offset1:1
	v_mul_f32_e64 v0, v14, -v9
	ds_write2_b32 v17, v0, v10 offset1:1
.LBB45_28:
	s_or_b64 exec, exec, s[8:9]
	s_load_dwordx2 s[14:15], s[4:5], 0x48
	s_load_dwordx4 s[8:11], s[4:5], 0x38
	s_waitcnt lgkmcnt(0)
	s_barrier
	s_and_saveexec_b64 s[16:17], s[0:1]
	s_cbranch_execnz .LBB45_31
; %bb.29:
	s_or_b64 exec, exec, s[16:17]
	s_and_saveexec_b64 s[0:1], s[2:3]
	s_cbranch_execnz .LBB45_35
.LBB45_30:
	s_endpgm
.LBB45_31:
	s_cmp_eq_u32 s7, 0
	s_cbranch_scc1 .LBB45_39
; %bb.32:
	s_mul_i32 s18, s18, 15
	s_cbranch_execnz .LBB45_34
.LBB45_33:
	s_load_dwordx4 s[20:23], s[4:5], 0x28
	v_ashrrev_i32_e32 v2, 31, v1
	v_lshlrev_b64 v[8:9], 2, v[1:2]
	ds_read2st64_b32 v[6:7], v6 offset1:4
	s_mov_b32 s18, s19
	s_waitcnt lgkmcnt(0)
	v_mov_b32_e32 v0, s21
	v_add_co_u32_e32 v10, vcc, s20, v8
	v_addc_co_u32_e32 v11, vcc, v0, v9, vcc
	v_add_u32_e32 v0, s19, v1
	v_mov_b32_e32 v1, 0
	v_lshlrev_b64 v[0:1], 2, v[0:1]
	global_store_dword v[10:11], v6, off
	v_mov_b32_e32 v2, s21
	v_add_co_u32_e32 v10, vcc, s20, v0
	v_addc_co_u32_e32 v11, vcc, v2, v1, vcc
	ds_read2st64_b32 v[5:6], v5 offset1:4
	global_store_dword v[10:11], v7, off
	v_mov_b32_e32 v2, s23
	v_add_co_u32_e32 v7, vcc, s22, v8
	v_addc_co_u32_e32 v8, vcc, v2, v9, vcc
	v_add_co_u32_e32 v0, vcc, s22, v0
	v_addc_co_u32_e32 v1, vcc, v2, v1, vcc
	s_waitcnt lgkmcnt(0)
	global_store_dword v[7:8], v5, off
	global_store_dword v[0:1], v6, off
.LBB45_34:
	ds_read2st64_b32 v[0:1], v4 offset1:4
	v_ashrrev_i32_e32 v4, 31, v3
	v_lshlrev_b64 v[4:5], 2, v[3:4]
	v_mov_b32_e32 v2, s13
	v_add_co_u32_e32 v4, vcc, s12, v4
	v_addc_co_u32_e32 v5, vcc, v2, v5, vcc
	v_add_u32_e32 v2, s18, v3
	v_mov_b32_e32 v3, 0
	v_lshlrev_b64 v[2:3], 2, v[2:3]
	s_waitcnt lgkmcnt(0)
	global_store_dword v[4:5], v0, off
	v_mov_b32_e32 v0, s13
	v_add_co_u32_e32 v2, vcc, s12, v2
	v_addc_co_u32_e32 v3, vcc, v0, v3, vcc
	global_store_dword v[2:3], v1, off
	s_or_b64 exec, exec, s[16:17]
	s_and_saveexec_b64 s[0:1], s[2:3]
	s_cbranch_execz .LBB45_30
.LBB45_35:
	s_cmp_eq_u32 s7, 0
	s_cbranch_scc1 .LBB45_40
; %bb.36:
	s_load_dword s2, s[4:5], 0x50
	s_cbranch_execnz .LBB45_38
.LBB45_37:
	v_mov_b32_e32 v0, 0x7fc
	ds_read2_b32 v[0:1], v0 offset1:1
	s_waitcnt lgkmcnt(0)
	s_load_dword s2, s[4:5], 0x50
	s_mov_b32 s0, s7
	s_ashr_i32 s7, s6, 31
	s_lshl_b64 s[12:13], s[6:7], 2
	s_mov_b32 s7, s0
	s_add_u32 s0, s10, s12
	s_addc_u32 s1, s11, s13
	v_mov_b32_e32 v2, 0
	ds_read_b32 v3, v2 offset:4092
	ds_read_b32 v4, v2
	global_store_dword v2, v1, s[0:1]
	s_waitcnt lgkmcnt(0)
	s_add_i32 s0, s2, s6
	s_mov_b32 s1, 0
	s_lshl_b64 s[0:1], s[0:1], 2
	s_add_u32 s4, s10, s0
	s_addc_u32 s5, s11, s1
	global_store_dword v2, v3, s[4:5]
	s_add_u32 s4, s14, s12
	s_addc_u32 s5, s15, s13
	s_add_u32 s0, s14, s0
	s_addc_u32 s1, s15, s1
	global_store_dword v2, v4, s[4:5]
	global_store_dword v2, v0, s[0:1]
.LBB45_38:
	s_waitcnt lgkmcnt(0)
	s_mul_i32 s0, s2, s7
	s_lshl_b32 s0, s0, 1
	s_add_i32 s0, s0, s6
	s_mov_b32 s1, 0
	v_mov_b32_e32 v0, 0
	s_lshl_b64 s[4:5], s[0:1], 2
	ds_read_b32 v1, v0 offset:4096
	ds_read_b32 v2, v0 offset:6140
	s_add_u32 s4, s8, s4
	s_addc_u32 s5, s9, s5
	s_add_i32 s0, s0, s2
	s_lshl_b64 s[0:1], s[0:1], 2
	s_add_u32 s0, s8, s0
	s_addc_u32 s1, s9, s1
	s_waitcnt lgkmcnt(1)
	global_store_dword v0, v1, s[4:5]
	s_waitcnt lgkmcnt(0)
	global_store_dword v0, v2, s[0:1]
	s_endpgm
.LBB45_39:
                                        ; implicit-def: $sgpr18
	s_branch .LBB45_33
.LBB45_40:
                                        ; implicit-def: $sgpr2
	s_branch .LBB45_37
	.section	.rodata,"a",@progbits
	.p2align	6, 0x0
	.amdhsa_kernel _ZN9rocsparseL29gtsv_spike_block_level_kernelILj256ELj16EfEEviiiPT1_PKS1_S4_S2_S2_S2_S2_S2_
		.amdhsa_group_segment_fixed_size 6144
		.amdhsa_private_segment_fixed_size 0
		.amdhsa_kernarg_size 336
		.amdhsa_user_sgpr_count 6
		.amdhsa_user_sgpr_private_segment_buffer 1
		.amdhsa_user_sgpr_dispatch_ptr 0
		.amdhsa_user_sgpr_queue_ptr 0
		.amdhsa_user_sgpr_kernarg_segment_ptr 1
		.amdhsa_user_sgpr_dispatch_id 0
		.amdhsa_user_sgpr_flat_scratch_init 0
		.amdhsa_user_sgpr_private_segment_size 0
		.amdhsa_uses_dynamic_stack 0
		.amdhsa_system_sgpr_private_segment_wavefront_offset 0
		.amdhsa_system_sgpr_workgroup_id_x 1
		.amdhsa_system_sgpr_workgroup_id_y 1
		.amdhsa_system_sgpr_workgroup_id_z 0
		.amdhsa_system_sgpr_workgroup_info 0
		.amdhsa_system_vgpr_workitem_id 0
		.amdhsa_next_free_vgpr 24
		.amdhsa_next_free_sgpr 24
		.amdhsa_reserve_vcc 1
		.amdhsa_reserve_flat_scratch 0
		.amdhsa_float_round_mode_32 0
		.amdhsa_float_round_mode_16_64 0
		.amdhsa_float_denorm_mode_32 3
		.amdhsa_float_denorm_mode_16_64 3
		.amdhsa_dx10_clamp 1
		.amdhsa_ieee_mode 1
		.amdhsa_fp16_overflow 0
		.amdhsa_exception_fp_ieee_invalid_op 0
		.amdhsa_exception_fp_denorm_src 0
		.amdhsa_exception_fp_ieee_div_zero 0
		.amdhsa_exception_fp_ieee_overflow 0
		.amdhsa_exception_fp_ieee_underflow 0
		.amdhsa_exception_fp_ieee_inexact 0
		.amdhsa_exception_int_div_zero 0
	.end_amdhsa_kernel
	.section	.text._ZN9rocsparseL29gtsv_spike_block_level_kernelILj256ELj16EfEEviiiPT1_PKS1_S4_S2_S2_S2_S2_S2_,"axG",@progbits,_ZN9rocsparseL29gtsv_spike_block_level_kernelILj256ELj16EfEEviiiPT1_PKS1_S4_S2_S2_S2_S2_S2_,comdat
.Lfunc_end45:
	.size	_ZN9rocsparseL29gtsv_spike_block_level_kernelILj256ELj16EfEEviiiPT1_PKS1_S4_S2_S2_S2_S2_S2_, .Lfunc_end45-_ZN9rocsparseL29gtsv_spike_block_level_kernelILj256ELj16EfEEviiiPT1_PKS1_S4_S2_S2_S2_S2_S2_
                                        ; -- End function
	.set _ZN9rocsparseL29gtsv_spike_block_level_kernelILj256ELj16EfEEviiiPT1_PKS1_S4_S2_S2_S2_S2_S2_.num_vgpr, 24
	.set _ZN9rocsparseL29gtsv_spike_block_level_kernelILj256ELj16EfEEviiiPT1_PKS1_S4_S2_S2_S2_S2_S2_.num_agpr, 0
	.set _ZN9rocsparseL29gtsv_spike_block_level_kernelILj256ELj16EfEEviiiPT1_PKS1_S4_S2_S2_S2_S2_S2_.numbered_sgpr, 24
	.set _ZN9rocsparseL29gtsv_spike_block_level_kernelILj256ELj16EfEEviiiPT1_PKS1_S4_S2_S2_S2_S2_S2_.num_named_barrier, 0
	.set _ZN9rocsparseL29gtsv_spike_block_level_kernelILj256ELj16EfEEviiiPT1_PKS1_S4_S2_S2_S2_S2_S2_.private_seg_size, 0
	.set _ZN9rocsparseL29gtsv_spike_block_level_kernelILj256ELj16EfEEviiiPT1_PKS1_S4_S2_S2_S2_S2_S2_.uses_vcc, 1
	.set _ZN9rocsparseL29gtsv_spike_block_level_kernelILj256ELj16EfEEviiiPT1_PKS1_S4_S2_S2_S2_S2_S2_.uses_flat_scratch, 0
	.set _ZN9rocsparseL29gtsv_spike_block_level_kernelILj256ELj16EfEEviiiPT1_PKS1_S4_S2_S2_S2_S2_S2_.has_dyn_sized_stack, 0
	.set _ZN9rocsparseL29gtsv_spike_block_level_kernelILj256ELj16EfEEviiiPT1_PKS1_S4_S2_S2_S2_S2_S2_.has_recursion, 0
	.set _ZN9rocsparseL29gtsv_spike_block_level_kernelILj256ELj16EfEEviiiPT1_PKS1_S4_S2_S2_S2_S2_S2_.has_indirect_call, 0
	.section	.AMDGPU.csdata,"",@progbits
; Kernel info:
; codeLenInByte = 3864
; TotalNumSgprs: 28
; NumVgprs: 24
; ScratchSize: 0
; MemoryBound: 0
; FloatMode: 240
; IeeeMode: 1
; LDSByteSize: 6144 bytes/workgroup (compile time only)
; SGPRBlocks: 3
; VGPRBlocks: 5
; NumSGPRsForWavesPerEU: 28
; NumVGPRsForWavesPerEU: 24
; Occupancy: 10
; WaveLimiterHint : 0
; COMPUTE_PGM_RSRC2:SCRATCH_EN: 0
; COMPUTE_PGM_RSRC2:USER_SGPR: 6
; COMPUTE_PGM_RSRC2:TRAP_HANDLER: 0
; COMPUTE_PGM_RSRC2:TGID_X_EN: 1
; COMPUTE_PGM_RSRC2:TGID_Y_EN: 1
; COMPUTE_PGM_RSRC2:TGID_Z_EN: 0
; COMPUTE_PGM_RSRC2:TIDIG_COMP_CNT: 0
	.section	.text._ZN9rocsparseL33gtsv_solve_spike_propagate_kernelILj256ELj16EfEEviiiPT1_PKS1_S4_S4_,"axG",@progbits,_ZN9rocsparseL33gtsv_solve_spike_propagate_kernelILj256ELj16EfEEviiiPT1_PKS1_S4_S4_,comdat
	.globl	_ZN9rocsparseL33gtsv_solve_spike_propagate_kernelILj256ELj16EfEEviiiPT1_PKS1_S4_S4_ ; -- Begin function _ZN9rocsparseL33gtsv_solve_spike_propagate_kernelILj256ELj16EfEEviiiPT1_PKS1_S4_S4_
	.p2align	8
	.type	_ZN9rocsparseL33gtsv_solve_spike_propagate_kernelILj256ELj16EfEEviiiPT1_PKS1_S4_S4_,@function
_ZN9rocsparseL33gtsv_solve_spike_propagate_kernelILj256ELj16EfEEviiiPT1_PKS1_S4_S4_: ; @_ZN9rocsparseL33gtsv_solve_spike_propagate_kernelILj256ELj16EfEEviiiPT1_PKS1_S4_S4_
; %bb.0:
	s_load_dword s10, s[4:5], 0x0
	v_lshl_or_b32 v1, s6, 8, v0
	v_mov_b32_e32 v4, 0
	v_ashrrev_i32_e32 v2, 31, v1
	v_mov_b32_e32 v5, 0
	s_waitcnt lgkmcnt(0)
	s_lshr_b32 s12, s10, 4
	v_cmp_le_i32_e64 s[0:1], s12, v1
	v_cmp_gt_i32_e32 vcc, s12, v1
	s_and_saveexec_b64 s[8:9], vcc
	s_cbranch_execz .LBB46_2
; %bb.1:
	s_load_dwordx2 s[14:15], s[4:5], 0x18
	v_lshlrev_b64 v[3:4], 2, v[1:2]
	v_mad_u64_u32 v[5:6], s[2:3], s12, 15, v[1:2]
	s_waitcnt lgkmcnt(0)
	v_mov_b32_e32 v6, s15
	v_add_co_u32_e64 v7, s[2:3], s14, v3
	v_addc_co_u32_e64 v8, s[2:3], v6, v4, s[2:3]
	v_mov_b32_e32 v6, 0
	v_lshlrev_b64 v[3:4], 2, v[5:6]
	v_mov_b32_e32 v5, s15
	v_add_co_u32_e64 v9, s[2:3], s14, v3
	v_addc_co_u32_e64 v10, s[2:3], v5, v4, s[2:3]
	global_load_dword v4, v[7:8], off
	global_load_dword v5, v[9:10], off
.LBB46_2:
	s_or_b64 exec, exec, s[8:9]
	s_load_dwordx2 s[2:3], s[4:5], 0x10
	v_lshlrev_b32_e32 v3, 2, v0
	v_add_u32_e32 v6, 16, v3
	s_waitcnt vmcnt(0)
	ds_write2st64_b32 v6, v4, v5 offset0:16 offset1:20
	s_and_saveexec_b64 s[8:9], s[0:1]
	s_xor_b64 s[0:1], exec, s[8:9]
; %bb.3:
	v_mov_b32_e32 v2, 0
	ds_write2st64_b32 v6, v2, v2 offset0:8 offset1:12
; %bb.4:
	s_or_saveexec_b64 s[8:9], s[0:1]
	v_mov_b32_e32 v4, 0
	s_mul_i32 s10, s10, s7
	v_mov_b32_e32 v5, 0
	s_xor_b64 exec, exec, s[8:9]
	s_cbranch_execz .LBB46_6
; %bb.5:
	s_load_dwordx2 s[14:15], s[4:5], 0x20
	v_mad_u64_u32 v[7:8], s[0:1], s12, 15, v[1:2]
	v_lshlrev_b64 v[5:6], 2, v[1:2]
	v_mov_b32_e32 v8, 0
	s_waitcnt lgkmcnt(0)
	v_mov_b32_e32 v2, s15
	v_add_co_u32_e64 v5, s[0:1], s14, v5
	v_lshlrev_b64 v[9:10], 2, v[7:8]
	v_addc_co_u32_e64 v6, s[0:1], v2, v6, s[0:1]
	v_add_co_u32_e64 v9, s[0:1], s14, v9
	v_add_u32_e32 v7, s10, v7
	v_addc_co_u32_e64 v10, s[0:1], v2, v10, s[0:1]
	global_load_dword v2, v[5:6], off
	global_load_dword v11, v[9:10], off
	v_lshlrev_b64 v[5:6], 2, v[7:8]
	v_mov_b32_e32 v7, s3
	v_add_co_u32_e64 v5, s[0:1], s2, v5
	v_addc_co_u32_e64 v6, s[0:1], v7, v6, s[0:1]
	global_load_dword v5, v[5:6], off
	v_add_u32_e32 v6, 16, v3
	s_waitcnt vmcnt(1)
	ds_write2st64_b32 v6, v2, v11 offset0:8 offset1:12
.LBB46_6:
	s_or_b64 exec, exec, s[8:9]
	v_add_u32_e32 v1, s10, v1
	s_waitcnt vmcnt(0)
	ds_write_b32 v3, v5 offset:4
	s_and_saveexec_b64 s[8:9], vcc
	s_cbranch_execz .LBB46_8
; %bb.7:
	v_ashrrev_i32_e32 v2, 31, v1
	v_lshlrev_b64 v[4:5], 2, v[1:2]
	s_waitcnt lgkmcnt(0)
	v_mov_b32_e32 v2, s3
	v_add_co_u32_e64 v4, s[0:1], s2, v4
	v_addc_co_u32_e64 v5, s[0:1], v2, v5, s[0:1]
	global_load_dword v4, v[4:5], off
.LBB46_8:
	s_or_b64 exec, exec, s[8:9]
	s_mov_b32 s14, 0
	v_cmp_eq_u32_e64 s[0:1], 0, v0
	s_waitcnt vmcnt(0)
	ds_write_b32 v3, v4 offset:1028
	s_waitcnt lgkmcnt(0)
	s_barrier
	s_and_saveexec_b64 s[8:9], s[0:1]
	s_cbranch_execz .LBB46_14
; %bb.9:
	s_load_dword s13, s[4:5], 0x30
	s_load_dwordx2 s[10:11], s[4:5], 0x28
	s_cmp_lt_i32 s6, 1
	s_waitcnt lgkmcnt(0)
	s_mul_i32 s7, s7, s13
	s_cbranch_scc1 .LBB46_11
; %bb.10:
	s_lshl_b32 s4, s7, 1
	s_add_i32 s5, s6, s13
	s_add_i32 s4, s5, s4
	s_add_i32 s4, s4, -1
	s_mov_b32 s5, 0
	s_lshl_b64 s[4:5], s[4:5], 2
	s_add_u32 s4, s10, s4
	s_addc_u32 s5, s11, s5
	s_load_dword s14, s[4:5], 0x0
.LBB46_11:
	s_add_i32 s4, s13, -1
	v_mov_b32_e32 v2, 0
	s_waitcnt lgkmcnt(0)
	v_mov_b32_e32 v4, s14
	s_mov_b32 s5, 0
	s_cmp_ge_u32 s6, s4
	s_mov_b32 s14, 0
	ds_write_b32 v2, v4
	s_cbranch_scc1 .LBB46_13
; %bb.12:
	s_lshl_b32 s4, s7, 1
	s_add_i32 s4, s6, s4
	s_add_i32 s14, s4, 1
	s_mov_b32 s15, 0
	s_lshl_b64 s[14:15], s[14:15], 2
	s_add_u32 s14, s10, s14
	s_addc_u32 s15, s11, s15
	s_load_dword s14, s[14:15], 0x0
.LBB46_13:
	s_lshl_b32 s4, s7, 1
	s_add_i32 s4, s4, s6
	s_lshl_b64 s[6:7], s[4:5], 2
	s_add_u32 s6, s10, s6
	s_addc_u32 s7, s11, s7
	s_add_i32 s4, s4, s13
	s_lshl_b64 s[4:5], s[4:5], 2
	s_add_u32 s4, s10, s4
	s_addc_u32 s5, s11, s5
	s_load_dword s10, s[4:5], 0x0
	s_load_dword s11, s[6:7], 0x0
	s_waitcnt lgkmcnt(0)
	v_mov_b32_e32 v4, s14
	ds_write_b32 v2, v4 offset:2052
	v_mov_b32_e32 v4, s10
	v_mov_b32_e32 v5, s11
	ds_write_b64 v2, v[4:5] offset:1024
.LBB46_14:
	s_or_b64 exec, exec, s[8:9]
	s_waitcnt lgkmcnt(0)
	s_barrier
	s_and_saveexec_b64 s[4:5], s[0:1]
	s_cbranch_execz .LBB46_16
; %bb.15:
	s_movk_i32 s0, 0xa10
	v_mov_b32_e32 v2, 0
	v_add_u32_e64 v6, s0, 0
	v_add_u32_e64 v8, 4, 0
	s_movk_i32 s0, 0x1210
	ds_read2st64_b32 v[4:5], v2 offset1:2
	ds_read2_b32 v[6:7], v6 offset1:255
	ds_read2st64_b32 v[8:9], v8 offset0:6 offset1:8
	v_add_u32_e64 v10, s0, 0
	ds_read2_b32 v[10:11], v10 offset1:255
	s_waitcnt lgkmcnt(1)
	v_fma_f32 v5, -v7, v9, v5
	s_waitcnt lgkmcnt(0)
	v_fma_f32 v5, -v11, v4, v5
	ds_write_b32 v2, v5 offset:512
	v_fma_f32 v5, -v6, v9, v8
	v_fma_f32 v4, -v10, v4, v5
	ds_write_b32 v2, v4 offset:1540
.LBB46_16:
	s_or_b64 exec, exec, s[4:5]
	v_cmp_gt_u32_e64 s[0:1], 2, v0
	s_waitcnt lgkmcnt(0)
	s_barrier
	s_and_saveexec_b64 s[4:5], s[0:1]
	s_cbranch_execz .LBB46_18
; %bb.17:
	s_movk_i32 s0, 0x1fc
	v_mad_u32_u24 v2, v0, s0, v3
	v_lshlrev_b32_e32 v10, 9, v0
	v_add_u32_e32 v6, 0x910, v10
	v_add_u32_e32 v8, 4, v2
	ds_read2st64_b32 v[4:5], v2 offset1:1
	ds_read2_b32 v[6:7], v6 offset1:255
	ds_read2st64_b32 v[8:9], v8 offset0:5 offset1:6
	v_add_u32_e32 v10, 0x1110, v10
	ds_read2_b32 v[10:11], v10 offset1:255
	s_waitcnt lgkmcnt(1)
	v_fma_f32 v5, -v7, v9, v5
	s_waitcnt lgkmcnt(0)
	v_fma_f32 v5, -v11, v4, v5
	ds_write_b32 v2, v5 offset:256
	v_fma_f32 v5, -v6, v9, v8
	v_fma_f32 v4, -v10, v4, v5
	ds_write_b32 v2, v4 offset:1284
.LBB46_18:
	s_or_b64 exec, exec, s[4:5]
	v_cmp_gt_u32_e64 s[0:1], 4, v0
	s_waitcnt lgkmcnt(0)
	s_barrier
	s_and_saveexec_b64 s[4:5], s[0:1]
	s_cbranch_execz .LBB46_20
; %bb.19:
	v_lshlrev_b32_e32 v2, 8, v0
	v_add_u32_e32 v6, 0x890, v2
	v_add_u32_e32 v8, 0x400, v2
	ds_read2_b32 v[4:5], v2 offset1:32
	ds_read2_b32 v[6:7], v6 offset1:255
	ds_read2_b32 v[8:9], v8 offset0:33 offset1:65
	v_add_u32_e32 v10, 0x1090, v2
	ds_read2_b32 v[10:11], v10 offset1:255
	s_waitcnt lgkmcnt(1)
	v_fma_f32 v5, -v7, v9, v5
	s_waitcnt lgkmcnt(0)
	v_fma_f32 v5, -v11, v4, v5
	ds_write_b32 v2, v5 offset:128
	v_fma_f32 v5, -v6, v9, v8
	v_fma_f32 v4, -v10, v4, v5
	ds_write_b32 v2, v4 offset:1156
.LBB46_20:
	s_or_b64 exec, exec, s[4:5]
	v_cmp_gt_u32_e64 s[0:1], 8, v0
	s_waitcnt lgkmcnt(0)
	s_barrier
	s_and_saveexec_b64 s[4:5], s[0:1]
	s_cbranch_execz .LBB46_22
; %bb.21:
	v_lshlrev_b32_e32 v2, 7, v0
	v_add_u32_e32 v6, 0x850, v2
	v_add_u32_e32 v8, 0x400, v2
	ds_read2_b32 v[4:5], v2 offset1:16
	ds_read2_b32 v[6:7], v6 offset1:255
	ds_read2_b32 v[8:9], v8 offset0:17 offset1:33
	v_add_u32_e32 v10, 0x1050, v2
	ds_read2_b32 v[10:11], v10 offset1:255
	s_waitcnt lgkmcnt(1)
	v_fma_f32 v5, -v7, v9, v5
	s_waitcnt lgkmcnt(0)
	v_fma_f32 v5, -v11, v4, v5
	ds_write_b32 v2, v5 offset:64
	v_fma_f32 v5, -v6, v9, v8
	v_fma_f32 v4, -v10, v4, v5
	ds_write_b32 v2, v4 offset:1092
.LBB46_22:
	;; [unrolled: 24-line block ×5, first 2 shown]
	s_or_b64 exec, exec, s[4:5]
	s_movk_i32 s0, 0x80
	v_cmp_gt_u32_e64 s[0:1], s0, v0
	s_waitcnt lgkmcnt(0)
	s_barrier
	s_and_saveexec_b64 s[4:5], s[0:1]
	s_cbranch_execz .LBB46_30
; %bb.29:
	v_lshlrev_b32_e32 v0, 3, v0
	v_add_u32_e32 v2, 0x814, v0
	ds_read2_b64 v[4:7], v0 offset1:129
	ds_read2_b32 v[8:9], v2 offset1:255
	v_add_u32_e32 v2, 0x1014, v0
	ds_read2_b32 v[10:11], v2 offset1:255
	s_waitcnt lgkmcnt(1)
	v_fma_f32 v2, -v9, v7, v5
	v_fma_f32 v5, -v8, v7, v6
	s_waitcnt lgkmcnt(0)
	v_fma_f32 v2, -v11, v4, v2
	ds_write_b32 v0, v2 offset:4
	v_fma_f32 v2, -v10, v4, v5
	ds_write_b32 v0, v2 offset:1032
.LBB46_30:
	s_or_b64 exec, exec, s[4:5]
	s_waitcnt lgkmcnt(0)
	s_barrier
	s_and_saveexec_b64 s[0:1], vcc
	s_cbranch_execz .LBB46_32
; %bb.31:
	v_add_u32_e32 v0, 4, v3
	ds_read2st64_b32 v[3:4], v0 offset1:4
	v_ashrrev_i32_e32 v2, 31, v1
	v_lshlrev_b64 v[5:6], 2, v[1:2]
	v_mov_b32_e32 v2, s3
	v_mad_u64_u32 v[0:1], s[0:1], s12, 15, v[1:2]
	v_add_co_u32_e32 v1, vcc, s2, v5
	v_addc_co_u32_e32 v2, vcc, v2, v6, vcc
	s_waitcnt lgkmcnt(0)
	global_store_dword v[1:2], v4, off
	v_mov_b32_e32 v1, 0
	v_lshlrev_b64 v[0:1], 2, v[0:1]
	v_mov_b32_e32 v2, s3
	v_add_co_u32_e32 v0, vcc, s2, v0
	v_addc_co_u32_e32 v1, vcc, v2, v1, vcc
	global_store_dword v[0:1], v3, off
.LBB46_32:
	s_endpgm
	.section	.rodata,"a",@progbits
	.p2align	6, 0x0
	.amdhsa_kernel _ZN9rocsparseL33gtsv_solve_spike_propagate_kernelILj256ELj16EfEEviiiPT1_PKS1_S4_S4_
		.amdhsa_group_segment_fixed_size 6160
		.amdhsa_private_segment_fixed_size 0
		.amdhsa_kernarg_size 304
		.amdhsa_user_sgpr_count 6
		.amdhsa_user_sgpr_private_segment_buffer 1
		.amdhsa_user_sgpr_dispatch_ptr 0
		.amdhsa_user_sgpr_queue_ptr 0
		.amdhsa_user_sgpr_kernarg_segment_ptr 1
		.amdhsa_user_sgpr_dispatch_id 0
		.amdhsa_user_sgpr_flat_scratch_init 0
		.amdhsa_user_sgpr_private_segment_size 0
		.amdhsa_uses_dynamic_stack 0
		.amdhsa_system_sgpr_private_segment_wavefront_offset 0
		.amdhsa_system_sgpr_workgroup_id_x 1
		.amdhsa_system_sgpr_workgroup_id_y 1
		.amdhsa_system_sgpr_workgroup_id_z 0
		.amdhsa_system_sgpr_workgroup_info 0
		.amdhsa_system_vgpr_workitem_id 0
		.amdhsa_next_free_vgpr 12
		.amdhsa_next_free_sgpr 16
		.amdhsa_reserve_vcc 1
		.amdhsa_reserve_flat_scratch 0
		.amdhsa_float_round_mode_32 0
		.amdhsa_float_round_mode_16_64 0
		.amdhsa_float_denorm_mode_32 3
		.amdhsa_float_denorm_mode_16_64 3
		.amdhsa_dx10_clamp 1
		.amdhsa_ieee_mode 1
		.amdhsa_fp16_overflow 0
		.amdhsa_exception_fp_ieee_invalid_op 0
		.amdhsa_exception_fp_denorm_src 0
		.amdhsa_exception_fp_ieee_div_zero 0
		.amdhsa_exception_fp_ieee_overflow 0
		.amdhsa_exception_fp_ieee_underflow 0
		.amdhsa_exception_fp_ieee_inexact 0
		.amdhsa_exception_int_div_zero 0
	.end_amdhsa_kernel
	.section	.text._ZN9rocsparseL33gtsv_solve_spike_propagate_kernelILj256ELj16EfEEviiiPT1_PKS1_S4_S4_,"axG",@progbits,_ZN9rocsparseL33gtsv_solve_spike_propagate_kernelILj256ELj16EfEEviiiPT1_PKS1_S4_S4_,comdat
.Lfunc_end46:
	.size	_ZN9rocsparseL33gtsv_solve_spike_propagate_kernelILj256ELj16EfEEviiiPT1_PKS1_S4_S4_, .Lfunc_end46-_ZN9rocsparseL33gtsv_solve_spike_propagate_kernelILj256ELj16EfEEviiiPT1_PKS1_S4_S4_
                                        ; -- End function
	.set _ZN9rocsparseL33gtsv_solve_spike_propagate_kernelILj256ELj16EfEEviiiPT1_PKS1_S4_S4_.num_vgpr, 12
	.set _ZN9rocsparseL33gtsv_solve_spike_propagate_kernelILj256ELj16EfEEviiiPT1_PKS1_S4_S4_.num_agpr, 0
	.set _ZN9rocsparseL33gtsv_solve_spike_propagate_kernelILj256ELj16EfEEviiiPT1_PKS1_S4_S4_.numbered_sgpr, 16
	.set _ZN9rocsparseL33gtsv_solve_spike_propagate_kernelILj256ELj16EfEEviiiPT1_PKS1_S4_S4_.num_named_barrier, 0
	.set _ZN9rocsparseL33gtsv_solve_spike_propagate_kernelILj256ELj16EfEEviiiPT1_PKS1_S4_S4_.private_seg_size, 0
	.set _ZN9rocsparseL33gtsv_solve_spike_propagate_kernelILj256ELj16EfEEviiiPT1_PKS1_S4_S4_.uses_vcc, 1
	.set _ZN9rocsparseL33gtsv_solve_spike_propagate_kernelILj256ELj16EfEEviiiPT1_PKS1_S4_S4_.uses_flat_scratch, 0
	.set _ZN9rocsparseL33gtsv_solve_spike_propagate_kernelILj256ELj16EfEEviiiPT1_PKS1_S4_S4_.has_dyn_sized_stack, 0
	.set _ZN9rocsparseL33gtsv_solve_spike_propagate_kernelILj256ELj16EfEEviiiPT1_PKS1_S4_S4_.has_recursion, 0
	.set _ZN9rocsparseL33gtsv_solve_spike_propagate_kernelILj256ELj16EfEEviiiPT1_PKS1_S4_S4_.has_indirect_call, 0
	.section	.AMDGPU.csdata,"",@progbits
; Kernel info:
; codeLenInByte = 1984
; TotalNumSgprs: 20
; NumVgprs: 12
; ScratchSize: 0
; MemoryBound: 0
; FloatMode: 240
; IeeeMode: 1
; LDSByteSize: 6160 bytes/workgroup (compile time only)
; SGPRBlocks: 2
; VGPRBlocks: 2
; NumSGPRsForWavesPerEU: 20
; NumVGPRsForWavesPerEU: 12
; Occupancy: 10
; WaveLimiterHint : 0
; COMPUTE_PGM_RSRC2:SCRATCH_EN: 0
; COMPUTE_PGM_RSRC2:USER_SGPR: 6
; COMPUTE_PGM_RSRC2:TRAP_HANDLER: 0
; COMPUTE_PGM_RSRC2:TGID_X_EN: 1
; COMPUTE_PGM_RSRC2:TGID_Y_EN: 1
; COMPUTE_PGM_RSRC2:TGID_Z_EN: 0
; COMPUTE_PGM_RSRC2:TIDIG_COMP_CNT: 0
	.section	.text._ZN9rocsparseL39gtsv_spike_backward_substitution_kernelILj256ELj16EfEEviiiPT1_PKS1_S4_,"axG",@progbits,_ZN9rocsparseL39gtsv_spike_backward_substitution_kernelILj256ELj16EfEEviiiPT1_PKS1_S4_,comdat
	.globl	_ZN9rocsparseL39gtsv_spike_backward_substitution_kernelILj256ELj16EfEEviiiPT1_PKS1_S4_ ; -- Begin function _ZN9rocsparseL39gtsv_spike_backward_substitution_kernelILj256ELj16EfEEviiiPT1_PKS1_S4_
	.p2align	8
	.type	_ZN9rocsparseL39gtsv_spike_backward_substitution_kernelILj256ELj16EfEEviiiPT1_PKS1_S4_,@function
_ZN9rocsparseL39gtsv_spike_backward_substitution_kernelILj256ELj16EfEEviiiPT1_PKS1_S4_: ; @_ZN9rocsparseL39gtsv_spike_backward_substitution_kernelILj256ELj16EfEEviiiPT1_PKS1_S4_
; %bb.0:
	s_load_dword s11, s[4:5], 0x0
	v_lshl_or_b32 v3, s6, 8, v0
	s_waitcnt lgkmcnt(0)
	s_lshr_b32 s6, s11, 4
	v_cmp_gt_i32_e32 vcc, s6, v3
	s_and_saveexec_b64 s[0:1], vcc
	s_cbranch_execz .LBB47_6
; %bb.1:
	s_load_dwordx2 s[8:9], s[4:5], 0x10
	v_cmp_lt_i32_e32 vcc, 0, v3
	v_mov_b32_e32 v0, 0
	s_mul_i32 s10, s11, s7
	s_and_saveexec_b64 s[0:1], vcc
	s_cbranch_execz .LBB47_3
; %bb.2:
	s_mul_i32 s2, s6, 15
	s_mul_i32 s3, s11, s7
	s_add_i32 s2, s2, s3
	v_add3_u32 v0, v3, s2, -1
	v_mov_b32_e32 v1, 0
	v_lshlrev_b64 v[0:1], 2, v[0:1]
	s_waitcnt lgkmcnt(0)
	v_mov_b32_e32 v2, s9
	v_add_co_u32_e32 v0, vcc, s8, v0
	v_addc_co_u32_e32 v1, vcc, v2, v1, vcc
	global_load_dword v0, v[0:1], off
.LBB47_3:
	s_or_b64 exec, exec, s[0:1]
	s_load_dwordx4 s[0:3], s[4:5], 0x18
	v_add_u32_e32 v1, 16, v3
	v_cmp_le_u32_e32 vcc, s11, v1
	s_and_saveexec_b64 s[4:5], vcc
	s_xor_b64 s[4:5], exec, s[4:5]
	s_or_saveexec_b64 s[4:5], s[4:5]
	v_mov_b32_e32 v1, 0
	v_mov_b32_e32 v2, s10
	s_xor_b64 exec, exec, s[4:5]
	s_cbranch_execz .LBB47_5
; %bb.4:
	s_ashr_i32 s7, s10, 31
	v_ashrrev_i32_e32 v2, 31, v3
	v_mov_b32_e32 v4, s7
	v_add_co_u32_e32 v1, vcc, s10, v3
	v_addc_co_u32_e32 v2, vcc, v2, v4, vcc
	v_lshlrev_b64 v[1:2], 2, v[1:2]
	s_waitcnt lgkmcnt(0)
	v_mov_b32_e32 v4, s9
	v_add_co_u32_e32 v1, vcc, s8, v1
	v_addc_co_u32_e32 v2, vcc, v4, v2, vcc
	global_load_dword v1, v[1:2], off offset:4
	v_mov_b32_e32 v2, s10
.LBB47_5:
	s_or_b64 exec, exec, s[4:5]
	v_add_u32_e32 v3, s6, v3
	v_add_u32_e32 v4, v3, v2
	v_ashrrev_i32_e32 v5, 31, v4
	v_lshlrev_b64 v[4:5], 2, v[4:5]
	s_waitcnt lgkmcnt(0)
	v_mov_b32_e32 v7, s9
	v_add_co_u32_e32 v6, vcc, s8, v4
	v_ashrrev_i32_e32 v4, 31, v3
	v_addc_co_u32_e32 v7, vcc, v7, v5, vcc
	v_lshlrev_b64 v[4:5], 2, v[3:4]
	v_mov_b32_e32 v9, s1
	v_add_co_u32_e32 v8, vcc, s0, v4
	v_addc_co_u32_e32 v9, vcc, v9, v5, vcc
	global_load_dword v13, v[8:9], off
	v_mov_b32_e32 v8, s3
	v_add_co_u32_e32 v4, vcc, s2, v4
	global_load_dword v12, v[6:7], off
	v_addc_co_u32_e32 v5, vcc, v8, v5, vcc
	global_load_dword v14, v[4:5], off
	v_add_u32_e32 v3, s6, v3
	v_ashrrev_i32_e32 v4, 31, v3
	v_lshlrev_b64 v[4:5], 2, v[3:4]
	v_mov_b32_e32 v11, s1
	v_add_u32_e32 v8, v3, v2
	v_add_co_u32_e32 v10, vcc, s0, v4
	v_ashrrev_i32_e32 v9, 31, v8
	v_addc_co_u32_e32 v11, vcc, v11, v5, vcc
	v_mov_b32_e32 v16, s3
	v_lshlrev_b64 v[8:9], 2, v[8:9]
	v_add_co_u32_e32 v4, vcc, s2, v4
	v_addc_co_u32_e32 v5, vcc, v16, v5, vcc
	v_mov_b32_e32 v15, s9
	v_add_co_u32_e32 v8, vcc, s8, v8
	v_addc_co_u32_e32 v9, vcc, v15, v9, vcc
	global_load_dword v15, v[10:11], off
	v_add_u32_e32 v3, s6, v3
	v_mov_b32_e32 v18, s3
	v_mov_b32_e32 v17, s9
	s_waitcnt vmcnt(2)
	v_fma_f32 v10, -v0, v13, v12
	s_waitcnt vmcnt(1)
	v_fma_f32 v10, -v1, v14, v10
	global_store_dword v[6:7], v10, off
	global_load_dword v12, v[8:9], off
	global_load_dword v13, v[4:5], off
	v_ashrrev_i32_e32 v4, 31, v3
	v_add_u32_e32 v5, v3, v2
	v_lshlrev_b64 v[10:11], 2, v[3:4]
	v_ashrrev_i32_e32 v6, 31, v5
	v_mov_b32_e32 v7, s1
	v_lshlrev_b64 v[4:5], 2, v[5:6]
	v_add_co_u32_e32 v6, vcc, s0, v10
	v_addc_co_u32_e32 v7, vcc, v7, v11, vcc
	v_add_co_u32_e32 v10, vcc, s2, v10
	v_addc_co_u32_e32 v11, vcc, v16, v11, vcc
	v_mov_b32_e32 v14, s9
	v_add_co_u32_e32 v4, vcc, s8, v4
	v_addc_co_u32_e32 v5, vcc, v14, v5, vcc
	global_load_dword v14, v[6:7], off
	s_waitcnt vmcnt(2)
	v_fma_f32 v6, -v0, v15, v12
	s_waitcnt vmcnt(1)
	v_fma_f32 v6, -v1, v13, v6
	global_store_dword v[8:9], v6, off
	global_load_dword v15, v[4:5], off
	global_load_dword v16, v[10:11], off
	v_add_u32_e32 v6, s6, v3
	v_ashrrev_i32_e32 v7, 31, v6
	v_lshlrev_b64 v[10:11], 2, v[6:7]
	v_mov_b32_e32 v13, s1
	v_add_u32_e32 v8, v6, v2
	v_add_co_u32_e32 v12, vcc, s0, v10
	v_ashrrev_i32_e32 v9, 31, v8
	v_addc_co_u32_e32 v13, vcc, v13, v11, vcc
	v_lshlrev_b64 v[7:8], 2, v[8:9]
	v_add_co_u32_e32 v9, vcc, s2, v10
	v_addc_co_u32_e32 v10, vcc, v18, v11, vcc
	v_add_co_u32_e32 v7, vcc, s8, v7
	v_addc_co_u32_e32 v8, vcc, v17, v8, vcc
	global_load_dword v13, v[12:13], off
	v_mov_b32_e32 v12, s1
	v_mov_b32_e32 v17, s3
	s_waitcnt vmcnt(2)
	v_fma_f32 v3, -v0, v14, v15
	s_waitcnt vmcnt(1)
	v_fma_f32 v3, -v1, v16, v3
	global_store_dword v[4:5], v3, off
	global_load_dword v14, v[7:8], off
	global_load_dword v15, v[9:10], off
	v_add_u32_e32 v3, s6, v6
	v_ashrrev_i32_e32 v4, 31, v3
	v_lshlrev_b64 v[9:10], 2, v[3:4]
	v_add_u32_e32 v5, v3, v2
	v_add_co_u32_e32 v11, vcc, s0, v9
	v_ashrrev_i32_e32 v6, 31, v5
	v_addc_co_u32_e32 v12, vcc, v12, v10, vcc
	v_lshlrev_b64 v[4:5], 2, v[5:6]
	v_add_co_u32_e32 v9, vcc, s2, v9
	v_addc_co_u32_e32 v10, vcc, v17, v10, vcc
	v_mov_b32_e32 v16, s9
	v_add_co_u32_e32 v4, vcc, s8, v4
	v_addc_co_u32_e32 v5, vcc, v16, v5, vcc
	global_load_dword v16, v[11:12], off
	v_mov_b32_e32 v17, s9
	s_waitcnt vmcnt(2)
	v_fma_f32 v6, -v0, v13, v14
	s_waitcnt vmcnt(1)
	v_fma_f32 v6, -v1, v15, v6
	global_store_dword v[7:8], v6, off
	global_load_dword v14, v[4:5], off
	global_load_dword v15, v[9:10], off
	v_add_u32_e32 v6, s6, v3
	v_ashrrev_i32_e32 v7, 31, v6
	v_lshlrev_b64 v[10:11], 2, v[6:7]
	v_mov_b32_e32 v13, s1
	v_add_u32_e32 v8, v6, v2
	v_add_co_u32_e32 v12, vcc, s0, v10
	v_ashrrev_i32_e32 v9, 31, v8
	v_addc_co_u32_e32 v13, vcc, v13, v11, vcc
	v_lshlrev_b64 v[7:8], 2, v[8:9]
	v_add_co_u32_e32 v9, vcc, s2, v10
	v_addc_co_u32_e32 v10, vcc, v18, v11, vcc
	v_add_co_u32_e32 v7, vcc, s8, v7
	v_addc_co_u32_e32 v8, vcc, v17, v8, vcc
	global_load_dword v13, v[12:13], off
	v_mov_b32_e32 v12, s1
	v_mov_b32_e32 v17, s3
	s_waitcnt vmcnt(2)
	v_fma_f32 v3, -v0, v16, v14
	s_waitcnt vmcnt(1)
	v_fma_f32 v3, -v1, v15, v3
	global_store_dword v[4:5], v3, off
	global_load_dword v14, v[7:8], off
	global_load_dword v15, v[9:10], off
	v_add_u32_e32 v3, s6, v6
	v_ashrrev_i32_e32 v4, 31, v3
	v_lshlrev_b64 v[9:10], 2, v[3:4]
	v_add_u32_e32 v5, v3, v2
	v_add_co_u32_e32 v11, vcc, s0, v9
	v_ashrrev_i32_e32 v6, 31, v5
	v_addc_co_u32_e32 v12, vcc, v12, v10, vcc
	v_lshlrev_b64 v[4:5], 2, v[5:6]
	v_add_co_u32_e32 v9, vcc, s2, v9
	v_addc_co_u32_e32 v10, vcc, v17, v10, vcc
	v_mov_b32_e32 v16, s9
	v_add_co_u32_e32 v4, vcc, s8, v4
	v_addc_co_u32_e32 v5, vcc, v16, v5, vcc
	global_load_dword v16, v[11:12], off
	v_mov_b32_e32 v17, s9
	;; [unrolled: 45-line block ×4, first 2 shown]
	s_waitcnt vmcnt(2)
	v_fma_f32 v6, -v0, v13, v14
	s_waitcnt vmcnt(1)
	v_fma_f32 v6, -v1, v15, v6
	global_store_dword v[7:8], v6, off
	global_load_dword v14, v[4:5], off
	global_load_dword v15, v[9:10], off
	v_add_u32_e32 v6, s6, v3
	v_ashrrev_i32_e32 v7, 31, v6
	v_lshlrev_b64 v[10:11], 2, v[6:7]
	v_mov_b32_e32 v13, s1
	v_add_u32_e32 v8, v6, v2
	v_add_co_u32_e32 v12, vcc, s0, v10
	v_ashrrev_i32_e32 v9, 31, v8
	v_addc_co_u32_e32 v13, vcc, v13, v11, vcc
	v_lshlrev_b64 v[7:8], 2, v[8:9]
	v_add_co_u32_e32 v9, vcc, s2, v10
	v_addc_co_u32_e32 v10, vcc, v18, v11, vcc
	v_add_co_u32_e32 v7, vcc, s8, v7
	v_addc_co_u32_e32 v8, vcc, v17, v8, vcc
	global_load_dword v13, v[12:13], off
	v_mov_b32_e32 v12, s1
	v_mov_b32_e32 v17, s3
	s_waitcnt vmcnt(2)
	v_fma_f32 v3, -v0, v16, v14
	s_waitcnt vmcnt(1)
	v_fma_f32 v3, -v1, v15, v3
	global_store_dword v[4:5], v3, off
	global_load_dword v14, v[7:8], off
	global_load_dword v15, v[9:10], off
	v_add_u32_e32 v3, s6, v6
	v_ashrrev_i32_e32 v4, 31, v3
	v_lshlrev_b64 v[9:10], 2, v[3:4]
	v_add_u32_e32 v5, v3, v2
	v_add_co_u32_e32 v11, vcc, s0, v9
	v_ashrrev_i32_e32 v6, 31, v5
	v_addc_co_u32_e32 v12, vcc, v12, v10, vcc
	v_lshlrev_b64 v[4:5], 2, v[5:6]
	v_add_co_u32_e32 v9, vcc, s2, v9
	v_addc_co_u32_e32 v10, vcc, v17, v10, vcc
	v_mov_b32_e32 v16, s9
	v_add_co_u32_e32 v4, vcc, s8, v4
	v_addc_co_u32_e32 v5, vcc, v16, v5, vcc
	global_load_dword v11, v[11:12], off
	s_waitcnt vmcnt(2)
	v_fma_f32 v6, -v0, v13, v14
	s_waitcnt vmcnt(1)
	v_fma_f32 v6, -v1, v15, v6
	global_store_dword v[7:8], v6, off
	global_load_dword v12, v[4:5], off
	global_load_dword v13, v[9:10], off
	v_add_u32_e32 v6, s6, v3
	v_ashrrev_i32_e32 v7, 31, v6
	v_add_u32_e32 v2, v6, v2
	v_lshlrev_b64 v[6:7], 2, v[6:7]
	v_ashrrev_i32_e32 v3, 31, v2
	v_mov_b32_e32 v9, s1
	v_lshlrev_b64 v[2:3], 2, v[2:3]
	v_add_co_u32_e32 v8, vcc, s0, v6
	v_addc_co_u32_e32 v9, vcc, v9, v7, vcc
	v_mov_b32_e32 v10, s9
	v_add_co_u32_e32 v2, vcc, s8, v2
	global_load_dword v8, v[8:9], off
	v_addc_co_u32_e32 v3, vcc, v10, v3, vcc
	v_mov_b32_e32 v14, s3
	s_waitcnt vmcnt(2)
	v_fma_f32 v9, -v0, v11, v12
	s_waitcnt vmcnt(1)
	v_fma_f32 v9, -v1, v13, v9
	global_store_dword v[4:5], v9, off
	v_add_co_u32_e32 v4, vcc, s2, v6
	global_load_dword v9, v[2:3], off
	v_addc_co_u32_e32 v5, vcc, v14, v7, vcc
	global_load_dword v4, v[4:5], off
	s_waitcnt vmcnt(1)
	v_fma_f32 v0, -v0, v8, v9
	s_waitcnt vmcnt(0)
	v_fma_f32 v0, -v1, v4, v0
	global_store_dword v[2:3], v0, off
.LBB47_6:
	s_endpgm
	.section	.rodata,"a",@progbits
	.p2align	6, 0x0
	.amdhsa_kernel _ZN9rocsparseL39gtsv_spike_backward_substitution_kernelILj256ELj16EfEEviiiPT1_PKS1_S4_
		.amdhsa_group_segment_fixed_size 0
		.amdhsa_private_segment_fixed_size 0
		.amdhsa_kernarg_size 40
		.amdhsa_user_sgpr_count 6
		.amdhsa_user_sgpr_private_segment_buffer 1
		.amdhsa_user_sgpr_dispatch_ptr 0
		.amdhsa_user_sgpr_queue_ptr 0
		.amdhsa_user_sgpr_kernarg_segment_ptr 1
		.amdhsa_user_sgpr_dispatch_id 0
		.amdhsa_user_sgpr_flat_scratch_init 0
		.amdhsa_user_sgpr_private_segment_size 0
		.amdhsa_uses_dynamic_stack 0
		.amdhsa_system_sgpr_private_segment_wavefront_offset 0
		.amdhsa_system_sgpr_workgroup_id_x 1
		.amdhsa_system_sgpr_workgroup_id_y 1
		.amdhsa_system_sgpr_workgroup_id_z 0
		.amdhsa_system_sgpr_workgroup_info 0
		.amdhsa_system_vgpr_workitem_id 0
		.amdhsa_next_free_vgpr 19
		.amdhsa_next_free_sgpr 12
		.amdhsa_reserve_vcc 1
		.amdhsa_reserve_flat_scratch 0
		.amdhsa_float_round_mode_32 0
		.amdhsa_float_round_mode_16_64 0
		.amdhsa_float_denorm_mode_32 3
		.amdhsa_float_denorm_mode_16_64 3
		.amdhsa_dx10_clamp 1
		.amdhsa_ieee_mode 1
		.amdhsa_fp16_overflow 0
		.amdhsa_exception_fp_ieee_invalid_op 0
		.amdhsa_exception_fp_denorm_src 0
		.amdhsa_exception_fp_ieee_div_zero 0
		.amdhsa_exception_fp_ieee_overflow 0
		.amdhsa_exception_fp_ieee_underflow 0
		.amdhsa_exception_fp_ieee_inexact 0
		.amdhsa_exception_int_div_zero 0
	.end_amdhsa_kernel
	.section	.text._ZN9rocsparseL39gtsv_spike_backward_substitution_kernelILj256ELj16EfEEviiiPT1_PKS1_S4_,"axG",@progbits,_ZN9rocsparseL39gtsv_spike_backward_substitution_kernelILj256ELj16EfEEviiiPT1_PKS1_S4_,comdat
.Lfunc_end47:
	.size	_ZN9rocsparseL39gtsv_spike_backward_substitution_kernelILj256ELj16EfEEviiiPT1_PKS1_S4_, .Lfunc_end47-_ZN9rocsparseL39gtsv_spike_backward_substitution_kernelILj256ELj16EfEEviiiPT1_PKS1_S4_
                                        ; -- End function
	.set _ZN9rocsparseL39gtsv_spike_backward_substitution_kernelILj256ELj16EfEEviiiPT1_PKS1_S4_.num_vgpr, 19
	.set _ZN9rocsparseL39gtsv_spike_backward_substitution_kernelILj256ELj16EfEEviiiPT1_PKS1_S4_.num_agpr, 0
	.set _ZN9rocsparseL39gtsv_spike_backward_substitution_kernelILj256ELj16EfEEviiiPT1_PKS1_S4_.numbered_sgpr, 12
	.set _ZN9rocsparseL39gtsv_spike_backward_substitution_kernelILj256ELj16EfEEviiiPT1_PKS1_S4_.num_named_barrier, 0
	.set _ZN9rocsparseL39gtsv_spike_backward_substitution_kernelILj256ELj16EfEEviiiPT1_PKS1_S4_.private_seg_size, 0
	.set _ZN9rocsparseL39gtsv_spike_backward_substitution_kernelILj256ELj16EfEEviiiPT1_PKS1_S4_.uses_vcc, 1
	.set _ZN9rocsparseL39gtsv_spike_backward_substitution_kernelILj256ELj16EfEEviiiPT1_PKS1_S4_.uses_flat_scratch, 0
	.set _ZN9rocsparseL39gtsv_spike_backward_substitution_kernelILj256ELj16EfEEviiiPT1_PKS1_S4_.has_dyn_sized_stack, 0
	.set _ZN9rocsparseL39gtsv_spike_backward_substitution_kernelILj256ELj16EfEEviiiPT1_PKS1_S4_.has_recursion, 0
	.set _ZN9rocsparseL39gtsv_spike_backward_substitution_kernelILj256ELj16EfEEviiiPT1_PKS1_S4_.has_indirect_call, 0
	.section	.AMDGPU.csdata,"",@progbits
; Kernel info:
; codeLenInByte = 1952
; TotalNumSgprs: 16
; NumVgprs: 19
; ScratchSize: 0
; MemoryBound: 0
; FloatMode: 240
; IeeeMode: 1
; LDSByteSize: 0 bytes/workgroup (compile time only)
; SGPRBlocks: 1
; VGPRBlocks: 4
; NumSGPRsForWavesPerEU: 16
; NumVGPRsForWavesPerEU: 19
; Occupancy: 10
; WaveLimiterHint : 0
; COMPUTE_PGM_RSRC2:SCRATCH_EN: 0
; COMPUTE_PGM_RSRC2:USER_SGPR: 6
; COMPUTE_PGM_RSRC2:TRAP_HANDLER: 0
; COMPUTE_PGM_RSRC2:TGID_X_EN: 1
; COMPUTE_PGM_RSRC2:TGID_Y_EN: 1
; COMPUTE_PGM_RSRC2:TGID_Z_EN: 0
; COMPUTE_PGM_RSRC2:TIDIG_COMP_CNT: 0
	.section	.text._ZN9rocsparseL32gtsv_transpose_back_array_kernelILj256ELj16EfEEviiiPKT1_PS1_,"axG",@progbits,_ZN9rocsparseL32gtsv_transpose_back_array_kernelILj256ELj16EfEEviiiPKT1_PS1_,comdat
	.globl	_ZN9rocsparseL32gtsv_transpose_back_array_kernelILj256ELj16EfEEviiiPKT1_PS1_ ; -- Begin function _ZN9rocsparseL32gtsv_transpose_back_array_kernelILj256ELj16EfEEviiiPKT1_PS1_
	.p2align	8
	.type	_ZN9rocsparseL32gtsv_transpose_back_array_kernelILj256ELj16EfEEviiiPKT1_PS1_,@function
_ZN9rocsparseL32gtsv_transpose_back_array_kernelILj256ELj16EfEEviiiPKT1_PS1_: ; @_ZN9rocsparseL32gtsv_transpose_back_array_kernelILj256ELj16EfEEviiiPKT1_PS1_
; %bb.0:
	s_load_dwordx4 s[0:3], s[4:5], 0x0
	v_lshl_or_b32 v0, s6, 8, v0
	v_lshlrev_b32_e32 v3, 4, v0
	s_waitcnt lgkmcnt(0)
	v_cvt_f32_u32_e32 v1, s1
	s_sub_i32 s3, 0, s1
	v_rcp_iflag_f32_e32 v1, v1
	v_mul_f32_e32 v1, 0x4f7ffffe, v1
	v_cvt_u32_f32_e32 v1, v1
	v_mul_lo_u32 v2, s3, v1
	v_mul_hi_u32 v2, v1, v2
	v_add_u32_e32 v1, v1, v2
	v_mul_hi_u32 v1, v3, v1
	v_mul_lo_u32 v2, v1, s1
	v_add_u32_e32 v4, 1, v1
	v_sub_u32_e32 v2, v3, v2
	v_cmp_le_u32_e32 vcc, s1, v2
	v_cndmask_b32_e32 v1, v1, v4, vcc
	v_subrev_u32_e32 v4, s1, v2
	v_cndmask_b32_e32 v2, v2, v4, vcc
	v_add_u32_e32 v4, 1, v1
	v_cmp_le_u32_e32 vcc, s1, v2
	v_cndmask_b32_e32 v1, v1, v4, vcc
	v_mul_lo_u32 v2, v1, s1
	v_sub_u32_e32 v2, v3, v2
	v_add_u32_e32 v1, v1, v2
	v_cmp_gt_i32_e32 vcc, s0, v1
	s_and_saveexec_b64 s[8:9], vcc
	s_cbranch_execz .LBB48_2
; %bb.1:
	s_load_dwordx4 s[8:11], s[4:5], 0x10
	s_mul_i32 s0, s1, s7
	v_add_u32_e32 v2, s0, v0
	v_ashrrev_i32_e32 v3, 31, v2
	v_lshlrev_b64 v[2:3], 2, v[2:3]
	s_waitcnt lgkmcnt(0)
	v_mov_b32_e32 v0, s9
	v_add_co_u32_e32 v2, vcc, s8, v2
	v_addc_co_u32_e32 v3, vcc, v0, v3, vcc
	global_load_dword v2, v[2:3], off
	s_mul_i32 s0, s2, s7
	v_add_u32_e32 v0, s0, v1
	v_ashrrev_i32_e32 v1, 31, v0
	v_lshlrev_b64 v[0:1], 2, v[0:1]
	v_mov_b32_e32 v3, s11
	v_add_co_u32_e32 v0, vcc, s10, v0
	v_addc_co_u32_e32 v1, vcc, v3, v1, vcc
	s_waitcnt vmcnt(0)
	global_store_dword v[0:1], v2, off
.LBB48_2:
	s_endpgm
	.section	.rodata,"a",@progbits
	.p2align	6, 0x0
	.amdhsa_kernel _ZN9rocsparseL32gtsv_transpose_back_array_kernelILj256ELj16EfEEviiiPKT1_PS1_
		.amdhsa_group_segment_fixed_size 0
		.amdhsa_private_segment_fixed_size 0
		.amdhsa_kernarg_size 32
		.amdhsa_user_sgpr_count 6
		.amdhsa_user_sgpr_private_segment_buffer 1
		.amdhsa_user_sgpr_dispatch_ptr 0
		.amdhsa_user_sgpr_queue_ptr 0
		.amdhsa_user_sgpr_kernarg_segment_ptr 1
		.amdhsa_user_sgpr_dispatch_id 0
		.amdhsa_user_sgpr_flat_scratch_init 0
		.amdhsa_user_sgpr_private_segment_size 0
		.amdhsa_uses_dynamic_stack 0
		.amdhsa_system_sgpr_private_segment_wavefront_offset 0
		.amdhsa_system_sgpr_workgroup_id_x 1
		.amdhsa_system_sgpr_workgroup_id_y 1
		.amdhsa_system_sgpr_workgroup_id_z 0
		.amdhsa_system_sgpr_workgroup_info 0
		.amdhsa_system_vgpr_workitem_id 0
		.amdhsa_next_free_vgpr 5
		.amdhsa_next_free_sgpr 12
		.amdhsa_reserve_vcc 1
		.amdhsa_reserve_flat_scratch 0
		.amdhsa_float_round_mode_32 0
		.amdhsa_float_round_mode_16_64 0
		.amdhsa_float_denorm_mode_32 3
		.amdhsa_float_denorm_mode_16_64 3
		.amdhsa_dx10_clamp 1
		.amdhsa_ieee_mode 1
		.amdhsa_fp16_overflow 0
		.amdhsa_exception_fp_ieee_invalid_op 0
		.amdhsa_exception_fp_denorm_src 0
		.amdhsa_exception_fp_ieee_div_zero 0
		.amdhsa_exception_fp_ieee_overflow 0
		.amdhsa_exception_fp_ieee_underflow 0
		.amdhsa_exception_fp_ieee_inexact 0
		.amdhsa_exception_int_div_zero 0
	.end_amdhsa_kernel
	.section	.text._ZN9rocsparseL32gtsv_transpose_back_array_kernelILj256ELj16EfEEviiiPKT1_PS1_,"axG",@progbits,_ZN9rocsparseL32gtsv_transpose_back_array_kernelILj256ELj16EfEEviiiPKT1_PS1_,comdat
.Lfunc_end48:
	.size	_ZN9rocsparseL32gtsv_transpose_back_array_kernelILj256ELj16EfEEviiiPKT1_PS1_, .Lfunc_end48-_ZN9rocsparseL32gtsv_transpose_back_array_kernelILj256ELj16EfEEviiiPKT1_PS1_
                                        ; -- End function
	.set _ZN9rocsparseL32gtsv_transpose_back_array_kernelILj256ELj16EfEEviiiPKT1_PS1_.num_vgpr, 5
	.set _ZN9rocsparseL32gtsv_transpose_back_array_kernelILj256ELj16EfEEviiiPKT1_PS1_.num_agpr, 0
	.set _ZN9rocsparseL32gtsv_transpose_back_array_kernelILj256ELj16EfEEviiiPKT1_PS1_.numbered_sgpr, 12
	.set _ZN9rocsparseL32gtsv_transpose_back_array_kernelILj256ELj16EfEEviiiPKT1_PS1_.num_named_barrier, 0
	.set _ZN9rocsparseL32gtsv_transpose_back_array_kernelILj256ELj16EfEEviiiPKT1_PS1_.private_seg_size, 0
	.set _ZN9rocsparseL32gtsv_transpose_back_array_kernelILj256ELj16EfEEviiiPKT1_PS1_.uses_vcc, 1
	.set _ZN9rocsparseL32gtsv_transpose_back_array_kernelILj256ELj16EfEEviiiPKT1_PS1_.uses_flat_scratch, 0
	.set _ZN9rocsparseL32gtsv_transpose_back_array_kernelILj256ELj16EfEEviiiPKT1_PS1_.has_dyn_sized_stack, 0
	.set _ZN9rocsparseL32gtsv_transpose_back_array_kernelILj256ELj16EfEEviiiPKT1_PS1_.has_recursion, 0
	.set _ZN9rocsparseL32gtsv_transpose_back_array_kernelILj256ELj16EfEEviiiPKT1_PS1_.has_indirect_call, 0
	.section	.AMDGPU.csdata,"",@progbits
; Kernel info:
; codeLenInByte = 248
; TotalNumSgprs: 16
; NumVgprs: 5
; ScratchSize: 0
; MemoryBound: 0
; FloatMode: 240
; IeeeMode: 1
; LDSByteSize: 0 bytes/workgroup (compile time only)
; SGPRBlocks: 1
; VGPRBlocks: 1
; NumSGPRsForWavesPerEU: 16
; NumVGPRsForWavesPerEU: 5
; Occupancy: 10
; WaveLimiterHint : 0
; COMPUTE_PGM_RSRC2:SCRATCH_EN: 0
; COMPUTE_PGM_RSRC2:USER_SGPR: 6
; COMPUTE_PGM_RSRC2:TRAP_HANDLER: 0
; COMPUTE_PGM_RSRC2:TGID_X_EN: 1
; COMPUTE_PGM_RSRC2:TGID_Y_EN: 1
; COMPUTE_PGM_RSRC2:TGID_Z_EN: 0
; COMPUTE_PGM_RSRC2:TIDIG_COMP_CNT: 0
	.section	.text._ZN9rocsparseL42gtsv_transpose_and_pad_array_shared_kernelILj256ELj32EfEEviiiPKT1_PS1_S1_,"axG",@progbits,_ZN9rocsparseL42gtsv_transpose_and_pad_array_shared_kernelILj256ELj32EfEEviiiPKT1_PS1_S1_,comdat
	.globl	_ZN9rocsparseL42gtsv_transpose_and_pad_array_shared_kernelILj256ELj32EfEEviiiPKT1_PS1_S1_ ; -- Begin function _ZN9rocsparseL42gtsv_transpose_and_pad_array_shared_kernelILj256ELj32EfEEviiiPKT1_PS1_S1_
	.p2align	8
	.type	_ZN9rocsparseL42gtsv_transpose_and_pad_array_shared_kernelILj256ELj32EfEEviiiPKT1_PS1_S1_,@function
_ZN9rocsparseL42gtsv_transpose_and_pad_array_shared_kernelILj256ELj32EfEEviiiPKT1_PS1_S1_: ; @_ZN9rocsparseL42gtsv_transpose_and_pad_array_shared_kernelILj256ELj32EfEEviiiPKT1_PS1_S1_
; %bb.0:
	s_load_dwordx4 s[0:3], s[4:5], 0x0
	s_waitcnt lgkmcnt(0)
	s_load_dword s3, s[4:5], 0x20
	v_lshl_or_b32 v2, s6, 8, v0
	v_cmp_gt_i32_e32 vcc, s0, v2
	s_waitcnt lgkmcnt(0)
	v_mov_b32_e32 v1, s3
	s_and_saveexec_b64 s[8:9], vcc
	s_cbranch_execz .LBB49_2
; %bb.1:
	s_load_dwordx2 s[10:11], s[4:5], 0x10
	s_mul_i32 s0, s2, s7
	v_add_u32_e32 v1, s0, v2
	v_ashrrev_i32_e32 v2, 31, v1
	v_lshlrev_b64 v[1:2], 2, v[1:2]
	s_waitcnt lgkmcnt(0)
	v_mov_b32_e32 v3, s11
	v_add_co_u32_e32 v1, vcc, s10, v1
	v_addc_co_u32_e32 v2, vcc, v3, v2, vcc
	global_load_dword v1, v[1:2], off
.LBB49_2:
	s_or_b64 exec, exec, s[8:9]
	v_lshrrev_b32_e32 v2, 3, v0
	v_and_b32_e32 v3, 7, v0
	v_lshlrev_b32_e32 v0, 2, v0
	s_waitcnt vmcnt(0)
	ds_write_b32 v0, v1
	s_lshr_b32 s0, s1, 5
	v_lshl_or_b32 v0, s6, 3, v3
	v_mad_u64_u32 v[0:1], s[2:3], s0, v2, v[0:1]
	s_waitcnt lgkmcnt(0)
	s_barrier
	v_cmp_gt_i32_e32 vcc, s1, v0
	s_and_saveexec_b64 s[2:3], vcc
	s_cbranch_execz .LBB49_4
; %bb.3:
	s_load_dwordx2 s[2:3], s[4:5], 0x18
	v_lshlrev_b32_e32 v1, 2, v2
	s_mul_i32 s0, s1, s7
	v_lshl_or_b32 v1, v3, 7, v1
	v_add_u32_e32 v0, s0, v0
	ds_read_b32 v2, v1
	v_ashrrev_i32_e32 v1, 31, v0
	v_lshlrev_b64 v[0:1], 2, v[0:1]
	s_waitcnt lgkmcnt(0)
	v_mov_b32_e32 v3, s3
	v_add_co_u32_e32 v0, vcc, s2, v0
	v_addc_co_u32_e32 v1, vcc, v3, v1, vcc
	global_store_dword v[0:1], v2, off
.LBB49_4:
	s_endpgm
	.section	.rodata,"a",@progbits
	.p2align	6, 0x0
	.amdhsa_kernel _ZN9rocsparseL42gtsv_transpose_and_pad_array_shared_kernelILj256ELj32EfEEviiiPKT1_PS1_S1_
		.amdhsa_group_segment_fixed_size 1024
		.amdhsa_private_segment_fixed_size 0
		.amdhsa_kernarg_size 36
		.amdhsa_user_sgpr_count 6
		.amdhsa_user_sgpr_private_segment_buffer 1
		.amdhsa_user_sgpr_dispatch_ptr 0
		.amdhsa_user_sgpr_queue_ptr 0
		.amdhsa_user_sgpr_kernarg_segment_ptr 1
		.amdhsa_user_sgpr_dispatch_id 0
		.amdhsa_user_sgpr_flat_scratch_init 0
		.amdhsa_user_sgpr_private_segment_size 0
		.amdhsa_uses_dynamic_stack 0
		.amdhsa_system_sgpr_private_segment_wavefront_offset 0
		.amdhsa_system_sgpr_workgroup_id_x 1
		.amdhsa_system_sgpr_workgroup_id_y 1
		.amdhsa_system_sgpr_workgroup_id_z 0
		.amdhsa_system_sgpr_workgroup_info 0
		.amdhsa_system_vgpr_workitem_id 0
		.amdhsa_next_free_vgpr 4
		.amdhsa_next_free_sgpr 12
		.amdhsa_reserve_vcc 1
		.amdhsa_reserve_flat_scratch 0
		.amdhsa_float_round_mode_32 0
		.amdhsa_float_round_mode_16_64 0
		.amdhsa_float_denorm_mode_32 3
		.amdhsa_float_denorm_mode_16_64 3
		.amdhsa_dx10_clamp 1
		.amdhsa_ieee_mode 1
		.amdhsa_fp16_overflow 0
		.amdhsa_exception_fp_ieee_invalid_op 0
		.amdhsa_exception_fp_denorm_src 0
		.amdhsa_exception_fp_ieee_div_zero 0
		.amdhsa_exception_fp_ieee_overflow 0
		.amdhsa_exception_fp_ieee_underflow 0
		.amdhsa_exception_fp_ieee_inexact 0
		.amdhsa_exception_int_div_zero 0
	.end_amdhsa_kernel
	.section	.text._ZN9rocsparseL42gtsv_transpose_and_pad_array_shared_kernelILj256ELj32EfEEviiiPKT1_PS1_S1_,"axG",@progbits,_ZN9rocsparseL42gtsv_transpose_and_pad_array_shared_kernelILj256ELj32EfEEviiiPKT1_PS1_S1_,comdat
.Lfunc_end49:
	.size	_ZN9rocsparseL42gtsv_transpose_and_pad_array_shared_kernelILj256ELj32EfEEviiiPKT1_PS1_S1_, .Lfunc_end49-_ZN9rocsparseL42gtsv_transpose_and_pad_array_shared_kernelILj256ELj32EfEEviiiPKT1_PS1_S1_
                                        ; -- End function
	.set _ZN9rocsparseL42gtsv_transpose_and_pad_array_shared_kernelILj256ELj32EfEEviiiPKT1_PS1_S1_.num_vgpr, 4
	.set _ZN9rocsparseL42gtsv_transpose_and_pad_array_shared_kernelILj256ELj32EfEEviiiPKT1_PS1_S1_.num_agpr, 0
	.set _ZN9rocsparseL42gtsv_transpose_and_pad_array_shared_kernelILj256ELj32EfEEviiiPKT1_PS1_S1_.numbered_sgpr, 12
	.set _ZN9rocsparseL42gtsv_transpose_and_pad_array_shared_kernelILj256ELj32EfEEviiiPKT1_PS1_S1_.num_named_barrier, 0
	.set _ZN9rocsparseL42gtsv_transpose_and_pad_array_shared_kernelILj256ELj32EfEEviiiPKT1_PS1_S1_.private_seg_size, 0
	.set _ZN9rocsparseL42gtsv_transpose_and_pad_array_shared_kernelILj256ELj32EfEEviiiPKT1_PS1_S1_.uses_vcc, 1
	.set _ZN9rocsparseL42gtsv_transpose_and_pad_array_shared_kernelILj256ELj32EfEEviiiPKT1_PS1_S1_.uses_flat_scratch, 0
	.set _ZN9rocsparseL42gtsv_transpose_and_pad_array_shared_kernelILj256ELj32EfEEviiiPKT1_PS1_S1_.has_dyn_sized_stack, 0
	.set _ZN9rocsparseL42gtsv_transpose_and_pad_array_shared_kernelILj256ELj32EfEEviiiPKT1_PS1_S1_.has_recursion, 0
	.set _ZN9rocsparseL42gtsv_transpose_and_pad_array_shared_kernelILj256ELj32EfEEviiiPKT1_PS1_S1_.has_indirect_call, 0
	.section	.AMDGPU.csdata,"",@progbits
; Kernel info:
; codeLenInByte = 244
; TotalNumSgprs: 16
; NumVgprs: 4
; ScratchSize: 0
; MemoryBound: 0
; FloatMode: 240
; IeeeMode: 1
; LDSByteSize: 1024 bytes/workgroup (compile time only)
; SGPRBlocks: 1
; VGPRBlocks: 0
; NumSGPRsForWavesPerEU: 16
; NumVGPRsForWavesPerEU: 4
; Occupancy: 10
; WaveLimiterHint : 0
; COMPUTE_PGM_RSRC2:SCRATCH_EN: 0
; COMPUTE_PGM_RSRC2:USER_SGPR: 6
; COMPUTE_PGM_RSRC2:TRAP_HANDLER: 0
; COMPUTE_PGM_RSRC2:TGID_X_EN: 1
; COMPUTE_PGM_RSRC2:TGID_Y_EN: 1
; COMPUTE_PGM_RSRC2:TGID_Z_EN: 0
; COMPUTE_PGM_RSRC2:TIDIG_COMP_CNT: 0
	.section	.text._ZN9rocsparseL18gtsv_LBM_wv_kernelILj256ELj32EfEEviiiPKT1_S3_S3_PS1_S4_S4_Pi,"axG",@progbits,_ZN9rocsparseL18gtsv_LBM_wv_kernelILj256ELj32EfEEviiiPKT1_S3_S3_PS1_S4_S4_Pi,comdat
	.globl	_ZN9rocsparseL18gtsv_LBM_wv_kernelILj256ELj32EfEEviiiPKT1_S3_S3_PS1_S4_S4_Pi ; -- Begin function _ZN9rocsparseL18gtsv_LBM_wv_kernelILj256ELj32EfEEviiiPKT1_S3_S3_PS1_S4_S4_Pi
	.p2align	8
	.type	_ZN9rocsparseL18gtsv_LBM_wv_kernelILj256ELj32EfEEviiiPKT1_S3_S3_PS1_S4_S4_Pi,@function
_ZN9rocsparseL18gtsv_LBM_wv_kernelILj256ELj32EfEEviiiPKT1_S3_S3_PS1_S4_S4_Pi: ; @_ZN9rocsparseL18gtsv_LBM_wv_kernelILj256ELj32EfEEviiiPKT1_S3_S3_PS1_S4_S4_Pi
; %bb.0:
	s_load_dword s27, s[4:5], 0x0
	v_lshl_or_b32 v0, s6, 8, v0
	s_waitcnt lgkmcnt(0)
	s_lshr_b32 s26, s27, 5
	v_cmp_gt_i32_e32 vcc, s26, v0
	s_and_saveexec_b64 s[0:1], vcc
	s_cbranch_execz .LBB50_30
; %bb.1:
	s_load_dwordx2 s[16:17], s[4:5], 0x10
	s_load_dwordx8 s[8:15], s[4:5], 0x20
	v_ashrrev_i32_e32 v1, 31, v0
	v_lshlrev_b64 v[4:5], 2, v[0:1]
	s_mul_i32 s28, s26, 31
	s_waitcnt lgkmcnt(0)
	v_mov_b32_e32 v2, s17
	v_add_co_u32_e32 v1, vcc, s16, v4
	v_addc_co_u32_e32 v2, vcc, v2, v5, vcc
	global_load_dword v8, v[1:2], off
	v_add_u32_e32 v2, s28, v0
	v_mov_b32_e32 v3, 0
	v_lshlrev_b64 v[6:7], 2, v[2:3]
	v_mov_b32_e32 v2, s9
	v_add_co_u32_e32 v1, vcc, s8, v6
	v_addc_co_u32_e32 v2, vcc, v2, v7, vcc
	global_load_dword v9, v[1:2], off
	s_load_dwordx2 s[6:7], s[4:5], 0x40
	v_mov_b32_e32 v2, s11
	v_add_co_u32_e32 v1, vcc, s10, v4
	v_addc_co_u32_e32 v2, vcc, v2, v5, vcc
	s_cmp_lt_i32 s27, 1
	v_add_u32_e32 v10, s26, v0
	v_mov_b32_e32 v11, s13
	v_add_co_u32_e32 v6, vcc, s12, v6
	v_addc_co_u32_e32 v7, vcc, v11, v7, vcc
	s_waitcnt vmcnt(1)
	global_store_dword v[1:2], v8, off
	s_waitcnt vmcnt(1)
	global_store_dword v[6:7], v9, off
	s_cbranch_scc1 .LBB50_23
; %bb.2:
	s_load_dwordx2 s[18:19], s[4:5], 0x18
	s_mov_b32 s22, 0x372fe950
	s_mul_i32 s29, s26, 30
	s_lshl_b32 s30, s26, 1
	v_add_u32_e32 v11, s26, v10
	s_waitcnt lgkmcnt(0)
	v_mov_b32_e32 v6, s19
	v_add_co_u32_e32 v3, vcc, s18, v4
	v_addc_co_u32_e32 v4, vcc, v6, v5, vcc
	global_load_dword v15, v[3:4], off
	v_mov_b32_e32 v3, 0
	s_mov_b64 s[20:21], 0
	s_mov_b32 s23, 0x3fe3c6ef
	v_mov_b32_e32 v12, 2
	v_mov_b32_e32 v13, 1
	;; [unrolled: 1-line block ×3, first 2 shown]
	s_branch .LBB50_5
.LBB50_3:                               ;   in Loop: Header=BB50_5 Depth=1
	s_or_b64 exec, exec, s[4:5]
	v_fma_f32 v15, -v5, v7, v17
	v_mov_b32_e32 v4, s26
.LBB50_4:                               ;   in Loop: Header=BB50_5 Depth=1
	s_or_b64 exec, exec, s[2:3]
	v_add_u32_e32 v3, v4, v3
	v_cmp_le_i32_e32 vcc, s27, v3
	s_or_b64 s[20:21], vcc, s[20:21]
	s_andn2_b64 exec, exec, s[20:21]
	s_cbranch_execz .LBB50_22
.LBB50_5:                               ; =>This Inner Loop Header: Depth=1
	v_add_u32_e32 v4, v3, v0
	v_ashrrev_i32_e32 v5, 31, v4
	v_lshlrev_b64 v[5:6], 2, v[4:5]
	v_cmp_gt_u32_e64 s[0:1], s28, v3
	v_add_co_u32_e32 v7, vcc, s8, v5
	v_addc_co_u32_e32 v8, vcc, v14, v6, vcc
	global_load_dword v18, v[7:8], off
	v_mov_b32_e32 v16, 0
	s_and_saveexec_b64 s[2:3], s[0:1]
	s_cbranch_execz .LBB50_7
; %bb.6:                                ;   in Loop: Header=BB50_5 Depth=1
	v_add_u32_e32 v7, v10, v3
	v_ashrrev_i32_e32 v8, 31, v7
	v_lshlrev_b64 v[7:8], 2, v[7:8]
	v_mov_b32_e32 v4, s17
	v_add_co_u32_e32 v7, vcc, s16, v7
	v_addc_co_u32_e32 v8, vcc, v4, v8, vcc
	global_load_dword v16, v[7:8], off
.LBB50_7:                               ;   in Loop: Header=BB50_5 Depth=1
	s_or_b64 exec, exec, s[2:3]
	v_mov_b32_e32 v19, 0
	v_mov_b32_e32 v17, 0
	s_and_saveexec_b64 s[2:3], s[0:1]
	s_cbranch_execz .LBB50_9
; %bb.8:                                ;   in Loop: Header=BB50_5 Depth=1
	v_add_u32_e32 v7, v10, v3
	v_ashrrev_i32_e32 v8, 31, v7
	v_lshlrev_b64 v[7:8], 2, v[7:8]
	v_mov_b32_e32 v4, s19
	v_add_co_u32_e32 v7, vcc, s18, v7
	v_addc_co_u32_e32 v8, vcc, v4, v8, vcc
	global_load_dword v17, v[7:8], off
.LBB50_9:                               ;   in Loop: Header=BB50_5 Depth=1
	s_or_b64 exec, exec, s[2:3]
	s_and_saveexec_b64 s[2:3], s[0:1]
	s_cbranch_execz .LBB50_11
; %bb.10:                               ;   in Loop: Header=BB50_5 Depth=1
	v_add_u32_e32 v7, v10, v3
	v_ashrrev_i32_e32 v8, 31, v7
	v_lshlrev_b64 v[7:8], 2, v[7:8]
	v_mov_b32_e32 v4, s9
	v_add_co_u32_e32 v7, vcc, s8, v7
	v_addc_co_u32_e32 v8, vcc, v4, v8, vcc
	global_load_dword v19, v[7:8], off
.LBB50_11:                              ;   in Loop: Header=BB50_5 Depth=1
	s_or_b64 exec, exec, s[2:3]
	v_cmp_gt_u32_e64 s[2:3], s29, v3
	v_mov_b32_e32 v20, 0
	s_and_saveexec_b64 s[4:5], s[2:3]
	s_cbranch_execz .LBB50_13
; %bb.12:                               ;   in Loop: Header=BB50_5 Depth=1
	v_add_u32_e32 v7, v11, v3
	v_ashrrev_i32_e32 v8, 31, v7
	v_lshlrev_b64 v[7:8], 2, v[7:8]
	v_mov_b32_e32 v4, s17
	v_add_co_u32_e32 v7, vcc, s16, v7
	v_addc_co_u32_e32 v8, vcc, v4, v8, vcc
	global_load_dword v20, v[7:8], off
.LBB50_13:                              ;   in Loop: Header=BB50_5 Depth=1
	s_or_b64 exec, exec, s[4:5]
	s_waitcnt vmcnt(0)
	v_cmp_gt_f32_e32 vcc, 0, v16
	v_cndmask_b32_e64 v4, v16, -v16, vcc
	v_cmp_gt_f32_e32 vcc, 0, v20
	v_cndmask_b32_e64 v7, v20, -v20, vcc
	v_cmp_lt_f32_e32 vcc, v4, v7
	v_cndmask_b32_e32 v4, v4, v7, vcc
	v_cmp_gt_f32_e32 vcc, 0, v17
	v_cndmask_b32_e64 v7, v17, -v17, vcc
	v_cmp_lt_f32_e32 vcc, v7, v4
	v_cndmask_b32_e32 v4, v7, v4, vcc
	;; [unrolled: 4-line block ×4, first 2 shown]
	v_cmp_gt_f32_e32 vcc, 0, v15
	v_cvt_f64_f32_e32 v[7:8], v4
	v_cndmask_b32_e64 v4, v15, -v15, vcc
	v_cvt_f64_f32_e32 v[21:22], v4
	v_cmp_ne_u32_e64 s[4:5], s28, v3
	v_mul_f64 v[8:9], v[21:22], v[7:8]
	v_mul_f32_e32 v7, v18, v16
	v_cmp_gt_f32_e32 vcc, 0, v7
	v_cndmask_b32_e64 v4, v7, -v7, vcc
	v_cvt_f64_f32_e32 v[21:22], v4
	v_mul_f64 v[21:22], v[21:22], s[22:23]
	v_cmp_nge_f64_e32 vcc, v[8:9], v[21:22]
	s_and_b64 s[4:5], s[4:5], vcc
	s_and_saveexec_b64 s[24:25], s[4:5]
	s_xor_b64 s[4:5], exec, s[24:25]
	s_cbranch_execz .LBB50_19
; %bb.14:                               ;   in Loop: Header=BB50_5 Depth=1
	v_mov_b32_e32 v4, s13
	v_add_co_u32_e32 v25, vcc, s12, v5
	v_addc_co_u32_e32 v26, vcc, v4, v6, vcc
	v_mov_b32_e32 v4, s15
	v_add_co_u32_e32 v8, vcc, s14, v5
	v_addc_co_u32_e32 v9, vcc, v4, v6, vcc
	;; [unrolled: 3-line block ×3, first 2 shown]
	v_fma_f32 v4, v15, v17, -v7
	v_div_scale_f32 v5, s[24:25], v4, v4, 1.0
	v_rcp_f32_e32 v6, v5
	v_fma_f32 v7, -v5, v6, 1.0
	v_fmac_f32_e32 v6, v7, v6
	v_div_scale_f32 v7, vcc, 1.0, v4, 1.0
	v_mul_f32_e32 v21, v7, v6
	v_fma_f32 v22, -v5, v21, v7
	v_fmac_f32_e32 v21, v22, v6
	v_fma_f32 v5, -v5, v21, v7
	v_div_fmas_f32 v5, v5, v6, v21
	v_mov_b32_e32 v7, s11
	v_div_fixup_f32 v21, v5, v4, 1.0
	v_mul_f32_e64 v4, v19, -v18
	v_mul_f32_e32 v4, v21, v4
	global_store_dword v[8:9], v4, off
	v_ashrrev_i32_e32 v4, 31, v3
	v_lshlrev_b64 v[4:5], 2, v[3:4]
	v_add_co_u32_e32 v8, vcc, v1, v4
	v_add_u32_e32 v4, v10, v3
	v_addc_co_u32_e32 v9, vcc, v2, v5, vcc
	v_ashrrev_i32_e32 v5, 31, v4
	v_lshlrev_b64 v[4:5], 2, v[4:5]
	v_add_co_u32_e32 v6, vcc, s10, v4
	v_addc_co_u32_e32 v7, vcc, v7, v5, vcc
	global_load_dword v23, v[6:7], off
	global_load_dword v22, v[8:9], off
	s_waitcnt vmcnt(1)
	v_mul_f32_e32 v24, v18, v23
	s_waitcnt vmcnt(0)
	v_fma_f32 v24, v17, v22, -v24
	v_mul_f32_e32 v24, v21, v24
	global_store_dword v[8:9], v24, off
	v_mov_b32_e32 v9, s13
	v_add_co_u32_e32 v8, vcc, s12, v4
	v_addc_co_u32_e32 v9, vcc, v9, v5, vcc
	global_load_dword v24, v[8:9], off
	s_waitcnt vmcnt(0)
	v_mul_f32_e32 v29, v18, v24
	global_load_dword v18, v[25:26], off
	s_waitcnt vmcnt(0)
	v_fma_f32 v17, v17, v18, -v29
	v_mul_f32_e32 v17, v21, v17
	global_store_dword v[25:26], v17, off
	global_store_dword v[27:28], v12, off
	s_and_saveexec_b64 s[24:25], s[0:1]
	s_cbranch_execz .LBB50_16
; %bb.15:                               ;   in Loop: Header=BB50_5 Depth=1
	v_mul_f32_e32 v17, v16, v22
	v_fma_f32 v17, v15, v23, -v17
	v_mul_f32_e32 v17, v21, v17
	global_store_dword v[6:7], v17, off
	v_mul_f32_e32 v6, v16, v18
	v_fma_f32 v6, v15, v24, -v6
	v_mul_f32_e32 v6, v21, v6
	global_store_dword v[8:9], v6, off
	v_mul_f32_e32 v6, v15, v19
	v_mul_f32_e32 v8, v21, v6
	v_mov_b32_e32 v7, s15
	v_add_co_u32_e32 v6, vcc, s14, v4
	v_addc_co_u32_e32 v7, vcc, v7, v5, vcc
	global_store_dword v[6:7], v8, off
	v_mov_b32_e32 v6, s7
	v_add_co_u32_e32 v4, vcc, s6, v4
	v_addc_co_u32_e32 v5, vcc, v6, v5, vcc
	global_store_dword v[4:5], v12, off
.LBB50_16:                              ;   in Loop: Header=BB50_5 Depth=1
	s_or_b64 exec, exec, s[24:25]
	v_mov_b32_e32 v4, 0
	s_and_saveexec_b64 s[24:25], s[2:3]
	s_cbranch_execz .LBB50_18
; %bb.17:                               ;   in Loop: Header=BB50_5 Depth=1
	v_add_u32_e32 v4, v11, v3
	v_ashrrev_i32_e32 v5, 31, v4
	v_lshlrev_b64 v[4:5], 2, v[4:5]
	v_mov_b32_e32 v7, s11
	v_add_co_u32_e32 v6, vcc, s10, v4
	v_addc_co_u32_e32 v7, vcc, v7, v5, vcc
	v_mov_b32_e32 v9, s19
	v_add_co_u32_e32 v4, vcc, s18, v4
	v_addc_co_u32_e32 v5, vcc, v9, v5, vcc
	global_load_dword v8, v[6:7], off
	v_mul_f32_e32 v9, v15, v20
	global_load_dword v4, v[4:5], off
	v_mul_f32_e32 v5, v20, v16
	v_mul_f32_e32 v15, v21, v9
	;; [unrolled: 1-line block ×5, first 2 shown]
	v_fma_f32 v5, v5, v22, -v15
	s_waitcnt vmcnt(1)
	v_add_f32_e32 v5, v5, v8
	global_store_dword v[6:7], v5, off
	s_waitcnt vmcnt(1)
	v_fma_f32 v4, -v21, v9, v4
.LBB50_18:                              ;   in Loop: Header=BB50_5 Depth=1
	s_or_b64 exec, exec, s[24:25]
	v_mov_b32_e32 v15, v4
                                        ; implicit-def: $vgpr7
                                        ; implicit-def: $vgpr17
                                        ; implicit-def: $vgpr18
                                        ; implicit-def: $vgpr5_vgpr6
                                        ; implicit-def: $vgpr16
.LBB50_19:                              ;   in Loop: Header=BB50_5 Depth=1
	s_or_saveexec_b64 s[2:3], s[4:5]
	v_mov_b32_e32 v4, s30
	s_xor_b64 exec, exec, s[2:3]
	s_cbranch_execz .LBB50_4
; %bb.20:                               ;   in Loop: Header=BB50_5 Depth=1
	v_ashrrev_i32_e32 v4, 31, v3
	v_lshlrev_b64 v[8:9], 2, v[3:4]
	v_mov_b32_e32 v4, s13
	v_add_co_u32_e32 v19, vcc, s12, v5
	v_addc_co_u32_e32 v20, vcc, v4, v6, vcc
	v_add_co_u32_e32 v8, vcc, v1, v8
	global_load_dword v25, v[19:20], off
	v_addc_co_u32_e32 v9, vcc, v2, v9, vcc
	global_load_dword v4, v[8:9], off
	v_div_scale_f32 v21, s[4:5], v15, v15, 1.0
	v_div_scale_f32 v22, vcc, 1.0, v15, 1.0
	v_rcp_f32_e32 v23, v21
	v_fma_f32 v24, -v21, v23, 1.0
	v_fmac_f32_e32 v23, v24, v23
	v_mul_f32_e32 v24, v22, v23
	v_fma_f32 v26, -v21, v24, v22
	v_fmac_f32_e32 v24, v26, v23
	v_fma_f32 v21, -v21, v24, v22
	v_div_fmas_f32 v26, v21, v23, v24
	v_mov_b32_e32 v22, s15
	v_add_co_u32_e32 v21, vcc, s14, v5
	v_addc_co_u32_e32 v22, vcc, v22, v6, vcc
	v_mov_b32_e32 v24, s7
	v_add_co_u32_e32 v23, vcc, s6, v5
	v_addc_co_u32_e32 v24, vcc, v24, v6, vcc
	v_div_fixup_f32 v5, v26, v15, 1.0
	v_mul_f32_e32 v6, v5, v18
	global_store_dword v[21:22], v6, off
	s_waitcnt vmcnt(2)
	v_mul_f32_e32 v6, v5, v25
	global_store_dword v[19:20], v6, off
	s_waitcnt vmcnt(2)
	v_mul_f32_e32 v6, v5, v4
	global_store_dword v[8:9], v6, off
	global_store_dword v[23:24], v13, off
	s_and_saveexec_b64 s[4:5], s[0:1]
	s_cbranch_execz .LBB50_3
; %bb.21:                               ;   in Loop: Header=BB50_5 Depth=1
	v_add_u32_e32 v8, v10, v3
	v_ashrrev_i32_e32 v9, 31, v8
	v_lshlrev_b64 v[8:9], 2, v[8:9]
	v_mov_b32_e32 v6, s11
	v_add_co_u32_e32 v8, vcc, s10, v8
	v_addc_co_u32_e32 v9, vcc, v6, v9, vcc
	global_load_dword v6, v[8:9], off
	v_mul_f32_e32 v15, v16, v5
	s_waitcnt vmcnt(0)
	v_fma_f32 v4, -v15, v4, v6
	global_store_dword v[8:9], v4, off
	s_branch .LBB50_3
.LBB50_22:
	s_or_b64 exec, exec, s[20:21]
.LBB50_23:
	v_subrev_u32_e32 v5, s26, v3
	v_add_u32_e32 v3, v5, v0
	v_ashrrev_i32_e32 v4, 31, v3
	v_lshlrev_b64 v[3:4], 2, v[3:4]
	s_waitcnt lgkmcnt(0)
	v_mov_b32_e32 v6, s7
	v_add_co_u32_e32 v3, vcc, s6, v3
	v_addc_co_u32_e32 v4, vcc, v6, v4, vcc
	s_waitcnt vmcnt(0)
	buffer_wbinvl1_vol
	global_load_dword v3, v[3:4], off
	s_waitcnt vmcnt(0)
	v_mul_lo_u32 v3, v3, s26
	v_sub_u32_e32 v3, v5, v3
	v_cmp_lt_i32_e32 vcc, -1, v3
	s_and_b64 exec, exec, vcc
	s_cbranch_execz .LBB50_30
; %bb.24:
	v_subrev_u32_e32 v7, s26, v0
	s_lshl_b32 s4, s26, 1
	s_mov_b64 s[0:1], 0
	v_mov_b32_e32 v8, s7
	v_mov_b32_e32 v9, s15
	s_branch .LBB50_26
.LBB50_25:                              ;   in Loop: Header=BB50_26 Depth=1
	s_or_b64 exec, exec, s[2:3]
	v_sub_u32_e32 v3, v3, v4
	v_cmp_gt_i32_e32 vcc, 0, v3
	s_or_b64 s[0:1], vcc, s[0:1]
	s_andn2_b64 exec, exec, s[0:1]
	s_cbranch_execz .LBB50_30
.LBB50_26:                              ; =>This Inner Loop Header: Depth=1
	v_add_u32_e32 v4, v3, v0
	v_ashrrev_i32_e32 v5, 31, v4
	v_lshlrev_b64 v[5:6], 2, v[4:5]
	s_waitcnt vmcnt(0)
	v_add_co_u32_e32 v11, vcc, s6, v5
	v_addc_co_u32_e32 v12, vcc, v8, v6, vcc
	global_load_dword v4, v[11:12], off
	v_add_co_u32_e32 v11, vcc, s14, v5
	v_addc_co_u32_e32 v12, vcc, v9, v6, vcc
	global_load_dword v11, v[11:12], off
	s_waitcnt vmcnt(1)
	v_cmp_ne_u32_e32 vcc, 1, v4
	s_and_saveexec_b64 s[2:3], vcc
	s_xor_b64 s[2:3], exec, s[2:3]
	s_cbranch_execz .LBB50_28
; %bb.27:                               ;   in Loop: Header=BB50_26 Depth=1
	v_add_u32_e32 v12, v10, v3
	v_ashrrev_i32_e32 v13, 31, v12
	v_lshlrev_b64 v[12:13], 2, v[12:13]
	v_mov_b32_e32 v4, s11
	v_add_co_u32_e32 v14, vcc, s10, v12
	v_addc_co_u32_e32 v15, vcc, v4, v13, vcc
	v_ashrrev_i32_e32 v4, 31, v3
	v_lshlrev_b64 v[16:17], 2, v[3:4]
	v_mov_b32_e32 v4, s13
	v_add_co_u32_e32 v16, vcc, v1, v16
	v_addc_co_u32_e32 v17, vcc, v2, v17, vcc
	v_add_co_u32_e32 v12, vcc, s12, v12
	v_addc_co_u32_e32 v13, vcc, v4, v13, vcc
	global_load_dword v24, v[14:15], off
	global_load_dword v25, v[16:17], off
	v_mov_b32_e32 v18, s13
	v_add_co_u32_e32 v4, vcc, s12, v5
	v_addc_co_u32_e32 v5, vcc, v18, v6, vcc
	global_load_dword v6, v[12:13], off
	global_load_dword v26, v[4:5], off
	v_add_u32_e32 v18, v7, v3
	v_ashrrev_i32_e32 v19, 31, v18
	v_lshlrev_b64 v[18:19], 2, v[18:19]
	v_mov_b32_e32 v21, s11
	v_add_co_u32_e32 v20, vcc, s10, v18
	v_addc_co_u32_e32 v21, vcc, v21, v19, vcc
	v_mov_b32_e32 v23, s13
	v_add_co_u32_e32 v22, vcc, s12, v18
	v_addc_co_u32_e32 v23, vcc, v23, v19, vcc
	v_add_co_u32_e32 v18, vcc, s14, v18
	v_addc_co_u32_e32 v19, vcc, v9, v19, vcc
	global_load_dword v18, v[18:19], off
	s_waitcnt vmcnt(3)
	v_fma_f32 v19, -v11, v24, v25
	s_waitcnt vmcnt(1)
	v_fma_f32 v6, -v11, v6, v26
	global_store_dword v[16:17], v19, off
	global_store_dword v[4:5], v6, off
	global_load_dword v4, v[14:15], off
	s_nop 0
	global_load_dword v5, v[20:21], off
	global_load_dword v6, v[12:13], off
	;; [unrolled: 1-line block ×3, first 2 shown]
	s_waitcnt vmcnt(2)
	v_fma_f32 v4, -v18, v4, v5
	s_waitcnt vmcnt(0)
	v_fma_f32 v5, -v18, v6, v11
	global_store_dword v[20:21], v4, off
	global_store_dword v[22:23], v5, off
                                        ; implicit-def: $vgpr11
                                        ; implicit-def: $vgpr5_vgpr6
.LBB50_28:                              ;   in Loop: Header=BB50_26 Depth=1
	s_or_saveexec_b64 s[2:3], s[2:3]
	v_mov_b32_e32 v4, s4
	s_xor_b64 exec, exec, s[2:3]
	s_cbranch_execz .LBB50_25
; %bb.29:                               ;   in Loop: Header=BB50_26 Depth=1
	v_add_u32_e32 v12, v10, v3
	v_ashrrev_i32_e32 v13, 31, v12
	v_lshlrev_b64 v[12:13], 2, v[12:13]
	v_mov_b32_e32 v4, s11
	v_add_co_u32_e32 v14, vcc, s10, v12
	v_addc_co_u32_e32 v15, vcc, v4, v13, vcc
	v_ashrrev_i32_e32 v4, 31, v3
	v_lshlrev_b64 v[16:17], 2, v[3:4]
	v_mov_b32_e32 v4, s13
	v_add_co_u32_e32 v16, vcc, v1, v16
	v_addc_co_u32_e32 v17, vcc, v2, v17, vcc
	v_add_co_u32_e32 v12, vcc, s12, v12
	v_addc_co_u32_e32 v13, vcc, v4, v13, vcc
	global_load_dword v18, v[14:15], off
	global_load_dword v19, v[16:17], off
	v_mov_b32_e32 v14, s13
	v_add_co_u32_e32 v4, vcc, s12, v5
	v_addc_co_u32_e32 v5, vcc, v14, v6, vcc
	global_load_dword v6, v[12:13], off
	global_load_dword v14, v[4:5], off
	s_waitcnt vmcnt(2)
	v_fma_f32 v12, -v11, v18, v19
	s_waitcnt vmcnt(0)
	v_fma_f32 v6, -v11, v6, v14
	global_store_dword v[16:17], v12, off
	global_store_dword v[4:5], v6, off
	v_mov_b32_e32 v4, s26
	s_branch .LBB50_25
.LBB50_30:
	s_endpgm
	.section	.rodata,"a",@progbits
	.p2align	6, 0x0
	.amdhsa_kernel _ZN9rocsparseL18gtsv_LBM_wv_kernelILj256ELj32EfEEviiiPKT1_S3_S3_PS1_S4_S4_Pi
		.amdhsa_group_segment_fixed_size 0
		.amdhsa_private_segment_fixed_size 0
		.amdhsa_kernarg_size 72
		.amdhsa_user_sgpr_count 6
		.amdhsa_user_sgpr_private_segment_buffer 1
		.amdhsa_user_sgpr_dispatch_ptr 0
		.amdhsa_user_sgpr_queue_ptr 0
		.amdhsa_user_sgpr_kernarg_segment_ptr 1
		.amdhsa_user_sgpr_dispatch_id 0
		.amdhsa_user_sgpr_flat_scratch_init 0
		.amdhsa_user_sgpr_private_segment_size 0
		.amdhsa_uses_dynamic_stack 0
		.amdhsa_system_sgpr_private_segment_wavefront_offset 0
		.amdhsa_system_sgpr_workgroup_id_x 1
		.amdhsa_system_sgpr_workgroup_id_y 0
		.amdhsa_system_sgpr_workgroup_id_z 0
		.amdhsa_system_sgpr_workgroup_info 0
		.amdhsa_system_vgpr_workitem_id 0
		.amdhsa_next_free_vgpr 30
		.amdhsa_next_free_sgpr 31
		.amdhsa_reserve_vcc 1
		.amdhsa_reserve_flat_scratch 0
		.amdhsa_float_round_mode_32 0
		.amdhsa_float_round_mode_16_64 0
		.amdhsa_float_denorm_mode_32 3
		.amdhsa_float_denorm_mode_16_64 3
		.amdhsa_dx10_clamp 1
		.amdhsa_ieee_mode 1
		.amdhsa_fp16_overflow 0
		.amdhsa_exception_fp_ieee_invalid_op 0
		.amdhsa_exception_fp_denorm_src 0
		.amdhsa_exception_fp_ieee_div_zero 0
		.amdhsa_exception_fp_ieee_overflow 0
		.amdhsa_exception_fp_ieee_underflow 0
		.amdhsa_exception_fp_ieee_inexact 0
		.amdhsa_exception_int_div_zero 0
	.end_amdhsa_kernel
	.section	.text._ZN9rocsparseL18gtsv_LBM_wv_kernelILj256ELj32EfEEviiiPKT1_S3_S3_PS1_S4_S4_Pi,"axG",@progbits,_ZN9rocsparseL18gtsv_LBM_wv_kernelILj256ELj32EfEEviiiPKT1_S3_S3_PS1_S4_S4_Pi,comdat
.Lfunc_end50:
	.size	_ZN9rocsparseL18gtsv_LBM_wv_kernelILj256ELj32EfEEviiiPKT1_S3_S3_PS1_S4_S4_Pi, .Lfunc_end50-_ZN9rocsparseL18gtsv_LBM_wv_kernelILj256ELj32EfEEviiiPKT1_S3_S3_PS1_S4_S4_Pi
                                        ; -- End function
	.set _ZN9rocsparseL18gtsv_LBM_wv_kernelILj256ELj32EfEEviiiPKT1_S3_S3_PS1_S4_S4_Pi.num_vgpr, 30
	.set _ZN9rocsparseL18gtsv_LBM_wv_kernelILj256ELj32EfEEviiiPKT1_S3_S3_PS1_S4_S4_Pi.num_agpr, 0
	.set _ZN9rocsparseL18gtsv_LBM_wv_kernelILj256ELj32EfEEviiiPKT1_S3_S3_PS1_S4_S4_Pi.numbered_sgpr, 31
	.set _ZN9rocsparseL18gtsv_LBM_wv_kernelILj256ELj32EfEEviiiPKT1_S3_S3_PS1_S4_S4_Pi.num_named_barrier, 0
	.set _ZN9rocsparseL18gtsv_LBM_wv_kernelILj256ELj32EfEEviiiPKT1_S3_S3_PS1_S4_S4_Pi.private_seg_size, 0
	.set _ZN9rocsparseL18gtsv_LBM_wv_kernelILj256ELj32EfEEviiiPKT1_S3_S3_PS1_S4_S4_Pi.uses_vcc, 1
	.set _ZN9rocsparseL18gtsv_LBM_wv_kernelILj256ELj32EfEEviiiPKT1_S3_S3_PS1_S4_S4_Pi.uses_flat_scratch, 0
	.set _ZN9rocsparseL18gtsv_LBM_wv_kernelILj256ELj32EfEEviiiPKT1_S3_S3_PS1_S4_S4_Pi.has_dyn_sized_stack, 0
	.set _ZN9rocsparseL18gtsv_LBM_wv_kernelILj256ELj32EfEEviiiPKT1_S3_S3_PS1_S4_S4_Pi.has_recursion, 0
	.set _ZN9rocsparseL18gtsv_LBM_wv_kernelILj256ELj32EfEEviiiPKT1_S3_S3_PS1_S4_S4_Pi.has_indirect_call, 0
	.section	.AMDGPU.csdata,"",@progbits
; Kernel info:
; codeLenInByte = 2240
; TotalNumSgprs: 35
; NumVgprs: 30
; ScratchSize: 0
; MemoryBound: 0
; FloatMode: 240
; IeeeMode: 1
; LDSByteSize: 0 bytes/workgroup (compile time only)
; SGPRBlocks: 4
; VGPRBlocks: 7
; NumSGPRsForWavesPerEU: 35
; NumVGPRsForWavesPerEU: 30
; Occupancy: 8
; WaveLimiterHint : 0
; COMPUTE_PGM_RSRC2:SCRATCH_EN: 0
; COMPUTE_PGM_RSRC2:USER_SGPR: 6
; COMPUTE_PGM_RSRC2:TRAP_HANDLER: 0
; COMPUTE_PGM_RSRC2:TGID_X_EN: 1
; COMPUTE_PGM_RSRC2:TGID_Y_EN: 0
; COMPUTE_PGM_RSRC2:TGID_Z_EN: 0
; COMPUTE_PGM_RSRC2:TIDIG_COMP_CNT: 0
	.section	.text._ZN9rocsparseL19gtsv_LBM_rhs_kernelILj256ELj32ELj8EfEEviiiPKT2_S3_S3_PS1_S3_PKi,"axG",@progbits,_ZN9rocsparseL19gtsv_LBM_rhs_kernelILj256ELj32ELj8EfEEviiiPKT2_S3_S3_PS1_S3_PKi,comdat
	.globl	_ZN9rocsparseL19gtsv_LBM_rhs_kernelILj256ELj32ELj8EfEEviiiPKT2_S3_S3_PS1_S3_PKi ; -- Begin function _ZN9rocsparseL19gtsv_LBM_rhs_kernelILj256ELj32ELj8EfEEviiiPKT2_S3_S3_PS1_S3_PKi
	.p2align	8
	.type	_ZN9rocsparseL19gtsv_LBM_rhs_kernelILj256ELj32ELj8EfEEviiiPKT2_S3_S3_PS1_S3_PKi,@function
_ZN9rocsparseL19gtsv_LBM_rhs_kernelILj256ELj32ELj8EfEEviiiPKT2_S3_S3_PS1_S3_PKi: ; @_ZN9rocsparseL19gtsv_LBM_rhs_kernelILj256ELj32ELj8EfEEviiiPKT2_S3_S3_PS1_S3_PKi
; %bb.0:
	s_load_dword s23, s[4:5], 0x0
	v_lshl_or_b32 v0, s6, 8, v0
	s_waitcnt lgkmcnt(0)
	s_lshr_b32 s22, s23, 5
	v_cmp_gt_i32_e32 vcc, s22, v0
	s_and_saveexec_b64 s[0:1], vcc
	s_cbranch_execz .LBB51_29
; %bb.1:
	s_load_dwordx4 s[8:11], s[4:5], 0x28
	s_load_dwordx2 s[16:17], s[4:5], 0x38
	s_cmp_lt_i32 s23, 1
	v_add_u32_e32 v19, s22, v0
	s_mul_i32 s24, s7, s23
	s_cbranch_scc1 .LBB51_21
; %bb.2:
	s_load_dwordx4 s[12:15], s[4:5], 0x10
	s_load_dwordx2 s[6:7], s[4:5], 0x20
	v_ashrrev_i32_e32 v1, 31, v0
	v_lshlrev_b64 v[1:2], 2, v[0:1]
	s_lshl_b32 s28, s24, 3
	s_waitcnt lgkmcnt(0)
	v_mov_b32_e32 v3, s15
	v_add_co_u32_e32 v1, vcc, s14, v1
	v_addc_co_u32_e32 v2, vcc, v3, v2, vcc
	global_load_dword v24, v[1:2], off
	s_add_i32 s29, s28, s23
	s_add_i32 s30, s29, s23
	;; [unrolled: 1-line block ×6, first 2 shown]
	s_mul_i32 s25, s22, 31
	s_mul_i32 s26, s22, 30
	s_lshl_b32 s27, s22, 1
	v_add_u32_e32 v20, s22, v19
	s_add_i32 s36, s35, s23
	v_mov_b32_e32 v2, 0
	s_mov_b64 s[18:19], 0
	v_mov_b32_e32 v22, s7
	v_mov_b32_e32 v21, 0
	s_branch .LBB51_5
.LBB51_3:                               ;   in Loop: Header=BB51_5 Depth=1
	s_or_b64 exec, exec, s[4:5]
	v_fma_f32 v24, -v24, v29, v25
	v_mov_b32_e32 v1, s22
.LBB51_4:                               ;   in Loop: Header=BB51_5 Depth=1
	s_or_b64 exec, exec, s[2:3]
	v_add_u32_e32 v21, v1, v21
	v_cmp_le_i32_e32 vcc, s23, v21
	s_or_b64 s[18:19], vcc, s[18:19]
	s_andn2_b64 exec, exec, s[18:19]
	s_cbranch_execz .LBB51_20
.LBB51_5:                               ; =>This Inner Loop Header: Depth=1
	v_add_u32_e32 v15, v21, v0
	v_ashrrev_i32_e32 v16, 31, v15
	v_lshlrev_b64 v[3:4], 2, v[15:16]
	v_cmp_gt_u32_e64 s[0:1], s25, v21
	v_add_co_u32_e32 v5, vcc, s6, v3
	v_addc_co_u32_e32 v6, vcc, v22, v4, vcc
	global_load_dword v27, v[5:6], off
	v_mov_b32_e32 v23, 0
	s_and_saveexec_b64 s[2:3], s[0:1]
	s_cbranch_execz .LBB51_7
; %bb.6:                                ;   in Loop: Header=BB51_5 Depth=1
	v_add_u32_e32 v5, v19, v21
	v_ashrrev_i32_e32 v6, 31, v5
	v_lshlrev_b64 v[5:6], 2, v[5:6]
	v_mov_b32_e32 v1, s13
	v_add_co_u32_e32 v5, vcc, s12, v5
	v_addc_co_u32_e32 v6, vcc, v1, v6, vcc
	global_load_dword v23, v[5:6], off
.LBB51_7:                               ;   in Loop: Header=BB51_5 Depth=1
	s_or_b64 exec, exec, s[2:3]
	v_mov_b32_e32 v26, 0
	v_mov_b32_e32 v25, 0
	s_and_saveexec_b64 s[2:3], s[0:1]
	s_cbranch_execz .LBB51_9
; %bb.8:                                ;   in Loop: Header=BB51_5 Depth=1
	v_add_u32_e32 v5, v19, v21
	v_ashrrev_i32_e32 v6, 31, v5
	v_lshlrev_b64 v[5:6], 2, v[5:6]
	v_mov_b32_e32 v1, s15
	v_add_co_u32_e32 v5, vcc, s14, v5
	v_addc_co_u32_e32 v6, vcc, v1, v6, vcc
	global_load_dword v25, v[5:6], off
.LBB51_9:                               ;   in Loop: Header=BB51_5 Depth=1
	s_or_b64 exec, exec, s[2:3]
	s_and_saveexec_b64 s[2:3], s[0:1]
	s_cbranch_execz .LBB51_11
; %bb.10:                               ;   in Loop: Header=BB51_5 Depth=1
	v_add_u32_e32 v5, v19, v21
	v_ashrrev_i32_e32 v6, 31, v5
	v_lshlrev_b64 v[5:6], 2, v[5:6]
	v_mov_b32_e32 v1, s7
	v_add_co_u32_e32 v5, vcc, s6, v5
	v_addc_co_u32_e32 v6, vcc, v1, v6, vcc
	global_load_dword v26, v[5:6], off
.LBB51_11:                              ;   in Loop: Header=BB51_5 Depth=1
	s_or_b64 exec, exec, s[2:3]
	v_cmp_gt_u32_e64 s[2:3], s26, v21
	v_mov_b32_e32 v28, 0
	s_and_saveexec_b64 s[4:5], s[2:3]
	s_cbranch_execz .LBB51_13
; %bb.12:                               ;   in Loop: Header=BB51_5 Depth=1
	v_add_u32_e32 v5, v20, v21
	v_ashrrev_i32_e32 v6, 31, v5
	v_lshlrev_b64 v[5:6], 2, v[5:6]
	v_mov_b32_e32 v1, s13
	v_add_co_u32_e32 v5, vcc, s12, v5
	v_addc_co_u32_e32 v6, vcc, v1, v6, vcc
	global_load_dword v28, v[5:6], off
.LBB51_13:                              ;   in Loop: Header=BB51_5 Depth=1
	s_or_b64 exec, exec, s[4:5]
	v_mov_b32_e32 v1, s17
	v_add_co_u32_e32 v3, vcc, s16, v3
	v_addc_co_u32_e32 v4, vcc, v1, v4, vcc
	v_add_u32_e32 v1, s28, v15
	global_load_dword v29, v[3:4], off
	v_lshlrev_b64 v[3:4], 2, v[1:2]
	s_waitcnt vmcnt(2)
	v_mov_b32_e32 v30, s9
	v_add_co_u32_e32 v17, vcc, s8, v3
	v_add_u32_e32 v1, s29, v15
	v_addc_co_u32_e32 v18, vcc, v30, v4, vcc
	v_lshlrev_b64 v[3:4], 2, v[1:2]
	v_add_u32_e32 v1, s30, v15
	v_add_co_u32_e32 v7, vcc, s8, v3
	v_addc_co_u32_e32 v8, vcc, v30, v4, vcc
	v_lshlrev_b64 v[3:4], 2, v[1:2]
	v_add_u32_e32 v1, s31, v15
	v_add_co_u32_e32 v11, vcc, s8, v3
	;; [unrolled: 4-line block ×3, first 2 shown]
	v_lshlrev_b64 v[5:6], 2, v[1:2]
	v_addc_co_u32_e32 v4, vcc, v30, v4, vcc
	v_add_u32_e32 v1, s34, v15
	v_add_co_u32_e32 v5, vcc, s8, v5
	v_lshlrev_b64 v[9:10], 2, v[1:2]
	v_addc_co_u32_e32 v6, vcc, v30, v6, vcc
	v_add_u32_e32 v1, s35, v15
	v_add_co_u32_e32 v9, vcc, s8, v9
	;; [unrolled: 4-line block ×3, first 2 shown]
	v_lshlrev_b64 v[15:16], 2, v[1:2]
	v_addc_co_u32_e32 v14, vcc, v30, v14, vcc
	v_add_co_u32_e32 v15, vcc, s8, v15
	v_addc_co_u32_e32 v16, vcc, v30, v16, vcc
	global_load_dword v37, v[17:18], off
	global_load_dword v36, v[7:8], off
	;; [unrolled: 1-line block ×8, first 2 shown]
	v_cmp_ne_u32_e64 s[4:5], s25, v21
	s_waitcnt vmcnt(8)
	v_cmp_ne_u32_e32 vcc, 1, v29
	s_and_b64 s[4:5], s[4:5], vcc
	v_mul_f32_e32 v29, v27, v23
	s_and_saveexec_b64 s[20:21], s[4:5]
	s_xor_b64 s[4:5], exec, s[20:21]
	s_cbranch_execz .LBB51_17
; %bb.14:                               ;   in Loop: Header=BB51_5 Depth=1
	v_add_u32_e32 v54, v19, v21
	v_add_u32_e32 v1, s28, v54
	v_lshlrev_b64 v[38:39], 2, v[1:2]
	v_mov_b32_e32 v55, s9
	v_add_co_u32_e32 v40, vcc, s8, v38
	v_add_u32_e32 v1, s29, v54
	v_addc_co_u32_e32 v41, vcc, v55, v39, vcc
	v_lshlrev_b64 v[38:39], 2, v[1:2]
	v_add_u32_e32 v1, s30, v54
	v_add_co_u32_e32 v42, vcc, s8, v38
	v_addc_co_u32_e32 v43, vcc, v55, v39, vcc
	v_lshlrev_b64 v[38:39], 2, v[1:2]
	v_add_u32_e32 v1, s31, v54
	v_add_co_u32_e32 v44, vcc, s8, v38
	;; [unrolled: 4-line block ×6, first 2 shown]
	v_addc_co_u32_e32 v53, vcc, v55, v39, vcc
	v_lshlrev_b64 v[38:39], 2, v[1:2]
	v_fma_f32 v1, v24, v25, -v29
	v_div_scale_f32 v29, s[20:21], v1, v1, 1.0
	v_add_co_u32_e32 v54, vcc, s8, v38
	v_addc_co_u32_e32 v55, vcc, v55, v39, vcc
	v_rcp_f32_e32 v38, v29
	v_fma_f32 v39, -v29, v38, 1.0
	v_fmac_f32_e32 v38, v39, v38
	v_div_scale_f32 v39, vcc, 1.0, v1, 1.0
	v_mul_f32_e32 v56, v39, v38
	v_fma_f32 v57, -v29, v56, v39
	v_fmac_f32_e32 v56, v57, v38
	v_fma_f32 v29, -v29, v56, v39
	v_div_fmas_f32 v29, v29, v38, v56
	v_div_fixup_f32 v29, v29, v1, 1.0
	global_load_dword v1, v[40:41], off
	global_load_dword v39, v[42:43], off
	;; [unrolled: 1-line block ×8, first 2 shown]
	s_waitcnt vmcnt(15)
	v_mul_f32_e32 v37, v29, v37
	s_waitcnt vmcnt(13)
	v_mul_f32_e32 v35, v29, v35
	;; [unrolled: 2-line block ×3, first 2 shown]
	v_mul_f32_e32 v1, v27, v38
	v_fma_f32 v1, v25, v37, -v1
	global_store_dword v[17:18], v1, off
	v_mul_f32_e32 v18, v29, v36
	s_waitcnt vmcnt(7)
	v_mul_f32_e32 v36, v29, v39
	v_mul_f32_e32 v1, v27, v36
	v_fma_f32 v1, v25, v18, -v1
	s_waitcnt vmcnt(6)
	v_mul_f32_e32 v39, v29, v56
	global_store_dword v[7:8], v1, off
	v_mul_f32_e32 v1, v27, v39
	v_fma_f32 v1, v25, v35, -v1
	global_store_dword v[11:12], v1, off
	s_waitcnt vmcnt(7)
	v_mul_f32_e32 v12, v29, v57
	v_mul_f32_e32 v7, v29, v34
	;; [unrolled: 1-line block ×3, first 2 shown]
	v_fma_f32 v1, v25, v7, -v1
	v_mul_f32_e32 v17, v29, v33
	s_waitcnt vmcnt(6)
	v_mul_f32_e32 v33, v29, v58
	global_store_dword v[3:4], v1, off
	v_mul_f32_e32 v1, v27, v33
	v_fma_f32 v1, v25, v17, -v1
	s_waitcnt vmcnt(6)
	v_mul_f32_e32 v11, v29, v59
	global_store_dword v[5:6], v1, off
	v_mul_f32_e32 v8, v29, v32
	v_mul_f32_e32 v1, v27, v11
	v_fma_f32 v1, v25, v8, -v1
	s_waitcnt vmcnt(6)
	v_mul_f32_e32 v6, v29, v60
	global_store_dword v[9:10], v1, off
	v_mul_f32_e32 v5, v29, v31
	;; [unrolled: 6-line block ×3, first 2 shown]
	v_mul_f32_e32 v1, v27, v4
	v_fma_f32 v1, v25, v3, -v1
	global_store_dword v[15:16], v1, off
	v_mul_f32_e32 v1, v23, v37
	v_fma_f32 v1, v24, v38, -v1
	global_store_dword v[40:41], v1, off
	;; [unrolled: 3-line block ×9, first 2 shown]
	v_mov_b32_e32 v1, 0
	s_and_saveexec_b64 s[20:21], s[2:3]
	s_cbranch_execz .LBB51_16
; %bb.15:                               ;   in Loop: Header=BB51_5 Depth=1
	v_add_u32_e32 v9, v20, v21
	v_add_u32_e32 v1, s28, v9
	v_lshlrev_b64 v[13:14], 2, v[1:2]
	v_mov_b32_e32 v25, s9
	v_add_co_u32_e32 v13, vcc, s8, v13
	v_addc_co_u32_e32 v14, vcc, v25, v14, vcc
	global_load_dword v10, v[13:14], off
	v_mul_f32_e32 v31, v24, v28
	v_mul_f32_e32 v30, v23, v28
	;; [unrolled: 1-line block ×3, first 2 shown]
	v_fma_f32 v27, v30, v37, -v1
	v_add_u32_e32 v1, s29, v9
	v_lshlrev_b64 v[15:16], 2, v[1:2]
	v_add_u32_e32 v1, s30, v9
	v_lshlrev_b64 v[23:24], 2, v[1:2]
	v_add_co_u32_e32 v15, vcc, s8, v15
	v_addc_co_u32_e32 v16, vcc, v25, v16, vcc
	global_load_dword v32, v[15:16], off
	v_add_co_u32_e32 v23, vcc, s8, v23
	v_addc_co_u32_e32 v24, vcc, v25, v24, vcc
	v_mul_f32_e32 v4, v31, v4
	v_fma_f32 v3, v30, v3, -v4
	s_waitcnt vmcnt(1)
	v_add_f32_e32 v1, v27, v10
	global_store_dword v[13:14], v1, off
	global_load_dword v10, v[23:24], off
	v_mul_f32_e32 v1, v31, v36
	v_mul_f32_e32 v13, v31, v39
	v_fma_f32 v18, v30, v18, -v1
	v_add_u32_e32 v1, s31, v9
	v_fma_f32 v34, v30, v35, -v13
	v_lshlrev_b64 v[13:14], 2, v[1:2]
	v_add_u32_e32 v1, s33, v9
	v_lshlrev_b64 v[27:28], 2, v[1:2]
	v_add_co_u32_e32 v13, vcc, s8, v13
	s_waitcnt vmcnt(2)
	v_add_f32_e32 v1, v18, v32
	v_addc_co_u32_e32 v14, vcc, v25, v14, vcc
	global_store_dword v[15:16], v1, off
	v_add_co_u32_e32 v27, vcc, s8, v27
	global_load_dword v18, v[13:14], off
	v_addc_co_u32_e32 v28, vcc, v25, v28, vcc
	s_waitcnt vmcnt(2)
	v_add_f32_e32 v1, v34, v10
	global_store_dword v[23:24], v1, off
	global_load_dword v10, v[27:28], off
	v_mul_f32_e32 v1, v31, v12
	v_fma_f32 v7, v30, v7, -v1
	v_add_u32_e32 v1, s34, v9
	v_mul_f32_e32 v12, v31, v33
	v_lshlrev_b64 v[15:16], 2, v[1:2]
	v_fma_f32 v12, v30, v17, -v12
	v_add_co_u32_e32 v15, vcc, s8, v15
	v_addc_co_u32_e32 v16, vcc, v25, v16, vcc
	s_waitcnt vmcnt(2)
	v_add_f32_e32 v1, v7, v18
	global_store_dword v[13:14], v1, off
	s_waitcnt vmcnt(1)
	v_add_f32_e32 v1, v12, v10
	global_store_dword v[27:28], v1, off
	global_load_dword v10, v[15:16], off
	v_mul_f32_e32 v1, v31, v11
	v_fma_f32 v11, v30, v8, -v1
	v_add_u32_e32 v1, s35, v9
	v_lshlrev_b64 v[7:8], 2, v[1:2]
	v_mov_b32_e32 v12, s15
	v_add_co_u32_e32 v7, vcc, s8, v7
	v_addc_co_u32_e32 v8, vcc, v25, v8, vcc
	s_waitcnt vmcnt(0)
	v_add_f32_e32 v1, v11, v10
	global_store_dword v[15:16], v1, off
	global_load_dword v11, v[7:8], off
	v_mul_f32_e32 v1, v31, v6
	v_ashrrev_i32_e32 v10, 31, v9
	v_fma_f32 v13, v30, v5, -v1
	v_add_u32_e32 v1, s36, v9
	v_lshlrev_b64 v[5:6], 2, v[9:10]
	v_lshlrev_b64 v[9:10], 2, v[1:2]
	v_add_co_u32_e32 v9, vcc, s8, v9
	v_addc_co_u32_e32 v10, vcc, v25, v10, vcc
	v_add_co_u32_e32 v5, vcc, s14, v5
	v_addc_co_u32_e32 v6, vcc, v12, v6, vcc
	global_load_dword v5, v[5:6], off
	v_mul_f32_e32 v6, v26, v31
	s_waitcnt vmcnt(1)
	v_add_f32_e32 v1, v13, v11
	global_store_dword v[7:8], v1, off
	global_load_dword v1, v[9:10], off
	s_waitcnt vmcnt(0)
	v_add_f32_e32 v1, v3, v1
	global_store_dword v[9:10], v1, off
	v_fma_f32 v1, -v29, v6, v5
.LBB51_16:                              ;   in Loop: Header=BB51_5 Depth=1
	s_or_b64 exec, exec, s[20:21]
	v_mov_b32_e32 v24, v1
                                        ; implicit-def: $vgpr23
                                        ; implicit-def: $vgpr25
                                        ; implicit-def: $vgpr29
                                        ; implicit-def: $vgpr17_vgpr18
                                        ; implicit-def: $vgpr37
                                        ; implicit-def: $vgpr7_vgpr8
                                        ; implicit-def: $vgpr36
                                        ; implicit-def: $vgpr11_vgpr12
                                        ; implicit-def: $vgpr35
                                        ; implicit-def: $vgpr3_vgpr4
                                        ; implicit-def: $vgpr34
                                        ; implicit-def: $vgpr5_vgpr6
                                        ; implicit-def: $vgpr33
                                        ; implicit-def: $vgpr9_vgpr10
                                        ; implicit-def: $vgpr32
                                        ; implicit-def: $vgpr13_vgpr14
                                        ; implicit-def: $vgpr31
                                        ; implicit-def: $vgpr15_vgpr16
                                        ; implicit-def: $vgpr30
.LBB51_17:                              ;   in Loop: Header=BB51_5 Depth=1
	s_or_saveexec_b64 s[2:3], s[4:5]
	v_mov_b32_e32 v1, s27
	s_xor_b64 exec, exec, s[2:3]
	s_cbranch_execz .LBB51_4
; %bb.18:                               ;   in Loop: Header=BB51_5 Depth=1
	v_div_scale_f32 v1, s[4:5], v24, v24, 1.0
	v_div_scale_f32 v26, vcc, 1.0, v24, 1.0
	v_rcp_f32_e32 v27, v1
	v_fma_f32 v28, -v1, v27, 1.0
	v_fmac_f32_e32 v27, v28, v27
	v_mul_f32_e32 v28, v26, v27
	v_fma_f32 v38, -v1, v28, v26
	v_fmac_f32_e32 v28, v38, v27
	v_fma_f32 v1, -v1, v28, v26
	v_div_fmas_f32 v1, v1, v27, v28
	v_div_fixup_f32 v24, v1, v24, 1.0
	s_waitcnt vmcnt(7)
	v_mul_f32_e32 v37, v24, v37
	s_waitcnt vmcnt(6)
	v_mul_f32_e32 v36, v24, v36
	;; [unrolled: 2-line block ×8, first 2 shown]
	global_store_dword v[17:18], v37, off
	global_store_dword v[7:8], v36, off
	;; [unrolled: 1-line block ×8, first 2 shown]
	s_and_saveexec_b64 s[4:5], s[0:1]
	s_cbranch_execz .LBB51_3
; %bb.19:                               ;   in Loop: Header=BB51_5 Depth=1
	v_add_u32_e32 v11, v19, v21
	v_add_u32_e32 v1, s28, v11
	v_lshlrev_b64 v[3:4], 2, v[1:2]
	v_mov_b32_e32 v12, s9
	v_add_co_u32_e32 v3, vcc, s8, v3
	v_addc_co_u32_e32 v4, vcc, v12, v4, vcc
	global_load_dword v9, v[3:4], off
	v_add_u32_e32 v1, s29, v11
	v_lshlrev_b64 v[5:6], 2, v[1:2]
	v_add_u32_e32 v1, s30, v11
	v_lshlrev_b64 v[7:8], 2, v[1:2]
	v_add_co_u32_e32 v5, vcc, s8, v5
	v_addc_co_u32_e32 v6, vcc, v12, v6, vcc
	global_load_dword v13, v[5:6], off
	v_add_co_u32_e32 v7, vcc, s8, v7
	v_addc_co_u32_e32 v8, vcc, v12, v8, vcc
	s_waitcnt vmcnt(1)
	v_fma_f32 v1, -v23, v37, v9
	global_store_dword v[3:4], v1, off
	global_load_dword v14, v[7:8], off
	v_add_u32_e32 v1, s31, v11
	v_lshlrev_b64 v[3:4], 2, v[1:2]
	v_add_u32_e32 v1, s33, v11
	v_lshlrev_b64 v[9:10], 2, v[1:2]
	v_add_co_u32_e32 v3, vcc, s8, v3
	s_waitcnt vmcnt(2)
	v_fma_f32 v1, -v23, v36, v13
	v_addc_co_u32_e32 v4, vcc, v12, v4, vcc
	global_store_dword v[5:6], v1, off
	v_add_co_u32_e32 v9, vcc, s8, v9
	global_load_dword v13, v[3:4], off
	v_addc_co_u32_e32 v10, vcc, v12, v10, vcc
	s_waitcnt vmcnt(2)
	v_fma_f32 v1, -v23, v35, v14
	global_store_dword v[7:8], v1, off
	global_load_dword v7, v[9:10], off
	v_add_u32_e32 v1, s34, v11
	v_lshlrev_b64 v[5:6], 2, v[1:2]
	v_add_co_u32_e32 v5, vcc, s8, v5
	v_addc_co_u32_e32 v6, vcc, v12, v6, vcc
	s_waitcnt vmcnt(2)
	v_fma_f32 v1, -v23, v34, v13
	global_store_dword v[3:4], v1, off
	s_waitcnt vmcnt(1)
	v_fma_f32 v1, -v23, v33, v7
	global_store_dword v[9:10], v1, off
	global_load_dword v7, v[5:6], off
	v_add_u32_e32 v1, s35, v11
	v_lshlrev_b64 v[3:4], 2, v[1:2]
	v_add_co_u32_e32 v3, vcc, s8, v3
	v_addc_co_u32_e32 v4, vcc, v12, v4, vcc
	s_waitcnt vmcnt(0)
	v_fma_f32 v1, -v23, v28, v7
	global_store_dword v[5:6], v1, off
	global_load_dword v7, v[3:4], off
	v_add_u32_e32 v1, s36, v11
	v_lshlrev_b64 v[5:6], 2, v[1:2]
	s_waitcnt vmcnt(0)
	v_fma_f32 v1, -v23, v27, v7
	global_store_dword v[3:4], v1, off
	v_add_co_u32_e32 v3, vcc, s8, v5
	v_addc_co_u32_e32 v4, vcc, v12, v6, vcc
	global_load_dword v1, v[3:4], off
	s_waitcnt vmcnt(0)
	v_fma_f32 v1, -v23, v26, v1
	global_store_dword v[3:4], v1, off
	s_branch .LBB51_3
.LBB51_20:
	s_or_b64 exec, exec, s[18:19]
	s_branch .LBB51_22
.LBB51_21:
	v_mov_b32_e32 v21, 0
.LBB51_22:
	v_subrev_u32_e32 v3, s22, v21
	v_add_u32_e32 v1, v3, v0
	v_ashrrev_i32_e32 v2, 31, v1
	v_lshlrev_b64 v[1:2], 2, v[1:2]
	s_waitcnt lgkmcnt(0)
	v_mov_b32_e32 v4, s17
	v_add_co_u32_e32 v1, vcc, s16, v1
	v_addc_co_u32_e32 v2, vcc, v4, v2, vcc
	s_waitcnt vmcnt(0)
	buffer_wbinvl1_vol
	global_load_dword v1, v[1:2], off
	s_waitcnt vmcnt(0)
	v_mul_lo_u32 v1, v1, s22
	v_sub_u32_e32 v5, v3, v1
	v_cmp_lt_i32_e32 vcc, -1, v5
	s_and_b64 exec, exec, vcc
	s_cbranch_execz .LBB51_29
; %bb.23:
	s_lshl_b32 s4, s24, 3
	s_add_i32 s5, s4, s23
	s_add_i32 s6, s5, s23
	;; [unrolled: 1-line block ×7, first 2 shown]
	s_lshl_b32 s18, s22, 1
	s_mov_b64 s[0:1], 0
	v_mov_b32_e32 v6, s17
	v_mov_b32_e32 v7, s11
	;; [unrolled: 1-line block ×3, first 2 shown]
	s_branch .LBB51_25
.LBB51_24:                              ;   in Loop: Header=BB51_25 Depth=1
	s_or_b64 exec, exec, s[2:3]
	v_sub_u32_e32 v5, v5, v1
	v_cmp_gt_i32_e32 vcc, 0, v5
	s_or_b64 s[0:1], vcc, s[0:1]
	s_andn2_b64 exec, exec, s[0:1]
	s_cbranch_execz .LBB51_29
.LBB51_25:                              ; =>This Inner Loop Header: Depth=1
	v_add_u32_e32 v3, v5, v0
	s_waitcnt vmcnt(0)
	v_ashrrev_i32_e32 v4, 31, v3
	v_lshlrev_b64 v[8:9], 2, v[3:4]
	v_add_co_u32_e32 v10, vcc, s16, v8
	v_addc_co_u32_e32 v11, vcc, v6, v9, vcc
	v_add_co_u32_e32 v8, vcc, s10, v8
	global_load_dword v1, v[10:11], off
	v_addc_co_u32_e32 v9, vcc, v7, v9, vcc
	global_load_dword v4, v[8:9], off
	s_waitcnt vmcnt(1)
	v_cmp_ne_u32_e32 vcc, 1, v1
	s_and_saveexec_b64 s[2:3], vcc
	s_xor_b64 s[2:3], exec, s[2:3]
	s_cbranch_execz .LBB51_27
; %bb.26:                               ;   in Loop: Header=BB51_25 Depth=1
	v_add_u32_e32 v18, v19, v5
	v_add_u32_e32 v1, s4, v18
	v_lshlrev_b64 v[8:9], 2, v[1:2]
	v_mov_b32_e32 v1, s9
	v_add_co_u32_e32 v8, vcc, s8, v8
	v_addc_co_u32_e32 v9, vcc, v1, v9, vcc
	v_add_u32_e32 v1, s5, v18
	global_load_dword v28, v[8:9], off
	v_lshlrev_b64 v[8:9], 2, v[1:2]
	v_add_u32_e32 v1, s6, v18
	v_lshlrev_b64 v[10:11], 2, v[1:2]
	v_add_u32_e32 v1, s7, v18
	;; [unrolled: 2-line block ×7, first 2 shown]
	v_lshlrev_b64 v[24:25], 2, v[1:2]
	v_mov_b32_e32 v1, s9
	v_add_co_u32_e32 v24, vcc, s8, v24
	v_addc_co_u32_e32 v25, vcc, v1, v25, vcc
	global_load_dword v18, v[24:25], off
	v_add_co_u32_e32 v8, vcc, s8, v8
	v_addc_co_u32_e32 v9, vcc, v1, v9, vcc
	v_mov_b32_e32 v26, s9
	v_add_co_u32_e32 v10, vcc, s8, v10
	v_addc_co_u32_e32 v11, vcc, v26, v11, vcc
	v_mov_b32_e32 v27, s9
	;; [unrolled: 3-line block ×5, first 2 shown]
	v_add_co_u32_e32 v20, vcc, s8, v20
	v_addc_co_u32_e32 v21, vcc, v31, v21, vcc
	v_add_u32_e32 v1, s5, v3
	v_mov_b32_e32 v32, s9
	v_add_co_u32_e32 v22, vcc, s8, v22
	v_lshlrev_b64 v[26:27], 2, v[1:2]
	v_addc_co_u32_e32 v23, vcc, v32, v23, vcc
	v_mov_b32_e32 v33, s9
	global_load_dword v29, v[8:9], off
	global_load_dword v30, v[10:11], off
	;; [unrolled: 1-line block ×7, first 2 shown]
	v_add_co_u32_e32 v8, vcc, s8, v26
	v_addc_co_u32_e32 v9, vcc, v33, v27, vcc
	v_mov_b32_e32 v13, s9
	s_waitcnt vmcnt(7)
	v_fma_f32 v1, -v4, v28, v18
	global_store_dword v[24:25], v1, off
	global_load_dword v12, v[8:9], off
	v_add_u32_e32 v1, s6, v3
	v_lshlrev_b64 v[10:11], 2, v[1:2]
	v_add_co_u32_e32 v10, vcc, s8, v10
	v_addc_co_u32_e32 v11, vcc, v13, v11, vcc
	s_waitcnt vmcnt(0)
	v_fma_f32 v1, -v4, v29, v12
	global_store_dword v[8:9], v1, off
	global_load_dword v12, v[10:11], off
	v_add_u32_e32 v1, s7, v3
	v_lshlrev_b64 v[8:9], 2, v[1:2]
	v_add_co_u32_e32 v8, vcc, s8, v8
	v_addc_co_u32_e32 v9, vcc, v13, v9, vcc
	;; [unrolled: 8-line block ×6, first 2 shown]
	s_waitcnt vmcnt(0)
	v_fma_f32 v1, -v4, v35, v12
	global_store_dword v[10:11], v1, off
	global_load_dword v3, v[8:9], off
	v_subrev_u32_e32 v1, s22, v5
	v_add_u32_e32 v10, v1, v0
	v_ashrrev_i32_e32 v11, 31, v10
	v_lshlrev_b64 v[11:12], 2, v[10:11]
	v_add_u32_e32 v1, s4, v10
	v_add_co_u32_e32 v11, vcc, s10, v11
	v_addc_co_u32_e32 v12, vcc, v7, v12, vcc
	global_load_dword v14, v[11:12], off
	v_lshlrev_b64 v[11:12], 2, v[1:2]
	v_add_co_u32_e32 v11, vcc, s8, v11
	v_addc_co_u32_e32 v12, vcc, v13, v12, vcc
	s_waitcnt vmcnt(1)
	v_fma_f32 v1, -v4, v36, v3
	global_store_dword v[8:9], v1, off
	global_load_dword v8, v[11:12], off
	v_add_u32_e32 v1, s5, v10
	v_lshlrev_b64 v[3:4], 2, v[1:2]
	v_mov_b32_e32 v9, s9
	v_add_co_u32_e32 v3, vcc, s8, v3
	v_addc_co_u32_e32 v4, vcc, v9, v4, vcc
	s_waitcnt vmcnt(0)
	v_fma_f32 v1, -v14, v28, v8
	global_store_dword v[11:12], v1, off
	global_load_dword v11, v[3:4], off
	v_add_u32_e32 v1, s6, v10
	v_lshlrev_b64 v[8:9], 2, v[1:2]
	v_mov_b32_e32 v12, s9
	v_add_co_u32_e32 v8, vcc, s8, v8
	v_addc_co_u32_e32 v9, vcc, v12, v9, vcc
	s_waitcnt vmcnt(0)
	v_fma_f32 v1, -v14, v29, v11
	global_store_dword v[3:4], v1, off
	global_load_dword v11, v[8:9], off
	v_add_u32_e32 v1, s7, v10
	v_lshlrev_b64 v[3:4], 2, v[1:2]
	v_add_co_u32_e32 v3, vcc, s8, v3
	v_addc_co_u32_e32 v4, vcc, v12, v4, vcc
	s_waitcnt vmcnt(0)
	v_fma_f32 v1, -v14, v30, v11
	global_store_dword v[8:9], v1, off
	global_load_dword v11, v[3:4], off
	v_add_u32_e32 v1, s12, v10
	v_lshlrev_b64 v[8:9], 2, v[1:2]
	;; [unrolled: 8-line block ×5, first 2 shown]
	v_add_co_u32_e32 v3, vcc, s8, v3
	v_addc_co_u32_e32 v4, vcc, v12, v4, vcc
	s_waitcnt vmcnt(0)
	v_fma_f32 v1, -v14, v35, v11
	global_store_dword v[8:9], v1, off
	global_load_dword v1, v[3:4], off
	s_waitcnt vmcnt(0)
	v_fma_f32 v1, -v14, v36, v1
	global_store_dword v[3:4], v1, off
                                        ; implicit-def: $vgpr3
                                        ; implicit-def: $vgpr4
.LBB51_27:                              ;   in Loop: Header=BB51_25 Depth=1
	s_or_saveexec_b64 s[2:3], s[2:3]
	v_mov_b32_e32 v1, s18
	s_xor_b64 exec, exec, s[2:3]
	s_cbranch_execz .LBB51_24
; %bb.28:                               ;   in Loop: Header=BB51_25 Depth=1
	v_add_u32_e32 v14, v19, v5
	v_add_u32_e32 v1, s4, v14
	v_lshlrev_b64 v[8:9], 2, v[1:2]
	v_mov_b32_e32 v1, s9
	v_add_co_u32_e32 v8, vcc, s8, v8
	v_addc_co_u32_e32 v9, vcc, v1, v9, vcc
	v_add_u32_e32 v1, s4, v3
	v_lshlrev_b64 v[10:11], 2, v[1:2]
	v_mov_b32_e32 v1, s9
	v_add_co_u32_e32 v10, vcc, s8, v10
	v_addc_co_u32_e32 v11, vcc, v1, v11, vcc
	global_load_dword v15, v[8:9], off
	global_load_dword v16, v[10:11], off
	v_add_u32_e32 v1, s5, v14
	v_lshlrev_b64 v[8:9], 2, v[1:2]
	v_add_u32_e32 v1, s5, v3
	v_mov_b32_e32 v17, s9
	v_lshlrev_b64 v[12:13], 2, v[1:2]
	v_add_co_u32_e32 v8, vcc, s8, v8
	v_addc_co_u32_e32 v9, vcc, v17, v9, vcc
	v_mov_b32_e32 v18, s9
	v_add_co_u32_e32 v12, vcc, s8, v12
	v_addc_co_u32_e32 v13, vcc, v18, v13, vcc
	s_waitcnt vmcnt(0)
	v_fma_f32 v1, -v4, v15, v16
	global_store_dword v[10:11], v1, off
	global_load_dword v15, v[8:9], off
	global_load_dword v16, v[12:13], off
	v_add_u32_e32 v1, s6, v14
	v_lshlrev_b64 v[8:9], 2, v[1:2]
	v_add_u32_e32 v1, s6, v3
	v_lshlrev_b64 v[10:11], 2, v[1:2]
	v_add_co_u32_e32 v8, vcc, s8, v8
	v_addc_co_u32_e32 v9, vcc, v17, v9, vcc
	v_add_co_u32_e32 v10, vcc, s8, v10
	v_addc_co_u32_e32 v11, vcc, v18, v11, vcc
	s_waitcnt vmcnt(0)
	v_fma_f32 v1, -v4, v15, v16
	global_store_dword v[12:13], v1, off
	global_load_dword v15, v[8:9], off
	global_load_dword v16, v[10:11], off
	v_add_u32_e32 v1, s7, v14
	v_lshlrev_b64 v[8:9], 2, v[1:2]
	v_add_u32_e32 v1, s7, v3
	v_lshlrev_b64 v[12:13], 2, v[1:2]
	v_add_co_u32_e32 v8, vcc, s8, v8
	v_addc_co_u32_e32 v9, vcc, v17, v9, vcc
	;; [unrolled: 13-line block ×6, first 2 shown]
	v_add_co_u32_e32 v12, vcc, s8, v12
	v_addc_co_u32_e32 v13, vcc, v18, v13, vcc
	s_waitcnt vmcnt(0)
	v_fma_f32 v1, -v4, v15, v16
	global_store_dword v[10:11], v1, off
	global_load_dword v1, v[8:9], off
	s_nop 0
	global_load_dword v3, v[12:13], off
	s_waitcnt vmcnt(0)
	v_fma_f32 v1, -v4, v1, v3
	global_store_dword v[12:13], v1, off
	v_mov_b32_e32 v1, s22
	s_branch .LBB51_24
.LBB51_29:
	s_endpgm
	.section	.rodata,"a",@progbits
	.p2align	6, 0x0
	.amdhsa_kernel _ZN9rocsparseL19gtsv_LBM_rhs_kernelILj256ELj32ELj8EfEEviiiPKT2_S3_S3_PS1_S3_PKi
		.amdhsa_group_segment_fixed_size 0
		.amdhsa_private_segment_fixed_size 0
		.amdhsa_kernarg_size 64
		.amdhsa_user_sgpr_count 6
		.amdhsa_user_sgpr_private_segment_buffer 1
		.amdhsa_user_sgpr_dispatch_ptr 0
		.amdhsa_user_sgpr_queue_ptr 0
		.amdhsa_user_sgpr_kernarg_segment_ptr 1
		.amdhsa_user_sgpr_dispatch_id 0
		.amdhsa_user_sgpr_flat_scratch_init 0
		.amdhsa_user_sgpr_private_segment_size 0
		.amdhsa_uses_dynamic_stack 0
		.amdhsa_system_sgpr_private_segment_wavefront_offset 0
		.amdhsa_system_sgpr_workgroup_id_x 1
		.amdhsa_system_sgpr_workgroup_id_y 1
		.amdhsa_system_sgpr_workgroup_id_z 0
		.amdhsa_system_sgpr_workgroup_info 0
		.amdhsa_system_vgpr_workitem_id 0
		.amdhsa_next_free_vgpr 62
		.amdhsa_next_free_sgpr 37
		.amdhsa_reserve_vcc 1
		.amdhsa_reserve_flat_scratch 0
		.amdhsa_float_round_mode_32 0
		.amdhsa_float_round_mode_16_64 0
		.amdhsa_float_denorm_mode_32 3
		.amdhsa_float_denorm_mode_16_64 3
		.amdhsa_dx10_clamp 1
		.amdhsa_ieee_mode 1
		.amdhsa_fp16_overflow 0
		.amdhsa_exception_fp_ieee_invalid_op 0
		.amdhsa_exception_fp_denorm_src 0
		.amdhsa_exception_fp_ieee_div_zero 0
		.amdhsa_exception_fp_ieee_overflow 0
		.amdhsa_exception_fp_ieee_underflow 0
		.amdhsa_exception_fp_ieee_inexact 0
		.amdhsa_exception_int_div_zero 0
	.end_amdhsa_kernel
	.section	.text._ZN9rocsparseL19gtsv_LBM_rhs_kernelILj256ELj32ELj8EfEEviiiPKT2_S3_S3_PS1_S3_PKi,"axG",@progbits,_ZN9rocsparseL19gtsv_LBM_rhs_kernelILj256ELj32ELj8EfEEviiiPKT2_S3_S3_PS1_S3_PKi,comdat
.Lfunc_end51:
	.size	_ZN9rocsparseL19gtsv_LBM_rhs_kernelILj256ELj32ELj8EfEEviiiPKT2_S3_S3_PS1_S3_PKi, .Lfunc_end51-_ZN9rocsparseL19gtsv_LBM_rhs_kernelILj256ELj32ELj8EfEEviiiPKT2_S3_S3_PS1_S3_PKi
                                        ; -- End function
	.set _ZN9rocsparseL19gtsv_LBM_rhs_kernelILj256ELj32ELj8EfEEviiiPKT2_S3_S3_PS1_S3_PKi.num_vgpr, 62
	.set _ZN9rocsparseL19gtsv_LBM_rhs_kernelILj256ELj32ELj8EfEEviiiPKT2_S3_S3_PS1_S3_PKi.num_agpr, 0
	.set _ZN9rocsparseL19gtsv_LBM_rhs_kernelILj256ELj32ELj8EfEEviiiPKT2_S3_S3_PS1_S3_PKi.numbered_sgpr, 37
	.set _ZN9rocsparseL19gtsv_LBM_rhs_kernelILj256ELj32ELj8EfEEviiiPKT2_S3_S3_PS1_S3_PKi.num_named_barrier, 0
	.set _ZN9rocsparseL19gtsv_LBM_rhs_kernelILj256ELj32ELj8EfEEviiiPKT2_S3_S3_PS1_S3_PKi.private_seg_size, 0
	.set _ZN9rocsparseL19gtsv_LBM_rhs_kernelILj256ELj32ELj8EfEEviiiPKT2_S3_S3_PS1_S3_PKi.uses_vcc, 1
	.set _ZN9rocsparseL19gtsv_LBM_rhs_kernelILj256ELj32ELj8EfEEviiiPKT2_S3_S3_PS1_S3_PKi.uses_flat_scratch, 0
	.set _ZN9rocsparseL19gtsv_LBM_rhs_kernelILj256ELj32ELj8EfEEviiiPKT2_S3_S3_PS1_S3_PKi.has_dyn_sized_stack, 0
	.set _ZN9rocsparseL19gtsv_LBM_rhs_kernelILj256ELj32ELj8EfEEviiiPKT2_S3_S3_PS1_S3_PKi.has_recursion, 0
	.set _ZN9rocsparseL19gtsv_LBM_rhs_kernelILj256ELj32ELj8EfEEviiiPKT2_S3_S3_PS1_S3_PKi.has_indirect_call, 0
	.section	.AMDGPU.csdata,"",@progbits
; Kernel info:
; codeLenInByte = 4644
; TotalNumSgprs: 41
; NumVgprs: 62
; ScratchSize: 0
; MemoryBound: 0
; FloatMode: 240
; IeeeMode: 1
; LDSByteSize: 0 bytes/workgroup (compile time only)
; SGPRBlocks: 5
; VGPRBlocks: 15
; NumSGPRsForWavesPerEU: 41
; NumVGPRsForWavesPerEU: 62
; Occupancy: 4
; WaveLimiterHint : 0
; COMPUTE_PGM_RSRC2:SCRATCH_EN: 0
; COMPUTE_PGM_RSRC2:USER_SGPR: 6
; COMPUTE_PGM_RSRC2:TRAP_HANDLER: 0
; COMPUTE_PGM_RSRC2:TGID_X_EN: 1
; COMPUTE_PGM_RSRC2:TGID_Y_EN: 1
; COMPUTE_PGM_RSRC2:TGID_Z_EN: 0
; COMPUTE_PGM_RSRC2:TIDIG_COMP_CNT: 0
	.section	.text._ZN9rocsparseL19gtsv_LBM_rhs_kernelILj256ELj32ELj4EfEEviiiPKT2_S3_S3_PS1_S3_PKi,"axG",@progbits,_ZN9rocsparseL19gtsv_LBM_rhs_kernelILj256ELj32ELj4EfEEviiiPKT2_S3_S3_PS1_S3_PKi,comdat
	.globl	_ZN9rocsparseL19gtsv_LBM_rhs_kernelILj256ELj32ELj4EfEEviiiPKT2_S3_S3_PS1_S3_PKi ; -- Begin function _ZN9rocsparseL19gtsv_LBM_rhs_kernelILj256ELj32ELj4EfEEviiiPKT2_S3_S3_PS1_S3_PKi
	.p2align	8
	.type	_ZN9rocsparseL19gtsv_LBM_rhs_kernelILj256ELj32ELj4EfEEviiiPKT2_S3_S3_PS1_S3_PKi,@function
_ZN9rocsparseL19gtsv_LBM_rhs_kernelILj256ELj32ELj4EfEEviiiPKT2_S3_S3_PS1_S3_PKi: ; @_ZN9rocsparseL19gtsv_LBM_rhs_kernelILj256ELj32ELj4EfEEviiiPKT2_S3_S3_PS1_S3_PKi
; %bb.0:
	s_load_dword s23, s[4:5], 0x0
	v_lshl_or_b32 v0, s6, 8, v0
	s_waitcnt lgkmcnt(0)
	s_lshr_b32 s22, s23, 5
	v_cmp_gt_i32_e32 vcc, s22, v0
	s_and_saveexec_b64 s[0:1], vcc
	s_cbranch_execz .LBB52_29
; %bb.1:
	s_load_dwordx4 s[8:11], s[4:5], 0x28
	s_load_dwordx2 s[16:17], s[4:5], 0x38
	s_cmp_lt_i32 s23, 1
	v_add_u32_e32 v11, s22, v0
	s_mul_i32 s24, s7, s23
	s_cbranch_scc1 .LBB52_21
; %bb.2:
	s_load_dwordx4 s[12:15], s[4:5], 0x10
	s_load_dwordx2 s[6:7], s[4:5], 0x20
	v_ashrrev_i32_e32 v1, 31, v0
	v_lshlrev_b64 v[1:2], 2, v[0:1]
	s_lshl_b32 s28, s24, 2
	s_waitcnt lgkmcnt(0)
	v_mov_b32_e32 v3, s15
	v_add_co_u32_e32 v1, vcc, s14, v1
	v_addc_co_u32_e32 v2, vcc, v3, v2, vcc
	global_load_dword v16, v[1:2], off
	s_add_i32 s29, s28, s23
	s_add_i32 s30, s29, s23
	s_mul_i32 s25, s22, 31
	s_mul_i32 s26, s22, 30
	s_lshl_b32 s27, s22, 1
	v_add_u32_e32 v13, s22, v11
	s_add_i32 s31, s30, s23
	v_mov_b32_e32 v2, 0
	s_mov_b64 s[18:19], 0
	v_mov_b32_e32 v14, s7
	v_mov_b32_e32 v12, 0
	s_branch .LBB52_5
.LBB52_3:                               ;   in Loop: Header=BB52_5 Depth=1
	s_or_b64 exec, exec, s[4:5]
	v_fma_f32 v16, -v16, v22, v18
	v_mov_b32_e32 v1, s22
.LBB52_4:                               ;   in Loop: Header=BB52_5 Depth=1
	s_or_b64 exec, exec, s[2:3]
	v_add_u32_e32 v12, v1, v12
	v_cmp_le_i32_e32 vcc, s23, v12
	s_or_b64 s[18:19], vcc, s[18:19]
	s_andn2_b64 exec, exec, s[18:19]
	s_cbranch_execz .LBB52_20
.LBB52_5:                               ; =>This Inner Loop Header: Depth=1
	v_add_u32_e32 v9, v12, v0
	v_ashrrev_i32_e32 v10, 31, v9
	v_lshlrev_b64 v[3:4], 2, v[9:10]
	v_cmp_gt_u32_e64 s[0:1], s25, v12
	v_add_co_u32_e32 v5, vcc, s6, v3
	v_addc_co_u32_e32 v6, vcc, v14, v4, vcc
	global_load_dword v19, v[5:6], off
	v_mov_b32_e32 v15, 0
	s_and_saveexec_b64 s[2:3], s[0:1]
	s_cbranch_execz .LBB52_7
; %bb.6:                                ;   in Loop: Header=BB52_5 Depth=1
	v_add_u32_e32 v5, v11, v12
	v_ashrrev_i32_e32 v6, 31, v5
	v_lshlrev_b64 v[5:6], 2, v[5:6]
	v_mov_b32_e32 v1, s13
	v_add_co_u32_e32 v5, vcc, s12, v5
	v_addc_co_u32_e32 v6, vcc, v1, v6, vcc
	global_load_dword v15, v[5:6], off
.LBB52_7:                               ;   in Loop: Header=BB52_5 Depth=1
	s_or_b64 exec, exec, s[2:3]
	v_mov_b32_e32 v17, 0
	v_mov_b32_e32 v18, 0
	s_and_saveexec_b64 s[2:3], s[0:1]
	s_cbranch_execz .LBB52_9
; %bb.8:                                ;   in Loop: Header=BB52_5 Depth=1
	v_add_u32_e32 v5, v11, v12
	v_ashrrev_i32_e32 v6, 31, v5
	v_lshlrev_b64 v[5:6], 2, v[5:6]
	v_mov_b32_e32 v1, s15
	v_add_co_u32_e32 v5, vcc, s14, v5
	v_addc_co_u32_e32 v6, vcc, v1, v6, vcc
	global_load_dword v18, v[5:6], off
.LBB52_9:                               ;   in Loop: Header=BB52_5 Depth=1
	s_or_b64 exec, exec, s[2:3]
	s_and_saveexec_b64 s[2:3], s[0:1]
	s_cbranch_execz .LBB52_11
; %bb.10:                               ;   in Loop: Header=BB52_5 Depth=1
	v_add_u32_e32 v5, v11, v12
	v_ashrrev_i32_e32 v6, 31, v5
	v_lshlrev_b64 v[5:6], 2, v[5:6]
	v_mov_b32_e32 v1, s7
	v_add_co_u32_e32 v5, vcc, s6, v5
	v_addc_co_u32_e32 v6, vcc, v1, v6, vcc
	global_load_dword v17, v[5:6], off
.LBB52_11:                              ;   in Loop: Header=BB52_5 Depth=1
	s_or_b64 exec, exec, s[2:3]
	v_cmp_gt_u32_e64 s[2:3], s26, v12
	v_mov_b32_e32 v20, 0
	s_and_saveexec_b64 s[4:5], s[2:3]
	s_cbranch_execz .LBB52_13
; %bb.12:                               ;   in Loop: Header=BB52_5 Depth=1
	v_add_u32_e32 v5, v13, v12
	v_ashrrev_i32_e32 v6, 31, v5
	v_lshlrev_b64 v[5:6], 2, v[5:6]
	v_mov_b32_e32 v1, s13
	v_add_co_u32_e32 v5, vcc, s12, v5
	v_addc_co_u32_e32 v6, vcc, v1, v6, vcc
	global_load_dword v20, v[5:6], off
.LBB52_13:                              ;   in Loop: Header=BB52_5 Depth=1
	s_or_b64 exec, exec, s[4:5]
	v_mov_b32_e32 v1, s17
	v_add_co_u32_e32 v3, vcc, s16, v3
	v_addc_co_u32_e32 v4, vcc, v1, v4, vcc
	v_add_u32_e32 v1, s28, v9
	global_load_dword v22, v[3:4], off
	v_lshlrev_b64 v[3:4], 2, v[1:2]
	v_add_u32_e32 v1, s29, v9
	s_waitcnt vmcnt(2)
	v_mov_b32_e32 v21, s9
	v_add_co_u32_e32 v3, vcc, s8, v3
	v_lshlrev_b64 v[5:6], 2, v[1:2]
	v_addc_co_u32_e32 v4, vcc, v21, v4, vcc
	v_add_u32_e32 v1, s30, v9
	v_add_co_u32_e32 v5, vcc, s8, v5
	v_lshlrev_b64 v[7:8], 2, v[1:2]
	v_addc_co_u32_e32 v6, vcc, v21, v6, vcc
	v_add_u32_e32 v1, s31, v9
	v_add_co_u32_e32 v7, vcc, s8, v7
	v_lshlrev_b64 v[9:10], 2, v[1:2]
	v_addc_co_u32_e32 v8, vcc, v21, v8, vcc
	v_add_co_u32_e32 v9, vcc, s8, v9
	v_addc_co_u32_e32 v10, vcc, v21, v10, vcc
	global_load_dword v25, v[3:4], off
	global_load_dword v24, v[5:6], off
	;; [unrolled: 1-line block ×4, first 2 shown]
	v_cmp_ne_u32_e64 s[4:5], s25, v12
	s_waitcnt vmcnt(4)
	v_cmp_ne_u32_e32 vcc, 1, v22
	s_and_b64 s[4:5], s[4:5], vcc
	v_mul_f32_e32 v22, v19, v15
	s_and_saveexec_b64 s[20:21], s[4:5]
	s_xor_b64 s[4:5], exec, s[20:21]
	s_cbranch_execz .LBB52_17
; %bb.14:                               ;   in Loop: Header=BB52_5 Depth=1
	v_add_u32_e32 v34, v11, v12
	v_add_u32_e32 v1, s28, v34
	v_lshlrev_b64 v[26:27], 2, v[1:2]
	v_mov_b32_e32 v35, s9
	v_add_co_u32_e32 v28, vcc, s8, v26
	v_add_u32_e32 v1, s29, v34
	v_addc_co_u32_e32 v29, vcc, v35, v27, vcc
	v_lshlrev_b64 v[26:27], 2, v[1:2]
	v_add_u32_e32 v1, s30, v34
	v_add_co_u32_e32 v30, vcc, s8, v26
	v_addc_co_u32_e32 v31, vcc, v35, v27, vcc
	v_lshlrev_b64 v[26:27], 2, v[1:2]
	v_add_u32_e32 v1, s31, v34
	v_add_co_u32_e32 v32, vcc, s8, v26
	v_addc_co_u32_e32 v33, vcc, v35, v27, vcc
	v_lshlrev_b64 v[26:27], 2, v[1:2]
	v_fma_f32 v1, v16, v18, -v22
	v_div_scale_f32 v22, s[20:21], v1, v1, 1.0
	v_add_co_u32_e32 v34, vcc, s8, v26
	v_addc_co_u32_e32 v35, vcc, v35, v27, vcc
	v_rcp_f32_e32 v26, v22
	v_fma_f32 v27, -v22, v26, 1.0
	v_fmac_f32_e32 v26, v27, v26
	v_div_scale_f32 v27, vcc, 1.0, v1, 1.0
	v_mul_f32_e32 v36, v27, v26
	v_fma_f32 v37, -v22, v36, v27
	v_fmac_f32_e32 v36, v37, v26
	v_fma_f32 v22, -v22, v36, v27
	v_div_fmas_f32 v22, v22, v26, v36
	v_div_fixup_f32 v22, v22, v1, 1.0
	global_load_dword v1, v[28:29], off
	global_load_dword v27, v[30:31], off
	;; [unrolled: 1-line block ×4, first 2 shown]
	s_waitcnt vmcnt(7)
	v_mul_f32_e32 v25, v22, v25
	s_waitcnt vmcnt(6)
	v_mul_f32_e32 v24, v22, v24
	;; [unrolled: 2-line block ×3, first 2 shown]
	v_mul_f32_e32 v26, v22, v1
	v_mul_f32_e32 v1, v19, v26
	v_fma_f32 v1, v18, v25, -v1
	global_store_dword v[3:4], v1, off
	v_mul_f32_e32 v1, v19, v27
	v_fma_f32 v1, v18, v24, -v1
	s_waitcnt vmcnt(2)
	v_mul_f32_e32 v4, v22, v36
	global_store_dword v[5:6], v1, off
	v_mul_f32_e32 v3, v22, v23
	v_mul_f32_e32 v1, v19, v4
	v_fma_f32 v1, v18, v3, -v1
	s_waitcnt vmcnt(2)
	v_mul_f32_e32 v6, v22, v37
	global_store_dword v[7:8], v1, off
	v_mul_f32_e32 v5, v22, v21
	v_mul_f32_e32 v1, v19, v6
	v_fma_f32 v1, v18, v5, -v1
	global_store_dword v[9:10], v1, off
	v_mul_f32_e32 v1, v15, v25
	v_fma_f32 v1, v16, v26, -v1
	v_mul_f32_e32 v7, v15, v24
	global_store_dword v[28:29], v1, off
	v_mul_f32_e32 v1, v15, v3
	v_mul_f32_e32 v8, v15, v5
	v_fma_f32 v7, v16, v27, -v7
	v_fma_f32 v1, v16, v4, -v1
	;; [unrolled: 1-line block ×3, first 2 shown]
	global_store_dword v[30:31], v7, off
	global_store_dword v[32:33], v1, off
	;; [unrolled: 1-line block ×3, first 2 shown]
	v_mov_b32_e32 v1, 0
	s_and_saveexec_b64 s[20:21], s[2:3]
	s_cbranch_execz .LBB52_16
; %bb.15:                               ;   in Loop: Header=BB52_5 Depth=1
	v_add_u32_e32 v7, v13, v12
	v_add_u32_e32 v1, s28, v7
	v_lshlrev_b64 v[8:9], 2, v[1:2]
	v_mov_b32_e32 v10, s9
	v_add_co_u32_e32 v18, vcc, s8, v8
	v_add_u32_e32 v1, s29, v7
	v_addc_co_u32_e32 v19, vcc, v10, v9, vcc
	v_lshlrev_b64 v[8:9], 2, v[1:2]
	global_load_dword v23, v[18:19], off
	v_add_co_u32_e32 v28, vcc, s8, v8
	v_addc_co_u32_e32 v29, vcc, v10, v9, vcc
	global_load_dword v30, v[28:29], off
	v_mul_f32_e32 v32, v16, v20
	v_mul_f32_e32 v31, v15, v20
	;; [unrolled: 1-line block ×3, first 2 shown]
	v_fma_f32 v25, v31, v25, -v1
	v_add_u32_e32 v1, s30, v7
	v_lshlrev_b64 v[15:16], 2, v[1:2]
	v_add_u32_e32 v1, s31, v7
	v_lshlrev_b64 v[20:21], 2, v[1:2]
	v_add_co_u32_e32 v15, vcc, s8, v15
	v_mul_f32_e32 v9, v32, v27
	v_ashrrev_i32_e32 v8, 31, v7
	v_addc_co_u32_e32 v16, vcc, v10, v16, vcc
	v_fma_f32 v24, v31, v24, -v9
	v_lshlrev_b64 v[8:9], 2, v[7:8]
	v_add_co_u32_e32 v20, vcc, s8, v20
	v_addc_co_u32_e32 v21, vcc, v10, v21, vcc
	v_mov_b32_e32 v33, s15
	v_add_co_u32_e32 v7, vcc, s14, v8
	v_addc_co_u32_e32 v8, vcc, v33, v9, vcc
	v_mul_f32_e32 v4, v32, v4
	v_mul_f32_e32 v6, v32, v6
	v_fma_f32 v3, v31, v3, -v4
	v_fma_f32 v4, v31, v5, -v6
	s_waitcnt vmcnt(1)
	v_add_f32_e32 v1, v25, v23
	global_store_dword v[18:19], v1, off
	s_waitcnt vmcnt(1)
	v_add_f32_e32 v1, v24, v30
	global_store_dword v[28:29], v1, off
	global_load_dword v1, v[15:16], off
	s_nop 0
	global_load_dword v10, v[20:21], off
	s_waitcnt vmcnt(1)
	v_add_f32_e32 v1, v3, v1
	global_load_dword v7, v[7:8], off
	v_mul_f32_e32 v8, v17, v32
	global_store_dword v[15:16], v1, off
	s_waitcnt vmcnt(2)
	v_add_f32_e32 v1, v4, v10
	global_store_dword v[20:21], v1, off
	s_waitcnt vmcnt(2)
	v_fma_f32 v1, -v22, v8, v7
.LBB52_16:                              ;   in Loop: Header=BB52_5 Depth=1
	s_or_b64 exec, exec, s[20:21]
	v_mov_b32_e32 v16, v1
                                        ; implicit-def: $vgpr15
                                        ; implicit-def: $vgpr18
                                        ; implicit-def: $vgpr22
                                        ; implicit-def: $vgpr3_vgpr4
                                        ; implicit-def: $vgpr25
                                        ; implicit-def: $vgpr5_vgpr6
                                        ; implicit-def: $vgpr24
                                        ; implicit-def: $vgpr7_vgpr8
                                        ; implicit-def: $vgpr23
                                        ; implicit-def: $vgpr9_vgpr10
                                        ; implicit-def: $vgpr21
.LBB52_17:                              ;   in Loop: Header=BB52_5 Depth=1
	s_or_saveexec_b64 s[2:3], s[4:5]
	v_mov_b32_e32 v1, s27
	s_xor_b64 exec, exec, s[2:3]
	s_cbranch_execz .LBB52_4
; %bb.18:                               ;   in Loop: Header=BB52_5 Depth=1
	v_div_scale_f32 v1, s[4:5], v16, v16, 1.0
	v_div_scale_f32 v17, vcc, 1.0, v16, 1.0
	v_rcp_f32_e32 v19, v1
	v_fma_f32 v20, -v1, v19, 1.0
	v_fmac_f32_e32 v19, v20, v19
	v_mul_f32_e32 v20, v17, v19
	v_fma_f32 v26, -v1, v20, v17
	v_fmac_f32_e32 v20, v26, v19
	v_fma_f32 v1, -v1, v20, v17
	v_div_fmas_f32 v1, v1, v19, v20
	v_div_fixup_f32 v16, v1, v16, 1.0
	s_waitcnt vmcnt(3)
	v_mul_f32_e32 v25, v16, v25
	s_waitcnt vmcnt(2)
	v_mul_f32_e32 v20, v16, v24
	;; [unrolled: 2-line block ×4, first 2 shown]
	global_store_dword v[3:4], v25, off
	global_store_dword v[5:6], v20, off
	;; [unrolled: 1-line block ×4, first 2 shown]
	s_and_saveexec_b64 s[4:5], s[0:1]
	s_cbranch_execz .LBB52_3
; %bb.19:                               ;   in Loop: Header=BB52_5 Depth=1
	v_add_u32_e32 v9, v11, v12
	v_add_u32_e32 v1, s28, v9
	v_lshlrev_b64 v[3:4], 2, v[1:2]
	v_add_u32_e32 v1, s29, v9
	v_mov_b32_e32 v21, s9
	v_add_co_u32_e32 v3, vcc, s8, v3
	v_lshlrev_b64 v[5:6], 2, v[1:2]
	v_addc_co_u32_e32 v4, vcc, v21, v4, vcc
	v_add_co_u32_e32 v5, vcc, s8, v5
	global_load_dword v23, v[3:4], off
	v_addc_co_u32_e32 v6, vcc, v21, v6, vcc
	global_load_dword v24, v[5:6], off
	v_add_u32_e32 v1, s30, v9
	v_lshlrev_b64 v[7:8], 2, v[1:2]
	v_add_u32_e32 v1, s31, v9
	v_lshlrev_b64 v[9:10], 2, v[1:2]
	v_add_co_u32_e32 v7, vcc, s8, v7
	v_addc_co_u32_e32 v8, vcc, v21, v8, vcc
	v_add_co_u32_e32 v9, vcc, s8, v9
	v_addc_co_u32_e32 v10, vcc, v21, v10, vcc
	s_waitcnt vmcnt(1)
	v_fma_f32 v1, -v15, v25, v23
	global_store_dword v[3:4], v1, off
	global_load_dword v3, v[7:8], off
	s_waitcnt vmcnt(2)
	v_fma_f32 v1, -v15, v20, v24
	global_store_dword v[5:6], v1, off
	global_load_dword v1, v[9:10], off
	s_waitcnt vmcnt(2)
	v_fma_f32 v3, -v15, v19, v3
	global_store_dword v[7:8], v3, off
	s_waitcnt vmcnt(1)
	v_fma_f32 v1, -v15, v17, v1
	global_store_dword v[9:10], v1, off
	s_branch .LBB52_3
.LBB52_20:
	s_or_b64 exec, exec, s[18:19]
	s_branch .LBB52_22
.LBB52_21:
	v_mov_b32_e32 v12, 0
.LBB52_22:
	v_subrev_u32_e32 v3, s22, v12
	v_add_u32_e32 v1, v3, v0
	v_ashrrev_i32_e32 v2, 31, v1
	v_lshlrev_b64 v[1:2], 2, v[1:2]
	s_waitcnt lgkmcnt(0)
	v_mov_b32_e32 v4, s17
	v_add_co_u32_e32 v1, vcc, s16, v1
	v_addc_co_u32_e32 v2, vcc, v4, v2, vcc
	s_waitcnt vmcnt(0)
	buffer_wbinvl1_vol
	global_load_dword v1, v[1:2], off
	s_waitcnt vmcnt(0)
	v_mul_lo_u32 v1, v1, s22
	v_sub_u32_e32 v5, v3, v1
	v_cmp_lt_i32_e32 vcc, -1, v5
	s_and_b64 exec, exec, vcc
	s_cbranch_execz .LBB52_29
; %bb.23:
	s_lshl_b32 s4, s24, 2
	s_add_i32 s5, s4, s23
	s_add_i32 s6, s5, s23
	s_add_i32 s7, s6, s23
	s_lshl_b32 s12, s22, 1
	s_mov_b64 s[0:1], 0
	v_mov_b32_e32 v6, s17
	v_mov_b32_e32 v7, s11
	;; [unrolled: 1-line block ×3, first 2 shown]
	s_branch .LBB52_25
.LBB52_24:                              ;   in Loop: Header=BB52_25 Depth=1
	s_or_b64 exec, exec, s[2:3]
	v_sub_u32_e32 v5, v5, v1
	v_cmp_gt_i32_e32 vcc, 0, v5
	s_or_b64 s[0:1], vcc, s[0:1]
	s_andn2_b64 exec, exec, s[0:1]
	s_cbranch_execz .LBB52_29
.LBB52_25:                              ; =>This Inner Loop Header: Depth=1
	v_add_u32_e32 v3, v5, v0
	s_waitcnt vmcnt(0)
	v_ashrrev_i32_e32 v4, 31, v3
	v_lshlrev_b64 v[8:9], 2, v[3:4]
	v_add_co_u32_e32 v12, vcc, s16, v8
	v_addc_co_u32_e32 v13, vcc, v6, v9, vcc
	v_add_co_u32_e32 v8, vcc, s10, v8
	global_load_dword v1, v[12:13], off
	v_addc_co_u32_e32 v9, vcc, v7, v9, vcc
	global_load_dword v4, v[8:9], off
	s_waitcnt vmcnt(1)
	v_cmp_ne_u32_e32 vcc, 1, v1
	s_and_saveexec_b64 s[2:3], vcc
	s_xor_b64 s[2:3], exec, s[2:3]
	s_cbranch_execz .LBB52_27
; %bb.26:                               ;   in Loop: Header=BB52_25 Depth=1
	v_add_u32_e32 v10, v11, v5
	v_add_u32_e32 v1, s4, v10
	v_lshlrev_b64 v[8:9], 2, v[1:2]
	v_mov_b32_e32 v1, s9
	v_add_co_u32_e32 v8, vcc, s8, v8
	v_addc_co_u32_e32 v9, vcc, v1, v9, vcc
	v_add_u32_e32 v1, s5, v10
	v_lshlrev_b64 v[12:13], 2, v[1:2]
	v_add_u32_e32 v1, s6, v10
	v_lshlrev_b64 v[14:15], 2, v[1:2]
	;; [unrolled: 2-line block ×4, first 2 shown]
	v_mov_b32_e32 v1, s9
	v_add_co_u32_e32 v18, vcc, s8, v18
	v_addc_co_u32_e32 v19, vcc, v1, v19, vcc
	global_load_dword v10, v[8:9], off
	global_load_dword v20, v[18:19], off
	v_add_co_u32_e32 v8, vcc, s8, v12
	v_addc_co_u32_e32 v9, vcc, v1, v13, vcc
	v_mov_b32_e32 v21, s9
	v_add_co_u32_e32 v12, vcc, s8, v14
	v_addc_co_u32_e32 v13, vcc, v21, v15, vcc
	v_mov_b32_e32 v22, s9
	v_add_co_u32_e32 v14, vcc, s8, v16
	v_add_u32_e32 v1, s5, v3
	v_addc_co_u32_e32 v15, vcc, v22, v17, vcc
	global_load_dword v16, v[8:9], off
	global_load_dword v17, v[12:13], off
	;; [unrolled: 1-line block ×3, first 2 shown]
	v_lshlrev_b64 v[8:9], 2, v[1:2]
	v_mov_b32_e32 v12, s9
	v_add_co_u32_e32 v8, vcc, s8, v8
	v_addc_co_u32_e32 v9, vcc, v12, v9, vcc
	v_mov_b32_e32 v15, s9
	s_waitcnt vmcnt(3)
	v_fma_f32 v1, -v4, v10, v20
	global_store_dword v[18:19], v1, off
	global_load_dword v14, v[8:9], off
	v_add_u32_e32 v1, s6, v3
	v_lshlrev_b64 v[12:13], 2, v[1:2]
	v_add_co_u32_e32 v12, vcc, s8, v12
	v_addc_co_u32_e32 v13, vcc, v15, v13, vcc
	s_waitcnt vmcnt(0)
	v_fma_f32 v1, -v4, v16, v14
	global_store_dword v[8:9], v1, off
	global_load_dword v14, v[12:13], off
	v_add_u32_e32 v1, s7, v3
	v_lshlrev_b64 v[8:9], 2, v[1:2]
	v_add_co_u32_e32 v8, vcc, s8, v8
	v_addc_co_u32_e32 v9, vcc, v15, v9, vcc
	s_waitcnt vmcnt(0)
	v_fma_f32 v1, -v4, v17, v14
	global_store_dword v[12:13], v1, off
	global_load_dword v3, v[8:9], off
	v_subrev_u32_e32 v1, s22, v5
	v_add_u32_e32 v12, v1, v0
	v_ashrrev_i32_e32 v13, 31, v12
	v_lshlrev_b64 v[13:14], 2, v[12:13]
	v_add_u32_e32 v1, s4, v12
	v_add_co_u32_e32 v13, vcc, s10, v13
	v_addc_co_u32_e32 v14, vcc, v7, v14, vcc
	global_load_dword v18, v[13:14], off
	v_lshlrev_b64 v[13:14], 2, v[1:2]
	v_add_co_u32_e32 v13, vcc, s8, v13
	v_addc_co_u32_e32 v14, vcc, v15, v14, vcc
	s_waitcnt vmcnt(1)
	v_fma_f32 v1, -v4, v21, v3
	global_store_dword v[8:9], v1, off
	global_load_dword v8, v[13:14], off
	v_add_u32_e32 v1, s5, v12
	v_lshlrev_b64 v[3:4], 2, v[1:2]
	v_mov_b32_e32 v9, s9
	v_add_co_u32_e32 v3, vcc, s8, v3
	v_addc_co_u32_e32 v4, vcc, v9, v4, vcc
	s_waitcnt vmcnt(0)
	v_fma_f32 v1, -v18, v10, v8
	global_store_dword v[13:14], v1, off
	global_load_dword v10, v[3:4], off
	v_add_u32_e32 v1, s6, v12
	v_lshlrev_b64 v[8:9], 2, v[1:2]
	v_mov_b32_e32 v13, s9
	v_add_co_u32_e32 v8, vcc, s8, v8
	v_addc_co_u32_e32 v9, vcc, v13, v9, vcc
	s_waitcnt vmcnt(0)
	v_fma_f32 v1, -v18, v16, v10
	global_store_dword v[3:4], v1, off
	global_load_dword v10, v[8:9], off
	v_add_u32_e32 v1, s7, v12
	v_lshlrev_b64 v[3:4], 2, v[1:2]
	v_add_co_u32_e32 v3, vcc, s8, v3
	v_addc_co_u32_e32 v4, vcc, v13, v4, vcc
	s_waitcnt vmcnt(0)
	v_fma_f32 v1, -v18, v17, v10
	global_store_dword v[8:9], v1, off
	global_load_dword v1, v[3:4], off
	s_waitcnt vmcnt(0)
	v_fma_f32 v1, -v18, v21, v1
	global_store_dword v[3:4], v1, off
                                        ; implicit-def: $vgpr3
                                        ; implicit-def: $vgpr4
.LBB52_27:                              ;   in Loop: Header=BB52_25 Depth=1
	s_or_saveexec_b64 s[2:3], s[2:3]
	v_mov_b32_e32 v1, s12
	s_xor_b64 exec, exec, s[2:3]
	s_cbranch_execz .LBB52_24
; %bb.28:                               ;   in Loop: Header=BB52_25 Depth=1
	v_add_u32_e32 v10, v11, v5
	v_add_u32_e32 v1, s4, v10
	v_lshlrev_b64 v[8:9], 2, v[1:2]
	v_mov_b32_e32 v1, s9
	v_add_co_u32_e32 v8, vcc, s8, v8
	v_addc_co_u32_e32 v9, vcc, v1, v9, vcc
	v_add_u32_e32 v1, s4, v3
	v_lshlrev_b64 v[12:13], 2, v[1:2]
	v_mov_b32_e32 v1, s9
	v_add_co_u32_e32 v12, vcc, s8, v12
	v_addc_co_u32_e32 v13, vcc, v1, v13, vcc
	global_load_dword v16, v[8:9], off
	global_load_dword v17, v[12:13], off
	v_add_u32_e32 v1, s5, v10
	v_lshlrev_b64 v[8:9], 2, v[1:2]
	v_add_u32_e32 v1, s5, v3
	v_mov_b32_e32 v18, s9
	v_lshlrev_b64 v[14:15], 2, v[1:2]
	v_add_co_u32_e32 v8, vcc, s8, v8
	v_addc_co_u32_e32 v9, vcc, v18, v9, vcc
	v_mov_b32_e32 v19, s9
	v_add_co_u32_e32 v14, vcc, s8, v14
	v_addc_co_u32_e32 v15, vcc, v19, v15, vcc
	s_waitcnt vmcnt(0)
	v_fma_f32 v1, -v4, v16, v17
	global_store_dword v[12:13], v1, off
	global_load_dword v16, v[8:9], off
	global_load_dword v17, v[14:15], off
	v_add_u32_e32 v1, s6, v10
	v_lshlrev_b64 v[8:9], 2, v[1:2]
	v_add_u32_e32 v1, s6, v3
	v_lshlrev_b64 v[12:13], 2, v[1:2]
	v_add_co_u32_e32 v8, vcc, s8, v8
	v_addc_co_u32_e32 v9, vcc, v18, v9, vcc
	v_add_co_u32_e32 v12, vcc, s8, v12
	v_addc_co_u32_e32 v13, vcc, v19, v13, vcc
	s_waitcnt vmcnt(0)
	v_fma_f32 v1, -v4, v16, v17
	global_store_dword v[14:15], v1, off
	global_load_dword v16, v[8:9], off
	global_load_dword v17, v[12:13], off
	v_add_u32_e32 v1, s7, v10
	v_lshlrev_b64 v[8:9], 2, v[1:2]
	v_add_u32_e32 v1, s7, v3
	v_lshlrev_b64 v[14:15], 2, v[1:2]
	v_add_co_u32_e32 v8, vcc, s8, v8
	v_addc_co_u32_e32 v9, vcc, v18, v9, vcc
	v_add_co_u32_e32 v14, vcc, s8, v14
	v_addc_co_u32_e32 v15, vcc, v19, v15, vcc
	s_waitcnt vmcnt(0)
	v_fma_f32 v1, -v4, v16, v17
	global_store_dword v[12:13], v1, off
	global_load_dword v1, v[8:9], off
	s_nop 0
	global_load_dword v3, v[14:15], off
	s_waitcnt vmcnt(0)
	v_fma_f32 v1, -v4, v1, v3
	global_store_dword v[14:15], v1, off
	v_mov_b32_e32 v1, s22
	s_branch .LBB52_24
.LBB52_29:
	s_endpgm
	.section	.rodata,"a",@progbits
	.p2align	6, 0x0
	.amdhsa_kernel _ZN9rocsparseL19gtsv_LBM_rhs_kernelILj256ELj32ELj4EfEEviiiPKT2_S3_S3_PS1_S3_PKi
		.amdhsa_group_segment_fixed_size 0
		.amdhsa_private_segment_fixed_size 0
		.amdhsa_kernarg_size 64
		.amdhsa_user_sgpr_count 6
		.amdhsa_user_sgpr_private_segment_buffer 1
		.amdhsa_user_sgpr_dispatch_ptr 0
		.amdhsa_user_sgpr_queue_ptr 0
		.amdhsa_user_sgpr_kernarg_segment_ptr 1
		.amdhsa_user_sgpr_dispatch_id 0
		.amdhsa_user_sgpr_flat_scratch_init 0
		.amdhsa_user_sgpr_private_segment_size 0
		.amdhsa_uses_dynamic_stack 0
		.amdhsa_system_sgpr_private_segment_wavefront_offset 0
		.amdhsa_system_sgpr_workgroup_id_x 1
		.amdhsa_system_sgpr_workgroup_id_y 1
		.amdhsa_system_sgpr_workgroup_id_z 0
		.amdhsa_system_sgpr_workgroup_info 0
		.amdhsa_system_vgpr_workitem_id 0
		.amdhsa_next_free_vgpr 38
		.amdhsa_next_free_sgpr 32
		.amdhsa_reserve_vcc 1
		.amdhsa_reserve_flat_scratch 0
		.amdhsa_float_round_mode_32 0
		.amdhsa_float_round_mode_16_64 0
		.amdhsa_float_denorm_mode_32 3
		.amdhsa_float_denorm_mode_16_64 3
		.amdhsa_dx10_clamp 1
		.amdhsa_ieee_mode 1
		.amdhsa_fp16_overflow 0
		.amdhsa_exception_fp_ieee_invalid_op 0
		.amdhsa_exception_fp_denorm_src 0
		.amdhsa_exception_fp_ieee_div_zero 0
		.amdhsa_exception_fp_ieee_overflow 0
		.amdhsa_exception_fp_ieee_underflow 0
		.amdhsa_exception_fp_ieee_inexact 0
		.amdhsa_exception_int_div_zero 0
	.end_amdhsa_kernel
	.section	.text._ZN9rocsparseL19gtsv_LBM_rhs_kernelILj256ELj32ELj4EfEEviiiPKT2_S3_S3_PS1_S3_PKi,"axG",@progbits,_ZN9rocsparseL19gtsv_LBM_rhs_kernelILj256ELj32ELj4EfEEviiiPKT2_S3_S3_PS1_S3_PKi,comdat
.Lfunc_end52:
	.size	_ZN9rocsparseL19gtsv_LBM_rhs_kernelILj256ELj32ELj4EfEEviiiPKT2_S3_S3_PS1_S3_PKi, .Lfunc_end52-_ZN9rocsparseL19gtsv_LBM_rhs_kernelILj256ELj32ELj4EfEEviiiPKT2_S3_S3_PS1_S3_PKi
                                        ; -- End function
	.set _ZN9rocsparseL19gtsv_LBM_rhs_kernelILj256ELj32ELj4EfEEviiiPKT2_S3_S3_PS1_S3_PKi.num_vgpr, 38
	.set _ZN9rocsparseL19gtsv_LBM_rhs_kernelILj256ELj32ELj4EfEEviiiPKT2_S3_S3_PS1_S3_PKi.num_agpr, 0
	.set _ZN9rocsparseL19gtsv_LBM_rhs_kernelILj256ELj32ELj4EfEEviiiPKT2_S3_S3_PS1_S3_PKi.numbered_sgpr, 32
	.set _ZN9rocsparseL19gtsv_LBM_rhs_kernelILj256ELj32ELj4EfEEviiiPKT2_S3_S3_PS1_S3_PKi.num_named_barrier, 0
	.set _ZN9rocsparseL19gtsv_LBM_rhs_kernelILj256ELj32ELj4EfEEviiiPKT2_S3_S3_PS1_S3_PKi.private_seg_size, 0
	.set _ZN9rocsparseL19gtsv_LBM_rhs_kernelILj256ELj32ELj4EfEEviiiPKT2_S3_S3_PS1_S3_PKi.uses_vcc, 1
	.set _ZN9rocsparseL19gtsv_LBM_rhs_kernelILj256ELj32ELj4EfEEviiiPKT2_S3_S3_PS1_S3_PKi.uses_flat_scratch, 0
	.set _ZN9rocsparseL19gtsv_LBM_rhs_kernelILj256ELj32ELj4EfEEviiiPKT2_S3_S3_PS1_S3_PKi.has_dyn_sized_stack, 0
	.set _ZN9rocsparseL19gtsv_LBM_rhs_kernelILj256ELj32ELj4EfEEviiiPKT2_S3_S3_PS1_S3_PKi.has_recursion, 0
	.set _ZN9rocsparseL19gtsv_LBM_rhs_kernelILj256ELj32ELj4EfEEviiiPKT2_S3_S3_PS1_S3_PKi.has_indirect_call, 0
	.section	.AMDGPU.csdata,"",@progbits
; Kernel info:
; codeLenInByte = 2888
; TotalNumSgprs: 36
; NumVgprs: 38
; ScratchSize: 0
; MemoryBound: 0
; FloatMode: 240
; IeeeMode: 1
; LDSByteSize: 0 bytes/workgroup (compile time only)
; SGPRBlocks: 4
; VGPRBlocks: 9
; NumSGPRsForWavesPerEU: 36
; NumVGPRsForWavesPerEU: 38
; Occupancy: 6
; WaveLimiterHint : 0
; COMPUTE_PGM_RSRC2:SCRATCH_EN: 0
; COMPUTE_PGM_RSRC2:USER_SGPR: 6
; COMPUTE_PGM_RSRC2:TRAP_HANDLER: 0
; COMPUTE_PGM_RSRC2:TGID_X_EN: 1
; COMPUTE_PGM_RSRC2:TGID_Y_EN: 1
; COMPUTE_PGM_RSRC2:TGID_Z_EN: 0
; COMPUTE_PGM_RSRC2:TIDIG_COMP_CNT: 0
	.section	.text._ZN9rocsparseL19gtsv_LBM_rhs_kernelILj256ELj32ELj2EfEEviiiPKT2_S3_S3_PS1_S3_PKi,"axG",@progbits,_ZN9rocsparseL19gtsv_LBM_rhs_kernelILj256ELj32ELj2EfEEviiiPKT2_S3_S3_PS1_S3_PKi,comdat
	.globl	_ZN9rocsparseL19gtsv_LBM_rhs_kernelILj256ELj32ELj2EfEEviiiPKT2_S3_S3_PS1_S3_PKi ; -- Begin function _ZN9rocsparseL19gtsv_LBM_rhs_kernelILj256ELj32ELj2EfEEviiiPKT2_S3_S3_PS1_S3_PKi
	.p2align	8
	.type	_ZN9rocsparseL19gtsv_LBM_rhs_kernelILj256ELj32ELj2EfEEviiiPKT2_S3_S3_PS1_S3_PKi,@function
_ZN9rocsparseL19gtsv_LBM_rhs_kernelILj256ELj32ELj2EfEEviiiPKT2_S3_S3_PS1_S3_PKi: ; @_ZN9rocsparseL19gtsv_LBM_rhs_kernelILj256ELj32ELj2EfEEviiiPKT2_S3_S3_PS1_S3_PKi
; %bb.0:
	s_load_dword s23, s[4:5], 0x0
	v_lshl_or_b32 v0, s6, 8, v0
	s_waitcnt lgkmcnt(0)
	s_lshr_b32 s22, s23, 5
	v_cmp_gt_i32_e32 vcc, s22, v0
	s_and_saveexec_b64 s[0:1], vcc
	s_cbranch_execz .LBB53_29
; %bb.1:
	s_load_dwordx4 s[8:11], s[4:5], 0x28
	s_load_dwordx2 s[16:17], s[4:5], 0x38
	s_cmp_lt_i32 s23, 1
	v_add_u32_e32 v7, s22, v0
	s_mul_i32 s24, s7, s23
	s_cbranch_scc1 .LBB53_21
; %bb.2:
	s_load_dwordx4 s[12:15], s[4:5], 0x10
	s_load_dwordx2 s[6:7], s[4:5], 0x20
	v_ashrrev_i32_e32 v1, 31, v0
	v_lshlrev_b64 v[1:2], 2, v[0:1]
	s_lshl_b32 s28, s24, 1
	s_waitcnt lgkmcnt(0)
	v_mov_b32_e32 v3, s15
	v_add_co_u32_e32 v1, vcc, s14, v1
	v_addc_co_u32_e32 v2, vcc, v3, v2, vcc
	global_load_dword v11, v[1:2], off
	s_mul_i32 s25, s22, 31
	s_mul_i32 s26, s22, 30
	s_lshl_b32 s27, s22, 1
	v_add_u32_e32 v9, s22, v7
	s_add_i32 s29, s28, s23
	v_mov_b32_e32 v2, 0
	s_mov_b64 s[18:19], 0
	v_mov_b32_e32 v10, s7
	v_mov_b32_e32 v8, 0
	s_branch .LBB53_5
.LBB53_3:                               ;   in Loop: Header=BB53_5 Depth=1
	s_or_b64 exec, exec, s[4:5]
	v_fma_f32 v11, -v11, v18, v14
	v_mov_b32_e32 v1, s22
.LBB53_4:                               ;   in Loop: Header=BB53_5 Depth=1
	s_or_b64 exec, exec, s[2:3]
	v_add_u32_e32 v8, v1, v8
	v_cmp_le_i32_e32 vcc, s23, v8
	s_or_b64 s[18:19], vcc, s[18:19]
	s_andn2_b64 exec, exec, s[18:19]
	s_cbranch_execz .LBB53_20
.LBB53_5:                               ; =>This Inner Loop Header: Depth=1
	v_add_u32_e32 v3, v8, v0
	v_ashrrev_i32_e32 v4, 31, v3
	v_lshlrev_b64 v[4:5], 2, v[3:4]
	v_cmp_gt_u32_e64 s[0:1], s25, v8
	v_add_co_u32_e32 v12, vcc, s6, v4
	v_addc_co_u32_e32 v13, vcc, v10, v5, vcc
	global_load_dword v16, v[12:13], off
	v_mov_b32_e32 v12, 0
	s_and_saveexec_b64 s[2:3], s[0:1]
	s_cbranch_execz .LBB53_7
; %bb.6:                                ;   in Loop: Header=BB53_5 Depth=1
	v_add_u32_e32 v12, v7, v8
	v_ashrrev_i32_e32 v13, 31, v12
	v_lshlrev_b64 v[12:13], 2, v[12:13]
	v_mov_b32_e32 v1, s13
	v_add_co_u32_e32 v12, vcc, s12, v12
	v_addc_co_u32_e32 v13, vcc, v1, v13, vcc
	global_load_dword v12, v[12:13], off
.LBB53_7:                               ;   in Loop: Header=BB53_5 Depth=1
	s_or_b64 exec, exec, s[2:3]
	v_mov_b32_e32 v13, 0
	v_mov_b32_e32 v14, 0
	s_and_saveexec_b64 s[2:3], s[0:1]
	s_cbranch_execz .LBB53_9
; %bb.8:                                ;   in Loop: Header=BB53_5 Depth=1
	v_add_u32_e32 v14, v7, v8
	v_ashrrev_i32_e32 v15, 31, v14
	v_lshlrev_b64 v[14:15], 2, v[14:15]
	v_mov_b32_e32 v1, s15
	v_add_co_u32_e32 v14, vcc, s14, v14
	v_addc_co_u32_e32 v15, vcc, v1, v15, vcc
	global_load_dword v14, v[14:15], off
.LBB53_9:                               ;   in Loop: Header=BB53_5 Depth=1
	s_or_b64 exec, exec, s[2:3]
	s_and_saveexec_b64 s[2:3], s[0:1]
	s_cbranch_execz .LBB53_11
; %bb.10:                               ;   in Loop: Header=BB53_5 Depth=1
	s_waitcnt vmcnt(1)
	v_add_u32_e32 v17, v7, v8
	v_ashrrev_i32_e32 v18, 31, v17
	v_lshlrev_b64 v[17:18], 2, v[17:18]
	v_mov_b32_e32 v1, s7
	v_add_co_u32_e32 v17, vcc, s6, v17
	v_addc_co_u32_e32 v18, vcc, v1, v18, vcc
	global_load_dword v13, v[17:18], off
.LBB53_11:                              ;   in Loop: Header=BB53_5 Depth=1
	s_or_b64 exec, exec, s[2:3]
	v_cmp_gt_u32_e64 s[2:3], s26, v8
	v_mov_b32_e32 v15, 0
	s_and_saveexec_b64 s[4:5], s[2:3]
	s_cbranch_execz .LBB53_13
; %bb.12:                               ;   in Loop: Header=BB53_5 Depth=1
	s_waitcnt vmcnt(1)
	v_add_u32_e32 v17, v9, v8
	v_ashrrev_i32_e32 v18, 31, v17
	v_lshlrev_b64 v[17:18], 2, v[17:18]
	v_mov_b32_e32 v1, s13
	v_add_co_u32_e32 v17, vcc, s12, v17
	v_addc_co_u32_e32 v18, vcc, v1, v18, vcc
	global_load_dword v15, v[17:18], off
.LBB53_13:                              ;   in Loop: Header=BB53_5 Depth=1
	s_or_b64 exec, exec, s[4:5]
	v_mov_b32_e32 v1, s17
	v_add_co_u32_e32 v4, vcc, s16, v4
	v_addc_co_u32_e32 v5, vcc, v1, v5, vcc
	v_add_u32_e32 v1, s28, v3
	global_load_dword v18, v[4:5], off
	v_lshlrev_b64 v[5:6], 2, v[1:2]
	v_add_u32_e32 v1, s29, v3
	s_waitcnt vmcnt(2)
	v_mov_b32_e32 v17, s9
	v_add_co_u32_e32 v5, vcc, s8, v5
	v_lshlrev_b64 v[3:4], 2, v[1:2]
	v_addc_co_u32_e32 v6, vcc, v17, v6, vcc
	v_add_co_u32_e32 v3, vcc, s8, v3
	v_addc_co_u32_e32 v4, vcc, v17, v4, vcc
	global_load_dword v19, v[5:6], off
	global_load_dword v17, v[3:4], off
	v_cmp_ne_u32_e64 s[4:5], s25, v8
	s_waitcnt vmcnt(2)
	v_cmp_ne_u32_e32 vcc, 1, v18
	s_and_b64 s[4:5], s[4:5], vcc
	v_mul_f32_e32 v18, v16, v12
	s_and_saveexec_b64 s[20:21], s[4:5]
	s_xor_b64 s[4:5], exec, s[20:21]
	s_cbranch_execz .LBB53_17
; %bb.14:                               ;   in Loop: Header=BB53_5 Depth=1
	v_add_u32_e32 v24, v7, v8
	v_add_u32_e32 v1, s28, v24
	v_lshlrev_b64 v[20:21], 2, v[1:2]
	v_mov_b32_e32 v25, s9
	v_add_co_u32_e32 v22, vcc, s8, v20
	v_add_u32_e32 v1, s29, v24
	v_addc_co_u32_e32 v23, vcc, v25, v21, vcc
	v_lshlrev_b64 v[20:21], 2, v[1:2]
	v_fma_f32 v1, v11, v14, -v18
	v_div_scale_f32 v18, s[20:21], v1, v1, 1.0
	v_add_co_u32_e32 v24, vcc, s8, v20
	v_addc_co_u32_e32 v25, vcc, v25, v21, vcc
	v_rcp_f32_e32 v20, v18
	v_fma_f32 v21, -v18, v20, 1.0
	v_fmac_f32_e32 v20, v21, v20
	v_div_scale_f32 v21, vcc, 1.0, v1, 1.0
	v_mul_f32_e32 v26, v21, v20
	v_fma_f32 v27, -v18, v26, v21
	v_fmac_f32_e32 v26, v27, v20
	v_fma_f32 v18, -v18, v26, v21
	v_div_fmas_f32 v18, v18, v20, v26
	global_load_dword v21, v[24:25], off
	v_div_fixup_f32 v18, v18, v1, 1.0
	global_load_dword v1, v[22:23], off
	s_waitcnt vmcnt(3)
	v_mul_f32_e32 v19, v18, v19
	s_waitcnt vmcnt(0)
	v_mul_f32_e32 v20, v18, v1
	v_mul_f32_e32 v1, v16, v20
	v_fma_f32 v1, v14, v19, -v1
	global_store_dword v[5:6], v1, off
	v_mul_f32_e32 v6, v18, v21
	v_mul_f32_e32 v5, v18, v17
	;; [unrolled: 1-line block ×3, first 2 shown]
	v_fma_f32 v1, v14, v5, -v1
	global_store_dword v[3:4], v1, off
	v_mul_f32_e32 v1, v12, v19
	v_fma_f32 v1, v11, v20, -v1
	global_store_dword v[22:23], v1, off
	v_mul_f32_e32 v1, v12, v5
	v_fma_f32 v1, v11, v6, -v1
	global_store_dword v[24:25], v1, off
	v_mov_b32_e32 v1, 0
	s_and_saveexec_b64 s[20:21], s[2:3]
	s_cbranch_execz .LBB53_16
; %bb.15:                               ;   in Loop: Header=BB53_5 Depth=1
	v_add_u32_e32 v3, v9, v8
	v_add_u32_e32 v1, s28, v3
	v_lshlrev_b64 v[16:17], 2, v[1:2]
	v_add_u32_e32 v1, s29, v3
	v_mov_b32_e32 v4, s9
	v_add_co_u32_e32 v16, vcc, s8, v16
	v_lshlrev_b64 v[21:22], 2, v[1:2]
	v_addc_co_u32_e32 v17, vcc, v4, v17, vcc
	v_add_co_u32_e32 v21, vcc, s8, v21
	v_addc_co_u32_e32 v22, vcc, v4, v22, vcc
	v_ashrrev_i32_e32 v4, 31, v3
	v_lshlrev_b64 v[3:4], 2, v[3:4]
	v_mov_b32_e32 v23, s15
	v_add_co_u32_e32 v3, vcc, s14, v3
	global_load_dword v1, v[16:17], off
	global_load_dword v14, v[21:22], off
	v_addc_co_u32_e32 v4, vcc, v23, v4, vcc
	global_load_dword v3, v[3:4], off
	v_mul_f32_e32 v11, v11, v15
	v_mul_f32_e32 v4, v12, v15
	;; [unrolled: 1-line block ×4, first 2 shown]
	v_fma_f32 v12, v4, v19, -v12
	v_fma_f32 v4, v4, v5, -v6
	v_mul_f32_e32 v11, v13, v11
	s_waitcnt vmcnt(2)
	v_add_f32_e32 v1, v12, v1
	global_store_dword v[16:17], v1, off
	s_waitcnt vmcnt(2)
	v_add_f32_e32 v1, v4, v14
	global_store_dword v[21:22], v1, off
	s_waitcnt vmcnt(2)
	v_fma_f32 v1, -v18, v11, v3
.LBB53_16:                              ;   in Loop: Header=BB53_5 Depth=1
	s_or_b64 exec, exec, s[20:21]
	v_mov_b32_e32 v11, v1
                                        ; implicit-def: $vgpr18
                                        ; implicit-def: $vgpr14
                                        ; implicit-def: $vgpr19
                                        ; implicit-def: $vgpr17
                                        ; implicit-def: $vgpr5_vgpr6
                                        ; implicit-def: $vgpr3_vgpr4
                                        ; implicit-def: $vgpr12
.LBB53_17:                              ;   in Loop: Header=BB53_5 Depth=1
	s_or_saveexec_b64 s[2:3], s[4:5]
	v_mov_b32_e32 v1, s27
	s_xor_b64 exec, exec, s[2:3]
	s_cbranch_execz .LBB53_4
; %bb.18:                               ;   in Loop: Header=BB53_5 Depth=1
	v_div_scale_f32 v1, s[4:5], v11, v11, 1.0
	v_div_scale_f32 v13, vcc, 1.0, v11, 1.0
	v_rcp_f32_e32 v15, v1
	v_fma_f32 v16, -v1, v15, 1.0
	v_fmac_f32_e32 v15, v16, v15
	v_mul_f32_e32 v16, v13, v15
	v_fma_f32 v20, -v1, v16, v13
	v_fmac_f32_e32 v16, v20, v15
	v_fma_f32 v1, -v1, v16, v13
	v_div_fmas_f32 v1, v1, v15, v16
	v_div_fixup_f32 v11, v1, v11, 1.0
	s_waitcnt vmcnt(1)
	v_mul_f32_e32 v15, v11, v19
	s_waitcnt vmcnt(0)
	v_mul_f32_e32 v13, v11, v17
	global_store_dword v[5:6], v15, off
	global_store_dword v[3:4], v13, off
	s_and_saveexec_b64 s[4:5], s[0:1]
	s_cbranch_execz .LBB53_3
; %bb.19:                               ;   in Loop: Header=BB53_5 Depth=1
	v_add_u32_e32 v5, v7, v8
	v_add_u32_e32 v1, s28, v5
	v_lshlrev_b64 v[3:4], 2, v[1:2]
	v_add_u32_e32 v1, s29, v5
	v_mov_b32_e32 v16, s9
	v_add_co_u32_e32 v3, vcc, s8, v3
	v_lshlrev_b64 v[5:6], 2, v[1:2]
	v_addc_co_u32_e32 v4, vcc, v16, v4, vcc
	v_add_co_u32_e32 v5, vcc, s8, v5
	v_addc_co_u32_e32 v6, vcc, v16, v6, vcc
	global_load_dword v17, v[3:4], off
	global_load_dword v1, v[5:6], off
	s_waitcnt vmcnt(1)
	v_fma_f32 v15, -v12, v15, v17
	s_waitcnt vmcnt(0)
	v_fma_f32 v1, -v12, v13, v1
	global_store_dword v[3:4], v15, off
	global_store_dword v[5:6], v1, off
	s_branch .LBB53_3
.LBB53_20:
	s_or_b64 exec, exec, s[18:19]
	s_branch .LBB53_22
.LBB53_21:
	v_mov_b32_e32 v8, 0
.LBB53_22:
	v_subrev_u32_e32 v3, s22, v8
	v_add_u32_e32 v1, v3, v0
	v_ashrrev_i32_e32 v2, 31, v1
	v_lshlrev_b64 v[1:2], 2, v[1:2]
	s_waitcnt lgkmcnt(0)
	v_mov_b32_e32 v4, s17
	v_add_co_u32_e32 v1, vcc, s16, v1
	v_addc_co_u32_e32 v2, vcc, v4, v2, vcc
	s_waitcnt vmcnt(0)
	buffer_wbinvl1_vol
	global_load_dword v1, v[1:2], off
	s_waitcnt vmcnt(0)
	v_mul_lo_u32 v1, v1, s22
	v_sub_u32_e32 v5, v3, v1
	v_cmp_lt_i32_e32 vcc, -1, v5
	s_and_b64 exec, exec, vcc
	s_cbranch_execz .LBB53_29
; %bb.23:
	s_lshl_b32 s4, s24, 1
	s_add_i32 s5, s4, s23
	s_lshl_b32 s6, s22, 1
	s_mov_b64 s[0:1], 0
	v_mov_b32_e32 v6, s17
	v_mov_b32_e32 v8, s11
	;; [unrolled: 1-line block ×3, first 2 shown]
	s_branch .LBB53_25
.LBB53_24:                              ;   in Loop: Header=BB53_25 Depth=1
	s_or_b64 exec, exec, s[2:3]
	v_sub_u32_e32 v5, v5, v1
	v_cmp_gt_i32_e32 vcc, 0, v5
	s_or_b64 s[0:1], vcc, s[0:1]
	s_andn2_b64 exec, exec, s[0:1]
	s_cbranch_execz .LBB53_29
.LBB53_25:                              ; =>This Inner Loop Header: Depth=1
	v_add_u32_e32 v3, v5, v0
	s_waitcnt vmcnt(0)
	v_ashrrev_i32_e32 v4, 31, v3
	v_lshlrev_b64 v[9:10], 2, v[3:4]
	v_add_co_u32_e32 v11, vcc, s16, v9
	v_addc_co_u32_e32 v12, vcc, v6, v10, vcc
	v_add_co_u32_e32 v9, vcc, s10, v9
	global_load_dword v1, v[11:12], off
	v_addc_co_u32_e32 v10, vcc, v8, v10, vcc
	global_load_dword v4, v[9:10], off
	s_waitcnt vmcnt(1)
	v_cmp_ne_u32_e32 vcc, 1, v1
	s_and_saveexec_b64 s[2:3], vcc
	s_xor_b64 s[2:3], exec, s[2:3]
	s_cbranch_execz .LBB53_27
; %bb.26:                               ;   in Loop: Header=BB53_25 Depth=1
	v_add_u32_e32 v11, v7, v5
	v_add_u32_e32 v1, s4, v11
	v_lshlrev_b64 v[9:10], 2, v[1:2]
	v_mov_b32_e32 v1, s9
	v_add_co_u32_e32 v9, vcc, s8, v9
	v_addc_co_u32_e32 v10, vcc, v1, v10, vcc
	v_add_u32_e32 v1, s5, v11
	v_lshlrev_b64 v[11:12], 2, v[1:2]
	v_add_u32_e32 v1, s4, v3
	v_lshlrev_b64 v[13:14], 2, v[1:2]
	v_mov_b32_e32 v1, s9
	v_add_co_u32_e32 v13, vcc, s8, v13
	v_addc_co_u32_e32 v14, vcc, v1, v14, vcc
	global_load_dword v15, v[9:10], off
	global_load_dword v16, v[13:14], off
	v_add_co_u32_e32 v9, vcc, s8, v11
	v_addc_co_u32_e32 v10, vcc, v1, v12, vcc
	v_add_u32_e32 v1, s5, v3
	global_load_dword v17, v[9:10], off
	v_lshlrev_b64 v[9:10], 2, v[1:2]
	v_mov_b32_e32 v11, s9
	v_add_co_u32_e32 v9, vcc, s8, v9
	v_addc_co_u32_e32 v10, vcc, v11, v10, vcc
	s_waitcnt vmcnt(1)
	v_fma_f32 v1, -v4, v15, v16
	global_store_dword v[13:14], v1, off
	global_load_dword v3, v[9:10], off
	v_subrev_u32_e32 v1, s22, v5
	v_add_u32_e32 v11, v1, v0
	v_ashrrev_i32_e32 v12, 31, v11
	v_lshlrev_b64 v[12:13], 2, v[11:12]
	v_add_u32_e32 v1, s4, v11
	v_add_co_u32_e32 v12, vcc, s10, v12
	v_addc_co_u32_e32 v13, vcc, v8, v13, vcc
	global_load_dword v16, v[12:13], off
	v_lshlrev_b64 v[12:13], 2, v[1:2]
	v_mov_b32_e32 v14, s9
	v_add_co_u32_e32 v12, vcc, s8, v12
	v_addc_co_u32_e32 v13, vcc, v14, v13, vcc
	s_waitcnt vmcnt(1)
	v_fma_f32 v1, -v4, v17, v3
	global_store_dword v[9:10], v1, off
	global_load_dword v9, v[12:13], off
	v_add_u32_e32 v1, s5, v11
	v_lshlrev_b64 v[3:4], 2, v[1:2]
	v_mov_b32_e32 v10, s9
	v_add_co_u32_e32 v3, vcc, s8, v3
	v_addc_co_u32_e32 v4, vcc, v10, v4, vcc
	s_waitcnt vmcnt(0)
	v_fma_f32 v1, -v16, v15, v9
	global_store_dword v[12:13], v1, off
	global_load_dword v1, v[3:4], off
	s_waitcnt vmcnt(0)
	v_fma_f32 v1, -v16, v17, v1
	global_store_dword v[3:4], v1, off
                                        ; implicit-def: $vgpr3
                                        ; implicit-def: $vgpr4
.LBB53_27:                              ;   in Loop: Header=BB53_25 Depth=1
	s_or_saveexec_b64 s[2:3], s[2:3]
	v_mov_b32_e32 v1, s6
	s_xor_b64 exec, exec, s[2:3]
	s_cbranch_execz .LBB53_24
; %bb.28:                               ;   in Loop: Header=BB53_25 Depth=1
	v_add_u32_e32 v13, v7, v5
	v_add_u32_e32 v1, s4, v13
	v_lshlrev_b64 v[9:10], 2, v[1:2]
	v_mov_b32_e32 v1, s9
	v_add_co_u32_e32 v9, vcc, s8, v9
	v_addc_co_u32_e32 v10, vcc, v1, v10, vcc
	v_add_u32_e32 v1, s4, v3
	v_lshlrev_b64 v[11:12], 2, v[1:2]
	v_mov_b32_e32 v1, s9
	v_add_co_u32_e32 v11, vcc, s8, v11
	v_addc_co_u32_e32 v12, vcc, v1, v12, vcc
	global_load_dword v15, v[9:10], off
	global_load_dword v16, v[11:12], off
	v_add_u32_e32 v1, s5, v13
	v_lshlrev_b64 v[9:10], 2, v[1:2]
	v_add_u32_e32 v1, s5, v3
	v_mov_b32_e32 v17, s9
	v_lshlrev_b64 v[13:14], 2, v[1:2]
	v_add_co_u32_e32 v9, vcc, s8, v9
	v_addc_co_u32_e32 v10, vcc, v17, v10, vcc
	v_mov_b32_e32 v18, s9
	v_add_co_u32_e32 v13, vcc, s8, v13
	v_addc_co_u32_e32 v14, vcc, v18, v14, vcc
	s_waitcnt vmcnt(0)
	v_fma_f32 v1, -v4, v15, v16
	global_store_dword v[11:12], v1, off
	global_load_dword v1, v[9:10], off
	s_nop 0
	global_load_dword v3, v[13:14], off
	s_waitcnt vmcnt(0)
	v_fma_f32 v1, -v4, v1, v3
	global_store_dword v[13:14], v1, off
	v_mov_b32_e32 v1, s22
	s_branch .LBB53_24
.LBB53_29:
	s_endpgm
	.section	.rodata,"a",@progbits
	.p2align	6, 0x0
	.amdhsa_kernel _ZN9rocsparseL19gtsv_LBM_rhs_kernelILj256ELj32ELj2EfEEviiiPKT2_S3_S3_PS1_S3_PKi
		.amdhsa_group_segment_fixed_size 0
		.amdhsa_private_segment_fixed_size 0
		.amdhsa_kernarg_size 64
		.amdhsa_user_sgpr_count 6
		.amdhsa_user_sgpr_private_segment_buffer 1
		.amdhsa_user_sgpr_dispatch_ptr 0
		.amdhsa_user_sgpr_queue_ptr 0
		.amdhsa_user_sgpr_kernarg_segment_ptr 1
		.amdhsa_user_sgpr_dispatch_id 0
		.amdhsa_user_sgpr_flat_scratch_init 0
		.amdhsa_user_sgpr_private_segment_size 0
		.amdhsa_uses_dynamic_stack 0
		.amdhsa_system_sgpr_private_segment_wavefront_offset 0
		.amdhsa_system_sgpr_workgroup_id_x 1
		.amdhsa_system_sgpr_workgroup_id_y 1
		.amdhsa_system_sgpr_workgroup_id_z 0
		.amdhsa_system_sgpr_workgroup_info 0
		.amdhsa_system_vgpr_workitem_id 0
		.amdhsa_next_free_vgpr 28
		.amdhsa_next_free_sgpr 30
		.amdhsa_reserve_vcc 1
		.amdhsa_reserve_flat_scratch 0
		.amdhsa_float_round_mode_32 0
		.amdhsa_float_round_mode_16_64 0
		.amdhsa_float_denorm_mode_32 3
		.amdhsa_float_denorm_mode_16_64 3
		.amdhsa_dx10_clamp 1
		.amdhsa_ieee_mode 1
		.amdhsa_fp16_overflow 0
		.amdhsa_exception_fp_ieee_invalid_op 0
		.amdhsa_exception_fp_denorm_src 0
		.amdhsa_exception_fp_ieee_div_zero 0
		.amdhsa_exception_fp_ieee_overflow 0
		.amdhsa_exception_fp_ieee_underflow 0
		.amdhsa_exception_fp_ieee_inexact 0
		.amdhsa_exception_int_div_zero 0
	.end_amdhsa_kernel
	.section	.text._ZN9rocsparseL19gtsv_LBM_rhs_kernelILj256ELj32ELj2EfEEviiiPKT2_S3_S3_PS1_S3_PKi,"axG",@progbits,_ZN9rocsparseL19gtsv_LBM_rhs_kernelILj256ELj32ELj2EfEEviiiPKT2_S3_S3_PS1_S3_PKi,comdat
.Lfunc_end53:
	.size	_ZN9rocsparseL19gtsv_LBM_rhs_kernelILj256ELj32ELj2EfEEviiiPKT2_S3_S3_PS1_S3_PKi, .Lfunc_end53-_ZN9rocsparseL19gtsv_LBM_rhs_kernelILj256ELj32ELj2EfEEviiiPKT2_S3_S3_PS1_S3_PKi
                                        ; -- End function
	.set _ZN9rocsparseL19gtsv_LBM_rhs_kernelILj256ELj32ELj2EfEEviiiPKT2_S3_S3_PS1_S3_PKi.num_vgpr, 28
	.set _ZN9rocsparseL19gtsv_LBM_rhs_kernelILj256ELj32ELj2EfEEviiiPKT2_S3_S3_PS1_S3_PKi.num_agpr, 0
	.set _ZN9rocsparseL19gtsv_LBM_rhs_kernelILj256ELj32ELj2EfEEviiiPKT2_S3_S3_PS1_S3_PKi.numbered_sgpr, 30
	.set _ZN9rocsparseL19gtsv_LBM_rhs_kernelILj256ELj32ELj2EfEEviiiPKT2_S3_S3_PS1_S3_PKi.num_named_barrier, 0
	.set _ZN9rocsparseL19gtsv_LBM_rhs_kernelILj256ELj32ELj2EfEEviiiPKT2_S3_S3_PS1_S3_PKi.private_seg_size, 0
	.set _ZN9rocsparseL19gtsv_LBM_rhs_kernelILj256ELj32ELj2EfEEviiiPKT2_S3_S3_PS1_S3_PKi.uses_vcc, 1
	.set _ZN9rocsparseL19gtsv_LBM_rhs_kernelILj256ELj32ELj2EfEEviiiPKT2_S3_S3_PS1_S3_PKi.uses_flat_scratch, 0
	.set _ZN9rocsparseL19gtsv_LBM_rhs_kernelILj256ELj32ELj2EfEEviiiPKT2_S3_S3_PS1_S3_PKi.has_dyn_sized_stack, 0
	.set _ZN9rocsparseL19gtsv_LBM_rhs_kernelILj256ELj32ELj2EfEEviiiPKT2_S3_S3_PS1_S3_PKi.has_recursion, 0
	.set _ZN9rocsparseL19gtsv_LBM_rhs_kernelILj256ELj32ELj2EfEEviiiPKT2_S3_S3_PS1_S3_PKi.has_indirect_call, 0
	.section	.AMDGPU.csdata,"",@progbits
; Kernel info:
; codeLenInByte = 2004
; TotalNumSgprs: 34
; NumVgprs: 28
; ScratchSize: 0
; MemoryBound: 0
; FloatMode: 240
; IeeeMode: 1
; LDSByteSize: 0 bytes/workgroup (compile time only)
; SGPRBlocks: 4
; VGPRBlocks: 6
; NumSGPRsForWavesPerEU: 34
; NumVGPRsForWavesPerEU: 28
; Occupancy: 9
; WaveLimiterHint : 0
; COMPUTE_PGM_RSRC2:SCRATCH_EN: 0
; COMPUTE_PGM_RSRC2:USER_SGPR: 6
; COMPUTE_PGM_RSRC2:TRAP_HANDLER: 0
; COMPUTE_PGM_RSRC2:TGID_X_EN: 1
; COMPUTE_PGM_RSRC2:TGID_Y_EN: 1
; COMPUTE_PGM_RSRC2:TGID_Z_EN: 0
; COMPUTE_PGM_RSRC2:TIDIG_COMP_CNT: 0
	.section	.text._ZN9rocsparseL19gtsv_LBM_rhs_kernelILj256ELj32ELj1EfEEviiiPKT2_S3_S3_PS1_S3_PKi,"axG",@progbits,_ZN9rocsparseL19gtsv_LBM_rhs_kernelILj256ELj32ELj1EfEEviiiPKT2_S3_S3_PS1_S3_PKi,comdat
	.globl	_ZN9rocsparseL19gtsv_LBM_rhs_kernelILj256ELj32ELj1EfEEviiiPKT2_S3_S3_PS1_S3_PKi ; -- Begin function _ZN9rocsparseL19gtsv_LBM_rhs_kernelILj256ELj32ELj1EfEEviiiPKT2_S3_S3_PS1_S3_PKi
	.p2align	8
	.type	_ZN9rocsparseL19gtsv_LBM_rhs_kernelILj256ELj32ELj1EfEEviiiPKT2_S3_S3_PS1_S3_PKi,@function
_ZN9rocsparseL19gtsv_LBM_rhs_kernelILj256ELj32ELj1EfEEviiiPKT2_S3_S3_PS1_S3_PKi: ; @_ZN9rocsparseL19gtsv_LBM_rhs_kernelILj256ELj32ELj1EfEEviiiPKT2_S3_S3_PS1_S3_PKi
; %bb.0:
	s_load_dword s24, s[4:5], 0x0
	v_lshl_or_b32 v0, s6, 8, v0
	s_waitcnt lgkmcnt(0)
	s_lshr_b32 s22, s24, 5
	v_cmp_gt_i32_e32 vcc, s22, v0
	s_and_saveexec_b64 s[0:1], vcc
	s_cbranch_execz .LBB54_29
; %bb.1:
	s_load_dwordx4 s[8:11], s[4:5], 0x28
	s_load_dwordx2 s[16:17], s[4:5], 0x38
	s_cmp_lt_i32 s24, 1
	s_mul_i32 s23, s24, s7
	s_cbranch_scc1 .LBB54_21
; %bb.2:
	s_load_dwordx4 s[12:15], s[4:5], 0x10
	s_load_dwordx2 s[6:7], s[4:5], 0x20
	v_ashrrev_i32_e32 v1, 31, v0
	v_lshlrev_b64 v[1:2], 2, v[0:1]
	v_add_u32_e32 v9, s22, v0
	s_waitcnt lgkmcnt(0)
	v_mov_b32_e32 v3, s15
	v_add_co_u32_e32 v1, vcc, s14, v1
	v_addc_co_u32_e32 v2, vcc, v3, v2, vcc
	global_load_dword v13, v[1:2], off
	s_mul_i32 s25, s22, 31
	s_mul_i32 s26, s22, 30
	s_lshl_b32 s27, s22, 1
	v_add_u32_e32 v10, s22, v9
	v_add_u32_e32 v11, s23, v9
	v_mov_b32_e32 v2, 0
	s_mov_b64 s[18:19], 0
	v_mov_b32_e32 v12, s7
	v_mov_b32_e32 v8, 0
	s_branch .LBB54_5
.LBB54_3:                               ;   in Loop: Header=BB54_5 Depth=1
	s_or_b64 exec, exec, s[4:5]
	v_fma_f32 v13, -v6, v5, v16
	v_mov_b32_e32 v6, s22
.LBB54_4:                               ;   in Loop: Header=BB54_5 Depth=1
	s_or_b64 exec, exec, s[2:3]
	v_add_u32_e32 v8, v6, v8
	v_cmp_le_i32_e32 vcc, s24, v8
	s_or_b64 s[18:19], vcc, s[18:19]
	s_andn2_b64 exec, exec, s[18:19]
	s_cbranch_execz .LBB54_20
.LBB54_5:                               ; =>This Inner Loop Header: Depth=1
	v_add_u32_e32 v3, v8, v0
	v_ashrrev_i32_e32 v4, 31, v3
	v_lshlrev_b64 v[4:5], 2, v[3:4]
	v_cmp_gt_u32_e64 s[0:1], s25, v8
	v_add_co_u32_e32 v6, vcc, s6, v4
	v_addc_co_u32_e32 v7, vcc, v12, v5, vcc
	global_load_dword v17, v[6:7], off
	v_add_u32_e32 v6, v9, v8
	v_mov_b32_e32 v14, 0
	s_and_saveexec_b64 s[2:3], s[0:1]
	s_cbranch_execz .LBB54_7
; %bb.6:                                ;   in Loop: Header=BB54_5 Depth=1
	v_ashrrev_i32_e32 v7, 31, v6
	v_lshlrev_b64 v[14:15], 2, v[6:7]
	s_waitcnt vmcnt(1)
	v_mov_b32_e32 v1, s13
	v_add_co_u32_e32 v14, vcc, s12, v14
	v_addc_co_u32_e32 v15, vcc, v1, v15, vcc
	global_load_dword v14, v[14:15], off
.LBB54_7:                               ;   in Loop: Header=BB54_5 Depth=1
	s_or_b64 exec, exec, s[2:3]
	v_mov_b32_e32 v15, 0
	v_mov_b32_e32 v16, 0
	s_and_saveexec_b64 s[2:3], s[0:1]
	s_cbranch_execz .LBB54_9
; %bb.8:                                ;   in Loop: Header=BB54_5 Depth=1
	v_ashrrev_i32_e32 v7, 31, v6
	v_lshlrev_b64 v[18:19], 2, v[6:7]
	s_waitcnt vmcnt(1)
	v_mov_b32_e32 v1, s15
	v_add_co_u32_e32 v18, vcc, s14, v18
	v_addc_co_u32_e32 v19, vcc, v1, v19, vcc
	global_load_dword v16, v[18:19], off
.LBB54_9:                               ;   in Loop: Header=BB54_5 Depth=1
	s_or_b64 exec, exec, s[2:3]
	s_and_saveexec_b64 s[2:3], s[0:1]
	s_cbranch_execz .LBB54_11
; %bb.10:                               ;   in Loop: Header=BB54_5 Depth=1
	v_ashrrev_i32_e32 v7, 31, v6
	v_lshlrev_b64 v[6:7], 2, v[6:7]
	s_waitcnt vmcnt(1)
	v_mov_b32_e32 v1, s7
	v_add_co_u32_e32 v6, vcc, s6, v6
	v_addc_co_u32_e32 v7, vcc, v1, v7, vcc
	global_load_dword v15, v[6:7], off
.LBB54_11:                              ;   in Loop: Header=BB54_5 Depth=1
	s_or_b64 exec, exec, s[2:3]
	v_cmp_gt_u32_e64 s[2:3], s26, v8
	v_mov_b32_e32 v6, 0
	s_and_saveexec_b64 s[4:5], s[2:3]
	s_cbranch_execz .LBB54_13
; %bb.12:                               ;   in Loop: Header=BB54_5 Depth=1
	v_add_u32_e32 v6, v10, v8
	v_ashrrev_i32_e32 v7, 31, v6
	v_lshlrev_b64 v[6:7], 2, v[6:7]
	s_waitcnt vmcnt(1)
	v_mov_b32_e32 v1, s13
	v_add_co_u32_e32 v6, vcc, s12, v6
	v_addc_co_u32_e32 v7, vcc, v1, v7, vcc
	global_load_dword v6, v[6:7], off
.LBB54_13:                              ;   in Loop: Header=BB54_5 Depth=1
	s_or_b64 exec, exec, s[4:5]
	s_waitcnt vmcnt(1)
	v_mov_b32_e32 v1, s17
	v_add_co_u32_e32 v4, vcc, s16, v4
	v_addc_co_u32_e32 v5, vcc, v1, v5, vcc
	v_add_u32_e32 v1, s23, v3
	global_load_dword v5, v[4:5], off
	v_lshlrev_b64 v[3:4], 2, v[1:2]
	v_mov_b32_e32 v1, s9
	v_add_co_u32_e32 v3, vcc, s8, v3
	v_addc_co_u32_e32 v4, vcc, v1, v4, vcc
	global_load_dword v1, v[3:4], off
	v_cmp_ne_u32_e32 vcc, s25, v8
	s_waitcnt vmcnt(1)
	v_cmp_ne_u32_e64 s[4:5], 1, v5
	s_and_b64 s[4:5], vcc, s[4:5]
	v_mul_f32_e32 v5, v17, v14
	s_and_saveexec_b64 s[20:21], s[4:5]
	s_xor_b64 s[4:5], exec, s[20:21]
	s_cbranch_execz .LBB54_17
; %bb.14:                               ;   in Loop: Header=BB54_5 Depth=1
	v_fma_f32 v5, v13, v16, -v5
	v_div_scale_f32 v7, s[20:21], v5, v5, 1.0
	v_rcp_f32_e32 v18, v7
	v_fma_f32 v19, -v7, v18, 1.0
	v_fmac_f32_e32 v18, v19, v18
	v_div_scale_f32 v19, vcc, 1.0, v5, 1.0
	v_mul_f32_e32 v20, v19, v18
	v_fma_f32 v21, -v7, v20, v19
	v_fmac_f32_e32 v20, v21, v18
	v_fma_f32 v7, -v7, v20, v19
	v_div_fmas_f32 v7, v7, v18, v20
	v_div_fixup_f32 v5, v7, v5, 1.0
	s_waitcnt vmcnt(0)
	v_mul_f32_e32 v7, v5, v1
	v_add_u32_e32 v1, v11, v8
	v_lshlrev_b64 v[18:19], 2, v[1:2]
	v_mov_b32_e32 v1, s9
	v_add_co_u32_e32 v20, vcc, s8, v18
	v_addc_co_u32_e32 v21, vcc, v1, v19, vcc
	global_load_dword v1, v[20:21], off
	s_waitcnt vmcnt(0)
	v_mul_f32_e32 v18, v5, v1
	v_mul_f32_e32 v1, v17, v18
	v_fma_f32 v1, v16, v7, -v1
	global_store_dword v[3:4], v1, off
	v_mul_f32_e32 v1, v14, v7
	v_fma_f32 v1, v13, v18, -v1
	global_store_dword v[20:21], v1, off
	v_mov_b32_e32 v1, 0
	s_and_saveexec_b64 s[20:21], s[2:3]
	s_cbranch_execz .LBB54_16
; %bb.15:                               ;   in Loop: Header=BB54_5 Depth=1
	v_add_u32_e32 v3, v10, v8
	v_add_u32_e32 v1, s23, v3
	v_lshlrev_b64 v[16:17], 2, v[1:2]
	v_ashrrev_i32_e32 v4, 31, v3
	v_mov_b32_e32 v1, s9
	v_add_co_u32_e32 v16, vcc, s8, v16
	v_lshlrev_b64 v[3:4], 2, v[3:4]
	v_addc_co_u32_e32 v17, vcc, v1, v17, vcc
	v_mov_b32_e32 v19, s15
	v_add_co_u32_e32 v3, vcc, s14, v3
	global_load_dword v1, v[16:17], off
	v_addc_co_u32_e32 v4, vcc, v19, v4, vcc
	global_load_dword v3, v[3:4], off
	v_mul_f32_e32 v4, v14, v6
	v_mul_f32_e32 v6, v13, v6
	;; [unrolled: 1-line block ×3, first 2 shown]
	v_fma_f32 v4, v4, v7, -v13
	v_mul_f32_e32 v6, v15, v6
	s_waitcnt vmcnt(1)
	v_add_f32_e32 v1, v4, v1
	global_store_dword v[16:17], v1, off
	s_waitcnt vmcnt(1)
	v_fma_f32 v1, -v5, v6, v3
.LBB54_16:                              ;   in Loop: Header=BB54_5 Depth=1
	s_or_b64 exec, exec, s[20:21]
	v_mov_b32_e32 v13, v1
                                        ; implicit-def: $vgpr5
                                        ; implicit-def: $vgpr16
                                        ; implicit-def: $vgpr1
                                        ; implicit-def: $vgpr3_vgpr4
                                        ; implicit-def: $vgpr14
.LBB54_17:                              ;   in Loop: Header=BB54_5 Depth=1
	s_or_saveexec_b64 s[2:3], s[4:5]
	v_mov_b32_e32 v6, s27
	s_xor_b64 exec, exec, s[2:3]
	s_cbranch_execz .LBB54_4
; %bb.18:                               ;   in Loop: Header=BB54_5 Depth=1
	v_div_scale_f32 v6, s[4:5], v13, v13, 1.0
	v_div_scale_f32 v7, vcc, 1.0, v13, 1.0
	v_rcp_f32_e32 v15, v6
	v_fma_f32 v17, -v6, v15, 1.0
	v_fmac_f32_e32 v15, v17, v15
	v_mul_f32_e32 v17, v7, v15
	v_fma_f32 v18, -v6, v17, v7
	v_fmac_f32_e32 v17, v18, v15
	v_fma_f32 v6, -v6, v17, v7
	v_div_fmas_f32 v6, v6, v15, v17
	v_div_fixup_f32 v6, v6, v13, 1.0
	s_waitcnt vmcnt(0)
	v_mul_f32_e32 v7, v6, v1
	global_store_dword v[3:4], v7, off
	s_and_saveexec_b64 s[4:5], s[0:1]
	s_cbranch_execz .LBB54_3
; %bb.19:                               ;   in Loop: Header=BB54_5 Depth=1
	v_add_u32_e32 v1, v11, v8
	v_lshlrev_b64 v[3:4], 2, v[1:2]
	v_mov_b32_e32 v1, s9
	v_add_co_u32_e32 v3, vcc, s8, v3
	v_addc_co_u32_e32 v4, vcc, v1, v4, vcc
	global_load_dword v1, v[3:4], off
	s_waitcnt vmcnt(0)
	v_fma_f32 v1, -v14, v7, v1
	global_store_dword v[3:4], v1, off
	s_branch .LBB54_3
.LBB54_20:
	s_or_b64 exec, exec, s[18:19]
	s_branch .LBB54_22
.LBB54_21:
	v_mov_b32_e32 v8, 0
.LBB54_22:
	v_subrev_u32_e32 v3, s22, v8
	s_waitcnt vmcnt(0)
	v_add_u32_e32 v1, v3, v0
	v_ashrrev_i32_e32 v2, 31, v1
	v_lshlrev_b64 v[1:2], 2, v[1:2]
	s_waitcnt lgkmcnt(0)
	v_mov_b32_e32 v4, s17
	v_add_co_u32_e32 v1, vcc, s16, v1
	v_addc_co_u32_e32 v2, vcc, v4, v2, vcc
	buffer_wbinvl1_vol
	global_load_dword v1, v[1:2], off
	s_waitcnt vmcnt(0)
	v_mul_lo_u32 v1, v1, s22
	v_sub_u32_e32 v5, v3, v1
	v_cmp_lt_i32_e32 vcc, -1, v5
	s_and_b64 exec, exec, vcc
	s_cbranch_execz .LBB54_29
; %bb.23:
	s_add_i32 s0, s23, s22
	v_add_u32_e32 v6, s0, v0
	s_lshl_b32 s4, s22, 1
	s_mov_b64 s[0:1], 0
	v_mov_b32_e32 v7, s17
	v_mov_b32_e32 v8, s11
	;; [unrolled: 1-line block ×3, first 2 shown]
	s_branch .LBB54_25
.LBB54_24:                              ;   in Loop: Header=BB54_25 Depth=1
	s_or_b64 exec, exec, s[2:3]
	v_sub_u32_e32 v5, v5, v1
	v_cmp_gt_i32_e32 vcc, 0, v5
	s_or_b64 s[0:1], vcc, s[0:1]
	s_andn2_b64 exec, exec, s[0:1]
	s_cbranch_execz .LBB54_29
.LBB54_25:                              ; =>This Inner Loop Header: Depth=1
	v_add_u32_e32 v3, v5, v0
	s_waitcnt vmcnt(0)
	v_ashrrev_i32_e32 v4, 31, v3
	v_lshlrev_b64 v[9:10], 2, v[3:4]
	v_add_co_u32_e32 v11, vcc, s16, v9
	v_addc_co_u32_e32 v12, vcc, v7, v10, vcc
	v_add_co_u32_e32 v9, vcc, s10, v9
	global_load_dword v1, v[11:12], off
	v_addc_co_u32_e32 v10, vcc, v8, v10, vcc
	global_load_dword v4, v[9:10], off
	s_waitcnt vmcnt(1)
	v_cmp_ne_u32_e32 vcc, 1, v1
	s_and_saveexec_b64 s[2:3], vcc
	s_xor_b64 s[2:3], exec, s[2:3]
	s_cbranch_execz .LBB54_27
; %bb.26:                               ;   in Loop: Header=BB54_25 Depth=1
	v_add_u32_e32 v1, v6, v5
	v_lshlrev_b64 v[9:10], 2, v[1:2]
	v_mov_b32_e32 v1, s9
	v_add_co_u32_e32 v9, vcc, s8, v9
	v_addc_co_u32_e32 v10, vcc, v1, v10, vcc
	v_add_u32_e32 v1, s23, v3
	v_lshlrev_b64 v[11:12], 2, v[1:2]
	v_mov_b32_e32 v1, s9
	v_add_co_u32_e32 v11, vcc, s8, v11
	v_addc_co_u32_e32 v12, vcc, v1, v12, vcc
	global_load_dword v15, v[9:10], off
	global_load_dword v3, v[11:12], off
	v_subrev_u32_e32 v1, s22, v5
	v_add_u32_e32 v9, v1, v0
	v_ashrrev_i32_e32 v10, 31, v9
	v_add_u32_e32 v1, s23, v9
	v_lshlrev_b64 v[9:10], 2, v[9:10]
	v_lshlrev_b64 v[13:14], 2, v[1:2]
	v_add_co_u32_e32 v9, vcc, s10, v9
	v_addc_co_u32_e32 v10, vcc, v8, v10, vcc
	v_mov_b32_e32 v16, s9
	global_load_dword v1, v[9:10], off
	s_waitcnt vmcnt(1)
	v_fma_f32 v3, -v4, v15, v3
	global_store_dword v[11:12], v3, off
	v_add_co_u32_e32 v3, vcc, s8, v13
	v_addc_co_u32_e32 v4, vcc, v16, v14, vcc
	global_load_dword v9, v[3:4], off
	s_waitcnt vmcnt(0)
	v_fma_f32 v1, -v1, v15, v9
	global_store_dword v[3:4], v1, off
                                        ; implicit-def: $vgpr3
                                        ; implicit-def: $vgpr4
.LBB54_27:                              ;   in Loop: Header=BB54_25 Depth=1
	s_or_saveexec_b64 s[2:3], s[2:3]
	v_mov_b32_e32 v1, s4
	s_xor_b64 exec, exec, s[2:3]
	s_cbranch_execz .LBB54_24
; %bb.28:                               ;   in Loop: Header=BB54_25 Depth=1
	v_add_u32_e32 v1, v6, v5
	v_lshlrev_b64 v[9:10], 2, v[1:2]
	v_mov_b32_e32 v1, s9
	v_add_co_u32_e32 v9, vcc, s8, v9
	v_addc_co_u32_e32 v10, vcc, v1, v10, vcc
	v_add_u32_e32 v1, s23, v3
	v_lshlrev_b64 v[11:12], 2, v[1:2]
	v_mov_b32_e32 v1, s9
	v_add_co_u32_e32 v11, vcc, s8, v11
	v_addc_co_u32_e32 v12, vcc, v1, v12, vcc
	global_load_dword v1, v[9:10], off
	global_load_dword v3, v[11:12], off
	s_waitcnt vmcnt(0)
	v_fma_f32 v1, -v4, v1, v3
	global_store_dword v[11:12], v1, off
	v_mov_b32_e32 v1, s22
	s_branch .LBB54_24
.LBB54_29:
	s_endpgm
	.section	.rodata,"a",@progbits
	.p2align	6, 0x0
	.amdhsa_kernel _ZN9rocsparseL19gtsv_LBM_rhs_kernelILj256ELj32ELj1EfEEviiiPKT2_S3_S3_PS1_S3_PKi
		.amdhsa_group_segment_fixed_size 0
		.amdhsa_private_segment_fixed_size 0
		.amdhsa_kernarg_size 64
		.amdhsa_user_sgpr_count 6
		.amdhsa_user_sgpr_private_segment_buffer 1
		.amdhsa_user_sgpr_dispatch_ptr 0
		.amdhsa_user_sgpr_queue_ptr 0
		.amdhsa_user_sgpr_kernarg_segment_ptr 1
		.amdhsa_user_sgpr_dispatch_id 0
		.amdhsa_user_sgpr_flat_scratch_init 0
		.amdhsa_user_sgpr_private_segment_size 0
		.amdhsa_uses_dynamic_stack 0
		.amdhsa_system_sgpr_private_segment_wavefront_offset 0
		.amdhsa_system_sgpr_workgroup_id_x 1
		.amdhsa_system_sgpr_workgroup_id_y 1
		.amdhsa_system_sgpr_workgroup_id_z 0
		.amdhsa_system_sgpr_workgroup_info 0
		.amdhsa_system_vgpr_workitem_id 0
		.amdhsa_next_free_vgpr 22
		.amdhsa_next_free_sgpr 28
		.amdhsa_reserve_vcc 1
		.amdhsa_reserve_flat_scratch 0
		.amdhsa_float_round_mode_32 0
		.amdhsa_float_round_mode_16_64 0
		.amdhsa_float_denorm_mode_32 3
		.amdhsa_float_denorm_mode_16_64 3
		.amdhsa_dx10_clamp 1
		.amdhsa_ieee_mode 1
		.amdhsa_fp16_overflow 0
		.amdhsa_exception_fp_ieee_invalid_op 0
		.amdhsa_exception_fp_denorm_src 0
		.amdhsa_exception_fp_ieee_div_zero 0
		.amdhsa_exception_fp_ieee_overflow 0
		.amdhsa_exception_fp_ieee_underflow 0
		.amdhsa_exception_fp_ieee_inexact 0
		.amdhsa_exception_int_div_zero 0
	.end_amdhsa_kernel
	.section	.text._ZN9rocsparseL19gtsv_LBM_rhs_kernelILj256ELj32ELj1EfEEviiiPKT2_S3_S3_PS1_S3_PKi,"axG",@progbits,_ZN9rocsparseL19gtsv_LBM_rhs_kernelILj256ELj32ELj1EfEEviiiPKT2_S3_S3_PS1_S3_PKi,comdat
.Lfunc_end54:
	.size	_ZN9rocsparseL19gtsv_LBM_rhs_kernelILj256ELj32ELj1EfEEviiiPKT2_S3_S3_PS1_S3_PKi, .Lfunc_end54-_ZN9rocsparseL19gtsv_LBM_rhs_kernelILj256ELj32ELj1EfEEviiiPKT2_S3_S3_PS1_S3_PKi
                                        ; -- End function
	.set _ZN9rocsparseL19gtsv_LBM_rhs_kernelILj256ELj32ELj1EfEEviiiPKT2_S3_S3_PS1_S3_PKi.num_vgpr, 22
	.set _ZN9rocsparseL19gtsv_LBM_rhs_kernelILj256ELj32ELj1EfEEviiiPKT2_S3_S3_PS1_S3_PKi.num_agpr, 0
	.set _ZN9rocsparseL19gtsv_LBM_rhs_kernelILj256ELj32ELj1EfEEviiiPKT2_S3_S3_PS1_S3_PKi.numbered_sgpr, 28
	.set _ZN9rocsparseL19gtsv_LBM_rhs_kernelILj256ELj32ELj1EfEEviiiPKT2_S3_S3_PS1_S3_PKi.num_named_barrier, 0
	.set _ZN9rocsparseL19gtsv_LBM_rhs_kernelILj256ELj32ELj1EfEEviiiPKT2_S3_S3_PS1_S3_PKi.private_seg_size, 0
	.set _ZN9rocsparseL19gtsv_LBM_rhs_kernelILj256ELj32ELj1EfEEviiiPKT2_S3_S3_PS1_S3_PKi.uses_vcc, 1
	.set _ZN9rocsparseL19gtsv_LBM_rhs_kernelILj256ELj32ELj1EfEEviiiPKT2_S3_S3_PS1_S3_PKi.uses_flat_scratch, 0
	.set _ZN9rocsparseL19gtsv_LBM_rhs_kernelILj256ELj32ELj1EfEEviiiPKT2_S3_S3_PS1_S3_PKi.has_dyn_sized_stack, 0
	.set _ZN9rocsparseL19gtsv_LBM_rhs_kernelILj256ELj32ELj1EfEEviiiPKT2_S3_S3_PS1_S3_PKi.has_recursion, 0
	.set _ZN9rocsparseL19gtsv_LBM_rhs_kernelILj256ELj32ELj1EfEEviiiPKT2_S3_S3_PS1_S3_PKi.has_indirect_call, 0
	.section	.AMDGPU.csdata,"",@progbits
; Kernel info:
; codeLenInByte = 1540
; TotalNumSgprs: 32
; NumVgprs: 22
; ScratchSize: 0
; MemoryBound: 0
; FloatMode: 240
; IeeeMode: 1
; LDSByteSize: 0 bytes/workgroup (compile time only)
; SGPRBlocks: 3
; VGPRBlocks: 5
; NumSGPRsForWavesPerEU: 32
; NumVGPRsForWavesPerEU: 22
; Occupancy: 10
; WaveLimiterHint : 0
; COMPUTE_PGM_RSRC2:SCRATCH_EN: 0
; COMPUTE_PGM_RSRC2:USER_SGPR: 6
; COMPUTE_PGM_RSRC2:TRAP_HANDLER: 0
; COMPUTE_PGM_RSRC2:TGID_X_EN: 1
; COMPUTE_PGM_RSRC2:TGID_Y_EN: 1
; COMPUTE_PGM_RSRC2:TGID_Z_EN: 0
; COMPUTE_PGM_RSRC2:TIDIG_COMP_CNT: 0
	.section	.text._ZN9rocsparseL29gtsv_spike_block_level_kernelILj256ELj32EfEEviiiPT1_PKS1_S4_S2_S2_S2_S2_S2_,"axG",@progbits,_ZN9rocsparseL29gtsv_spike_block_level_kernelILj256ELj32EfEEviiiPT1_PKS1_S4_S2_S2_S2_S2_S2_,comdat
	.globl	_ZN9rocsparseL29gtsv_spike_block_level_kernelILj256ELj32EfEEviiiPT1_PKS1_S4_S2_S2_S2_S2_S2_ ; -- Begin function _ZN9rocsparseL29gtsv_spike_block_level_kernelILj256ELj32EfEEviiiPT1_PKS1_S4_S2_S2_S2_S2_S2_
	.p2align	8
	.type	_ZN9rocsparseL29gtsv_spike_block_level_kernelILj256ELj32EfEEviiiPT1_PKS1_S4_S2_S2_S2_S2_S2_,@function
_ZN9rocsparseL29gtsv_spike_block_level_kernelILj256ELj32EfEEviiiPT1_PKS1_S4_S2_S2_S2_S2_S2_: ; @_ZN9rocsparseL29gtsv_spike_block_level_kernelILj256ELj32EfEEviiiPT1_PKS1_S4_S2_S2_S2_S2_S2_
; %bb.0:
	s_load_dword s14, s[4:5], 0x0
	s_load_dwordx2 s[8:9], s[4:5], 0x18
	v_lshl_or_b32 v1, s6, 8, v0
	v_mov_b32_e32 v3, 0
	v_mov_b32_e32 v2, 0
	s_waitcnt lgkmcnt(0)
	s_lshr_b32 s18, s14, 5
	v_cmp_gt_i32_e64 s[0:1], s18, v1
	s_and_saveexec_b64 s[2:3], s[0:1]
	s_cbranch_execz .LBB55_2
; %bb.1:
	v_ashrrev_i32_e32 v2, 31, v1
	v_lshlrev_b64 v[4:5], 2, v[1:2]
	v_mov_b32_e32 v2, s9
	v_add_co_u32_e32 v4, vcc, s8, v4
	v_addc_co_u32_e32 v5, vcc, v2, v5, vcc
	global_load_dword v2, v[4:5], off
.LBB55_2:
	s_or_b64 exec, exec, s[2:3]
	s_load_dwordx2 s[2:3], s[4:5], 0x20
	v_lshlrev_b32_e32 v5, 2, v0
	v_or_b32_e32 v6, 0x800, v5
	s_waitcnt vmcnt(0)
	ds_write_b32 v5, v2 offset:2048
	s_and_saveexec_b64 s[10:11], s[0:1]
	s_cbranch_execz .LBB55_4
; %bb.3:
	v_mad_u64_u32 v[2:3], s[12:13], s18, 31, v[1:2]
	v_mov_b32_e32 v3, 0
	v_mov_b32_e32 v4, s9
	v_lshlrev_b64 v[2:3], 2, v[2:3]
	v_add_co_u32_e32 v2, vcc, s8, v2
	v_addc_co_u32_e32 v3, vcc, v4, v3, vcc
	global_load_dword v3, v[2:3], off
.LBB55_4:
	s_or_b64 exec, exec, s[10:11]
	s_waitcnt vmcnt(0)
	ds_write_b32 v6, v3 offset:1024
	v_mov_b32_e32 v3, 0
	v_mov_b32_e32 v2, 0
	s_and_saveexec_b64 s[8:9], s[0:1]
	s_cbranch_execz .LBB55_6
; %bb.5:
	v_ashrrev_i32_e32 v2, 31, v1
	v_lshlrev_b64 v[7:8], 2, v[1:2]
	s_waitcnt lgkmcnt(0)
	v_mov_b32_e32 v2, s3
	v_add_co_u32_e32 v7, vcc, s2, v7
	v_addc_co_u32_e32 v8, vcc, v2, v8, vcc
	global_load_dword v2, v[7:8], off
.LBB55_6:
	s_or_b64 exec, exec, s[8:9]
	s_load_dwordx2 s[12:13], s[4:5], 0x10
	s_waitcnt vmcnt(0)
	ds_write_b32 v5, v2
	s_and_saveexec_b64 s[8:9], s[0:1]
	s_cbranch_execz .LBB55_8
; %bb.7:
	v_mad_u64_u32 v[2:3], s[10:11], s18, 31, v[1:2]
	v_mov_b32_e32 v3, 0
	s_waitcnt lgkmcnt(0)
	v_mov_b32_e32 v4, s3
	v_lshlrev_b64 v[2:3], 2, v[2:3]
	v_add_co_u32_e32 v2, vcc, s2, v2
	v_addc_co_u32_e32 v3, vcc, v4, v3, vcc
	global_load_dword v3, v[2:3], off
.LBB55_8:
	s_or_b64 exec, exec, s[8:9]
	s_mul_i32 s14, s14, s7
	s_waitcnt vmcnt(0)
	ds_write_b32 v5, v3 offset:1024
	v_mov_b32_e32 v2, 0
	v_add_u32_e32 v3, s14, v1
	v_mov_b32_e32 v7, 0
	s_waitcnt lgkmcnt(0)
	s_and_saveexec_b64 s[2:3], s[0:1]
	s_cbranch_execz .LBB55_10
; %bb.9:
	v_ashrrev_i32_e32 v4, 31, v3
	v_lshlrev_b64 v[7:8], 2, v[3:4]
	v_mov_b32_e32 v4, s13
	v_add_co_u32_e32 v7, vcc, s12, v7
	v_addc_co_u32_e32 v8, vcc, v4, v8, vcc
	global_load_dword v7, v[7:8], off
.LBB55_10:
	s_or_b64 exec, exec, s[2:3]
	v_or_b32_e32 v4, 0x1000, v5
	s_mul_i32 s19, s18, 31
	s_waitcnt vmcnt(0)
	ds_write_b32 v5, v7 offset:4096
	s_and_saveexec_b64 s[2:3], s[0:1]
	s_cbranch_execz .LBB55_12
; %bb.11:
	s_mul_i32 s8, s18, 31
	s_add_i32 s8, s8, s14
	v_add_u32_e32 v7, s8, v1
	v_mov_b32_e32 v8, 0
	v_lshlrev_b64 v[7:8], 2, v[7:8]
	v_mov_b32_e32 v2, s13
	v_add_co_u32_e32 v7, vcc, s12, v7
	v_addc_co_u32_e32 v8, vcc, v2, v8, vcc
	global_load_dword v2, v[7:8], off
.LBB55_12:
	s_or_b64 exec, exec, s[2:3]
	s_movk_i32 s2, 0x80
	v_cmp_gt_u32_e32 vcc, s2, v0
	s_waitcnt vmcnt(0)
	ds_write_b32 v4, v2 offset:1024
	s_waitcnt lgkmcnt(0)
	s_barrier
	s_and_saveexec_b64 s[2:3], vcc
	s_cbranch_execz .LBB55_14
; %bb.13:
	v_add_u32_e32 v2, v6, v5
	v_add_u32_e32 v21, v5, v5
	ds_read2st64_b64 v[7:10], v2 offset1:2
	ds_read2st64_b64 v[11:14], v21 offset1:2
	v_add_u32_e32 v22, v4, v5
	s_waitcnt lgkmcnt(0)
	v_fma_f32 v19, -v8, v13, 1.0
	v_div_scale_f32 v15, s[8:9], v19, v19, 1.0
	v_div_scale_f32 v16, vcc, 1.0, v19, 1.0
	v_rcp_f32_e32 v17, v15
	v_fma_f32 v18, -v15, v17, 1.0
	v_fmac_f32_e32 v17, v18, v17
	v_mul_f32_e32 v18, v16, v17
	v_fma_f32 v20, -v15, v18, v16
	v_fmac_f32_e32 v18, v20, v17
	v_fma_f32 v15, -v15, v18, v16
	v_div_fmas_f32 v20, v15, v17, v18
	ds_read2st64_b64 v[15:18], v22 offset1:2
	v_div_fixup_f32 v23, v20, v19, 1.0
	s_waitcnt lgkmcnt(0)
	v_fma_f32 v19, -v8, v17, v16
	v_mul_f32_e32 v20, v19, v23
	v_fma_f32 v19, -v20, v11, v15
	v_fma_f32 v15, -v13, v16, v17
	v_mul_f32_e32 v15, v23, v15
	v_mul_f32_e32 v8, v8, v9
	v_fma_f32 v16, -v10, v15, v18
	v_mul_f32_e64 v8, v8, -v23
	v_mul_f32_e32 v18, v23, v12
	v_fma_f32 v7, -v8, v11, v7
	v_mul_f32_e64 v17, v18, -v11
	v_mul_f32_e32 v11, v13, v12
	v_mul_f32_e64 v11, v11, -v23
	v_mul_f32_e32 v9, v23, v9
	v_fma_f32 v12, -v11, v10, v14
	v_mul_f32_e64 v10, v9, -v10
	ds_write2st64_b64 v22, v[19:20], v[15:16] offset1:2
	ds_write2st64_b64 v21, v[17:18], v[11:12] offset1:2
	;; [unrolled: 1-line block ×3, first 2 shown]
.LBB55_14:
	s_or_b64 exec, exec, s[2:3]
	v_cmp_gt_u32_e32 vcc, 64, v0
	s_waitcnt lgkmcnt(0)
	s_barrier
	s_and_saveexec_b64 s[2:3], vcc
	s_cbranch_execz .LBB55_16
; %bb.15:
	v_lshlrev_b32_e32 v2, 4, v0
	v_add_u32_e32 v18, 0x800, v2
	v_add_u32_e32 v19, 0x400, v2
	ds_read2_b32 v[7:8], v18 offset1:2
	ds_read2_b32 v[9:10], v19 offset0:1 offset1:3
	s_waitcnt lgkmcnt(0)
	v_fma_f32 v11, -v8, v9, 1.0
	v_div_scale_f32 v12, s[8:9], v11, v11, 1.0
	v_rcp_f32_e32 v13, v12
	v_fma_f32 v14, -v12, v13, 1.0
	v_fmac_f32_e32 v13, v14, v13
	v_div_scale_f32 v14, vcc, 1.0, v11, 1.0
	v_mul_f32_e32 v15, v14, v13
	v_fma_f32 v16, -v12, v15, v14
	v_fmac_f32_e32 v15, v16, v13
	v_fma_f32 v12, -v12, v15, v14
	v_div_fmas_f32 v12, v12, v13, v15
	v_mad_u32_u24 v16, v0, 12, v4
	v_add_u32_e32 v21, 0x400, v16
	v_div_fixup_f32 v20, v12, v11, 1.0
	ds_read2_b32 v[11:12], v21 offset0:1 offset1:3
	ds_read2_b32 v[13:14], v16 offset1:2
	s_waitcnt lgkmcnt(0)
	v_fma_f32 v15, -v9, v14, v11
	v_mul_f32_e32 v22, v20, v15
	v_fma_f32 v11, -v8, v11, v14
	ds_read2_b32 v[14:15], v2 offset1:2
	v_mul_f32_e32 v11, v11, v20
	s_waitcnt lgkmcnt(0)
	v_fma_f32 v13, -v11, v14, v13
	ds_write2_b32 v16, v13, v11 offset1:2
	v_add_u32_e32 v11, 0xc00, v2
	ds_read2_b32 v[16:17], v11 offset0:1 offset1:3
	v_mul_f32_e32 v9, v9, v15
	v_mul_f32_e64 v9, v9, -v20
	s_waitcnt lgkmcnt(0)
	v_mul_f32_e32 v8, v8, v16
	v_fma_f32 v12, -v17, v22, v12
	v_mul_f32_e64 v8, v8, -v20
	ds_write2_b32 v21, v22, v12 offset0:1 offset1:3
	v_mul_f32_e32 v12, v20, v15
	v_fma_f32 v7, -v8, v14, v7
	ds_write2_b32 v18, v7, v8 offset1:2
	v_mul_f32_e64 v7, v12, -v14
	v_mul_f32_e32 v13, v20, v16
	ds_write2_b32 v2, v7, v12 offset1:2
	v_fma_f32 v2, -v9, v17, v10
	ds_write2_b32 v19, v9, v2 offset0:1 offset1:3
	v_mul_f32_e64 v2, v13, -v17
	ds_write2_b32 v11, v13, v2 offset0:1 offset1:3
.LBB55_16:
	s_or_b64 exec, exec, s[2:3]
	v_cmp_gt_u32_e32 vcc, 32, v0
	s_waitcnt lgkmcnt(0)
	s_barrier
	s_and_saveexec_b64 s[2:3], vcc
	s_cbranch_execz .LBB55_18
; %bb.17:
	v_lshlrev_b32_e32 v2, 5, v0
	v_add_u32_e32 v18, 0x800, v2
	v_add_u32_e32 v19, 0x400, v2
	ds_read2_b32 v[7:8], v18 offset1:4
	ds_read2_b32 v[9:10], v19 offset0:3 offset1:7
	v_add_u32_e32 v21, 0x1400, v2
	s_waitcnt lgkmcnt(0)
	v_fma_f32 v11, -v8, v9, 1.0
	v_div_scale_f32 v12, s[8:9], v11, v11, 1.0
	v_rcp_f32_e32 v13, v12
	v_fma_f32 v14, -v12, v13, 1.0
	v_fmac_f32_e32 v13, v14, v13
	v_div_scale_f32 v14, vcc, 1.0, v11, 1.0
	v_mul_f32_e32 v15, v14, v13
	v_fma_f32 v16, -v12, v15, v14
	v_fmac_f32_e32 v15, v16, v13
	v_fma_f32 v12, -v12, v15, v14
	v_div_fmas_f32 v12, v12, v13, v15
	v_add_u32_e32 v16, 0x1000, v2
	ds_read2_b32 v[13:14], v16 offset1:4
	v_div_fixup_f32 v20, v12, v11, 1.0
	ds_read2_b32 v[11:12], v21 offset0:3 offset1:7
	s_waitcnt lgkmcnt(0)
	v_fma_f32 v15, -v9, v14, v11
	v_mul_f32_e32 v22, v20, v15
	v_fma_f32 v11, -v8, v11, v14
	ds_read2_b32 v[14:15], v2 offset1:4
	v_mul_f32_e32 v11, v11, v20
	s_waitcnt lgkmcnt(0)
	v_fma_f32 v13, -v11, v14, v13
	ds_write2_b32 v16, v13, v11 offset1:4
	v_add_u32_e32 v11, 0xc00, v2
	ds_read2_b32 v[16:17], v11 offset0:3 offset1:7
	v_mul_f32_e32 v9, v9, v15
	v_mul_f32_e64 v9, v9, -v20
	s_waitcnt lgkmcnt(0)
	v_mul_f32_e32 v8, v8, v16
	v_fma_f32 v12, -v17, v22, v12
	v_mul_f32_e64 v8, v8, -v20
	ds_write2_b32 v21, v22, v12 offset0:3 offset1:7
	v_mul_f32_e32 v12, v20, v15
	v_fma_f32 v7, -v8, v14, v7
	ds_write2_b32 v18, v7, v8 offset1:4
	v_mul_f32_e64 v7, v12, -v14
	v_mul_f32_e32 v13, v20, v16
	ds_write2_b32 v2, v7, v12 offset1:4
	v_fma_f32 v2, -v9, v17, v10
	ds_write2_b32 v19, v9, v2 offset0:3 offset1:7
	v_mul_f32_e64 v2, v13, -v17
	ds_write2_b32 v11, v13, v2 offset0:3 offset1:7
.LBB55_18:
	s_or_b64 exec, exec, s[2:3]
	v_cmp_gt_u32_e32 vcc, 16, v0
	s_waitcnt lgkmcnt(0)
	s_barrier
	s_and_saveexec_b64 s[2:3], vcc
	s_cbranch_execz .LBB55_20
; %bb.19:
	v_lshlrev_b32_e32 v2, 6, v0
	v_add_u32_e32 v18, 0x800, v2
	v_add_u32_e32 v19, 0x400, v2
	ds_read2_b32 v[7:8], v18 offset1:8
	ds_read2_b32 v[9:10], v19 offset0:7 offset1:15
	v_add_u32_e32 v21, 0x1400, v2
	s_waitcnt lgkmcnt(0)
	v_fma_f32 v11, -v8, v9, 1.0
	v_div_scale_f32 v12, s[8:9], v11, v11, 1.0
	v_rcp_f32_e32 v13, v12
	v_fma_f32 v14, -v12, v13, 1.0
	v_fmac_f32_e32 v13, v14, v13
	v_div_scale_f32 v14, vcc, 1.0, v11, 1.0
	v_mul_f32_e32 v15, v14, v13
	v_fma_f32 v16, -v12, v15, v14
	v_fmac_f32_e32 v15, v16, v13
	v_fma_f32 v12, -v12, v15, v14
	v_div_fmas_f32 v12, v12, v13, v15
	v_add_u32_e32 v16, 0x1000, v2
	ds_read2_b32 v[13:14], v16 offset1:8
	v_div_fixup_f32 v20, v12, v11, 1.0
	ds_read2_b32 v[11:12], v21 offset0:7 offset1:15
	s_waitcnt lgkmcnt(0)
	v_fma_f32 v15, -v9, v14, v11
	v_mul_f32_e32 v22, v20, v15
	v_fma_f32 v11, -v8, v11, v14
	ds_read2_b32 v[14:15], v2 offset1:8
	v_mul_f32_e32 v11, v11, v20
	s_waitcnt lgkmcnt(0)
	v_fma_f32 v13, -v11, v14, v13
	ds_write2_b32 v16, v13, v11 offset1:8
	v_add_u32_e32 v11, 0xc00, v2
	ds_read2_b32 v[16:17], v11 offset0:7 offset1:15
	v_mul_f32_e32 v9, v9, v15
	v_mul_f32_e64 v9, v9, -v20
	s_waitcnt lgkmcnt(0)
	v_mul_f32_e32 v8, v8, v16
	v_fma_f32 v12, -v17, v22, v12
	v_mul_f32_e64 v8, v8, -v20
	ds_write2_b32 v21, v22, v12 offset0:7 offset1:15
	v_mul_f32_e32 v12, v20, v15
	v_fma_f32 v7, -v8, v14, v7
	ds_write2_b32 v18, v7, v8 offset1:8
	v_mul_f32_e64 v7, v12, -v14
	v_mul_f32_e32 v13, v20, v16
	ds_write2_b32 v2, v7, v12 offset1:8
	v_fma_f32 v2, -v9, v17, v10
	ds_write2_b32 v19, v9, v2 offset0:7 offset1:15
	v_mul_f32_e64 v2, v13, -v17
	ds_write2_b32 v11, v13, v2 offset0:7 offset1:15
.LBB55_20:
	;; [unrolled: 58-line block ×4, first 2 shown]
	s_or_b64 exec, exec, s[2:3]
	v_cmp_gt_u32_e32 vcc, 2, v0
	s_waitcnt lgkmcnt(0)
	s_barrier
	s_and_saveexec_b64 s[2:3], vcc
	s_cbranch_execz .LBB55_26
; %bb.25:
	v_lshlrev_b32_e32 v2, 9, v0
	v_add_u32_e32 v19, 0xfc, v2
	ds_read2st64_b32 v[7:8], v19 offset0:4 offset1:5
	ds_read2st64_b32 v[9:10], v2 offset0:8 offset1:9
	;; [unrolled: 1-line block ×3, first 2 shown]
	ds_read2st64_b32 v[13:14], v2 offset1:1
	ds_read2st64_b32 v[15:16], v19 offset0:12 offset1:13
	s_waitcnt lgkmcnt(3)
	v_fma_f32 v20, -v10, v7, 1.0
	v_div_scale_f32 v17, s[8:9], v20, v20, 1.0
	v_div_scale_f32 v18, vcc, 1.0, v20, 1.0
	v_rcp_f32_e32 v21, v17
	v_fma_f32 v22, -v17, v21, 1.0
	v_fmac_f32_e32 v21, v22, v21
	v_mul_f32_e32 v22, v18, v21
	v_fma_f32 v23, -v17, v22, v18
	v_fmac_f32_e32 v22, v23, v21
	v_fma_f32 v17, -v17, v22, v18
	v_div_fmas_f32 v21, v17, v21, v22
	ds_read2st64_b32 v[17:18], v19 offset0:20 offset1:21
	s_waitcnt lgkmcnt(0)
	v_fma_f32 v22, -v7, v12, v17
	v_fma_f32 v12, -v10, v17, v12
	v_mul_f32_e32 v7, v7, v14
	v_mul_f32_e32 v10, v10, v15
	v_div_fixup_f32 v17, v21, v20, 1.0
	v_mul_f32_e32 v12, v12, v17
	v_mul_f32_e32 v20, v17, v22
	v_mul_f32_e64 v7, v7, -v17
	v_fma_f32 v11, -v12, v13, v11
	v_mul_f32_e32 v14, v17, v14
	v_mul_f32_e64 v10, v10, -v17
	v_mul_f32_e32 v15, v17, v15
	v_fma_f32 v17, -v16, v20, v18
	v_fma_f32 v9, -v10, v13, v9
	v_mul_f32_e64 v13, v14, -v13
	v_fma_f32 v8, -v7, v16, v8
	v_mul_f32_e64 v16, v15, -v16
	ds_write2st64_b32 v2, v11, v12 offset0:16 offset1:17
	ds_write2st64_b32 v19, v20, v17 offset0:20 offset1:21
	;; [unrolled: 1-line block ×3, first 2 shown]
	ds_write2st64_b32 v2, v13, v14 offset1:1
	ds_write2st64_b32 v19, v7, v8 offset0:4 offset1:5
	ds_write2st64_b32 v19, v15, v16 offset0:12 offset1:13
.LBB55_26:
	s_or_b64 exec, exec, s[2:3]
	v_cmp_eq_u32_e64 s[2:3], 0, v0
	s_waitcnt lgkmcnt(0)
	s_barrier
	s_and_saveexec_b64 s[8:9], s[2:3]
	s_cbranch_execz .LBB55_28
; %bb.27:
	s_movk_i32 s10, 0xa00
	v_add_u32_e64 v2, s10, 0
	v_mov_b32_e32 v0, 0
	ds_read2_b32 v[7:8], v2 offset1:255
	ds_read_b32 v13, v0 offset:1532
	v_mov_b32_e32 v17, 0xffc
	s_waitcnt lgkmcnt(0)
	v_fma_f32 v9, -v7, v13, 1.0
	v_div_scale_f32 v10, s[10:11], v9, v9, 1.0
	s_movk_i32 s10, 0x1200
	v_rcp_f32_e32 v11, v10
	v_fma_f32 v12, -v10, v11, 1.0
	v_fmac_f32_e32 v11, v12, v11
	v_div_scale_f32 v12, vcc, 1.0, v9, 1.0
	v_mul_f32_e32 v14, v12, v11
	v_fma_f32 v15, -v10, v14, v12
	v_fmac_f32_e32 v14, v15, v11
	v_fma_f32 v10, -v10, v14, v12
	v_div_fmas_f32 v10, v10, v11, v14
	v_add_u32_e64 v11, s10, 0
	v_div_fixup_f32 v14, v10, v9, 1.0
	ds_read2_b32 v[9:10], v11 offset1:255
	s_waitcnt lgkmcnt(0)
	v_fma_f32 v12, -v13, v9, v10
	v_fma_f32 v9, -v7, v10, v9
	v_mul_f32_e32 v15, v14, v12
	v_mul_f32_e32 v16, v9, v14
	ds_write2_b32 v11, v16, v15 offset1:255
	ds_read2_b32 v[9:10], v17 offset1:1
	ds_read2st64_b32 v[11:12], v0 offset1:2
	v_mul_f32_e32 v7, v7, v8
	s_waitcnt lgkmcnt(0)
	v_fma_f32 v10, -v16, v11, v10
	ds_read_b32 v16, v0 offset:6140
	v_mul_f32_e32 v13, v13, v12
	v_mul_f32_e64 v13, v13, -v14
	v_mul_f32_e32 v12, v14, v12
	ds_write_b32 v0, v13 offset:1532
	s_waitcnt lgkmcnt(1)
	v_fma_f32 v15, -v9, v15, v16
	ds_write_b32 v0, v15 offset:6140
	v_mul_f32_e64 v15, v7, -v14
	v_mul_f32_e32 v14, v14, v8
	ds_write2_b32 v2, v15, v14 offset1:255
	v_mov_b32_e32 v2, 0x7fc
	ds_read2_b32 v[7:8], v2 offset1:1
	s_waitcnt lgkmcnt(0)
	v_fma_f32 v8, -v15, v11, v8
	v_mul_f32_e64 v11, v12, -v11
	ds_write2st64_b32 v0, v11, v12 offset1:2
	v_fma_f32 v0, -v13, v9, v7
	ds_write2_b32 v2, v0, v8 offset1:1
	v_mul_f32_e64 v0, v14, -v9
	ds_write2_b32 v17, v0, v10 offset1:1
.LBB55_28:
	s_or_b64 exec, exec, s[8:9]
	s_load_dwordx2 s[14:15], s[4:5], 0x48
	s_load_dwordx4 s[8:11], s[4:5], 0x38
	s_waitcnt lgkmcnt(0)
	s_barrier
	s_and_saveexec_b64 s[16:17], s[0:1]
	s_cbranch_execnz .LBB55_31
; %bb.29:
	s_or_b64 exec, exec, s[16:17]
	s_and_saveexec_b64 s[0:1], s[2:3]
	s_cbranch_execnz .LBB55_35
.LBB55_30:
	s_endpgm
.LBB55_31:
	s_cmp_eq_u32 s7, 0
	s_cbranch_scc1 .LBB55_39
; %bb.32:
	s_mul_i32 s18, s18, 31
	s_cbranch_execnz .LBB55_34
.LBB55_33:
	s_load_dwordx4 s[20:23], s[4:5], 0x28
	v_ashrrev_i32_e32 v2, 31, v1
	v_lshlrev_b64 v[8:9], 2, v[1:2]
	ds_read2st64_b32 v[6:7], v6 offset1:4
	s_mov_b32 s18, s19
	s_waitcnt lgkmcnt(0)
	v_mov_b32_e32 v0, s21
	v_add_co_u32_e32 v10, vcc, s20, v8
	v_addc_co_u32_e32 v11, vcc, v0, v9, vcc
	v_add_u32_e32 v0, s19, v1
	v_mov_b32_e32 v1, 0
	v_lshlrev_b64 v[0:1], 2, v[0:1]
	global_store_dword v[10:11], v6, off
	v_mov_b32_e32 v2, s21
	v_add_co_u32_e32 v10, vcc, s20, v0
	v_addc_co_u32_e32 v11, vcc, v2, v1, vcc
	ds_read2st64_b32 v[5:6], v5 offset1:4
	global_store_dword v[10:11], v7, off
	v_mov_b32_e32 v2, s23
	v_add_co_u32_e32 v7, vcc, s22, v8
	v_addc_co_u32_e32 v8, vcc, v2, v9, vcc
	v_add_co_u32_e32 v0, vcc, s22, v0
	v_addc_co_u32_e32 v1, vcc, v2, v1, vcc
	s_waitcnt lgkmcnt(0)
	global_store_dword v[7:8], v5, off
	global_store_dword v[0:1], v6, off
.LBB55_34:
	ds_read2st64_b32 v[0:1], v4 offset1:4
	v_ashrrev_i32_e32 v4, 31, v3
	v_lshlrev_b64 v[4:5], 2, v[3:4]
	v_mov_b32_e32 v2, s13
	v_add_co_u32_e32 v4, vcc, s12, v4
	v_addc_co_u32_e32 v5, vcc, v2, v5, vcc
	v_add_u32_e32 v2, s18, v3
	v_mov_b32_e32 v3, 0
	v_lshlrev_b64 v[2:3], 2, v[2:3]
	s_waitcnt lgkmcnt(0)
	global_store_dword v[4:5], v0, off
	v_mov_b32_e32 v0, s13
	v_add_co_u32_e32 v2, vcc, s12, v2
	v_addc_co_u32_e32 v3, vcc, v0, v3, vcc
	global_store_dword v[2:3], v1, off
	s_or_b64 exec, exec, s[16:17]
	s_and_saveexec_b64 s[0:1], s[2:3]
	s_cbranch_execz .LBB55_30
.LBB55_35:
	s_cmp_eq_u32 s7, 0
	s_cbranch_scc1 .LBB55_40
; %bb.36:
	s_load_dword s2, s[4:5], 0x50
	s_cbranch_execnz .LBB55_38
.LBB55_37:
	v_mov_b32_e32 v0, 0x7fc
	ds_read2_b32 v[0:1], v0 offset1:1
	s_waitcnt lgkmcnt(0)
	s_load_dword s2, s[4:5], 0x50
	s_mov_b32 s0, s7
	s_ashr_i32 s7, s6, 31
	s_lshl_b64 s[12:13], s[6:7], 2
	s_mov_b32 s7, s0
	s_add_u32 s0, s10, s12
	s_addc_u32 s1, s11, s13
	v_mov_b32_e32 v2, 0
	ds_read_b32 v3, v2 offset:4092
	ds_read_b32 v4, v2
	global_store_dword v2, v1, s[0:1]
	s_waitcnt lgkmcnt(0)
	s_add_i32 s0, s2, s6
	s_mov_b32 s1, 0
	s_lshl_b64 s[0:1], s[0:1], 2
	s_add_u32 s4, s10, s0
	s_addc_u32 s5, s11, s1
	global_store_dword v2, v3, s[4:5]
	s_add_u32 s4, s14, s12
	s_addc_u32 s5, s15, s13
	s_add_u32 s0, s14, s0
	s_addc_u32 s1, s15, s1
	global_store_dword v2, v4, s[4:5]
	global_store_dword v2, v0, s[0:1]
.LBB55_38:
	s_waitcnt lgkmcnt(0)
	s_mul_i32 s0, s2, s7
	s_lshl_b32 s0, s0, 1
	s_add_i32 s0, s0, s6
	s_mov_b32 s1, 0
	v_mov_b32_e32 v0, 0
	s_lshl_b64 s[4:5], s[0:1], 2
	ds_read_b32 v1, v0 offset:4096
	ds_read_b32 v2, v0 offset:6140
	s_add_u32 s4, s8, s4
	s_addc_u32 s5, s9, s5
	s_add_i32 s0, s0, s2
	s_lshl_b64 s[0:1], s[0:1], 2
	s_add_u32 s0, s8, s0
	s_addc_u32 s1, s9, s1
	s_waitcnt lgkmcnt(1)
	global_store_dword v0, v1, s[4:5]
	s_waitcnt lgkmcnt(0)
	global_store_dword v0, v2, s[0:1]
	s_endpgm
.LBB55_39:
                                        ; implicit-def: $sgpr18
	s_branch .LBB55_33
.LBB55_40:
                                        ; implicit-def: $sgpr2
	s_branch .LBB55_37
	.section	.rodata,"a",@progbits
	.p2align	6, 0x0
	.amdhsa_kernel _ZN9rocsparseL29gtsv_spike_block_level_kernelILj256ELj32EfEEviiiPT1_PKS1_S4_S2_S2_S2_S2_S2_
		.amdhsa_group_segment_fixed_size 6144
		.amdhsa_private_segment_fixed_size 0
		.amdhsa_kernarg_size 336
		.amdhsa_user_sgpr_count 6
		.amdhsa_user_sgpr_private_segment_buffer 1
		.amdhsa_user_sgpr_dispatch_ptr 0
		.amdhsa_user_sgpr_queue_ptr 0
		.amdhsa_user_sgpr_kernarg_segment_ptr 1
		.amdhsa_user_sgpr_dispatch_id 0
		.amdhsa_user_sgpr_flat_scratch_init 0
		.amdhsa_user_sgpr_private_segment_size 0
		.amdhsa_uses_dynamic_stack 0
		.amdhsa_system_sgpr_private_segment_wavefront_offset 0
		.amdhsa_system_sgpr_workgroup_id_x 1
		.amdhsa_system_sgpr_workgroup_id_y 1
		.amdhsa_system_sgpr_workgroup_id_z 0
		.amdhsa_system_sgpr_workgroup_info 0
		.amdhsa_system_vgpr_workitem_id 0
		.amdhsa_next_free_vgpr 24
		.amdhsa_next_free_sgpr 24
		.amdhsa_reserve_vcc 1
		.amdhsa_reserve_flat_scratch 0
		.amdhsa_float_round_mode_32 0
		.amdhsa_float_round_mode_16_64 0
		.amdhsa_float_denorm_mode_32 3
		.amdhsa_float_denorm_mode_16_64 3
		.amdhsa_dx10_clamp 1
		.amdhsa_ieee_mode 1
		.amdhsa_fp16_overflow 0
		.amdhsa_exception_fp_ieee_invalid_op 0
		.amdhsa_exception_fp_denorm_src 0
		.amdhsa_exception_fp_ieee_div_zero 0
		.amdhsa_exception_fp_ieee_overflow 0
		.amdhsa_exception_fp_ieee_underflow 0
		.amdhsa_exception_fp_ieee_inexact 0
		.amdhsa_exception_int_div_zero 0
	.end_amdhsa_kernel
	.section	.text._ZN9rocsparseL29gtsv_spike_block_level_kernelILj256ELj32EfEEviiiPT1_PKS1_S4_S2_S2_S2_S2_S2_,"axG",@progbits,_ZN9rocsparseL29gtsv_spike_block_level_kernelILj256ELj32EfEEviiiPT1_PKS1_S4_S2_S2_S2_S2_S2_,comdat
.Lfunc_end55:
	.size	_ZN9rocsparseL29gtsv_spike_block_level_kernelILj256ELj32EfEEviiiPT1_PKS1_S4_S2_S2_S2_S2_S2_, .Lfunc_end55-_ZN9rocsparseL29gtsv_spike_block_level_kernelILj256ELj32EfEEviiiPT1_PKS1_S4_S2_S2_S2_S2_S2_
                                        ; -- End function
	.set _ZN9rocsparseL29gtsv_spike_block_level_kernelILj256ELj32EfEEviiiPT1_PKS1_S4_S2_S2_S2_S2_S2_.num_vgpr, 24
	.set _ZN9rocsparseL29gtsv_spike_block_level_kernelILj256ELj32EfEEviiiPT1_PKS1_S4_S2_S2_S2_S2_S2_.num_agpr, 0
	.set _ZN9rocsparseL29gtsv_spike_block_level_kernelILj256ELj32EfEEviiiPT1_PKS1_S4_S2_S2_S2_S2_S2_.numbered_sgpr, 24
	.set _ZN9rocsparseL29gtsv_spike_block_level_kernelILj256ELj32EfEEviiiPT1_PKS1_S4_S2_S2_S2_S2_S2_.num_named_barrier, 0
	.set _ZN9rocsparseL29gtsv_spike_block_level_kernelILj256ELj32EfEEviiiPT1_PKS1_S4_S2_S2_S2_S2_S2_.private_seg_size, 0
	.set _ZN9rocsparseL29gtsv_spike_block_level_kernelILj256ELj32EfEEviiiPT1_PKS1_S4_S2_S2_S2_S2_S2_.uses_vcc, 1
	.set _ZN9rocsparseL29gtsv_spike_block_level_kernelILj256ELj32EfEEviiiPT1_PKS1_S4_S2_S2_S2_S2_S2_.uses_flat_scratch, 0
	.set _ZN9rocsparseL29gtsv_spike_block_level_kernelILj256ELj32EfEEviiiPT1_PKS1_S4_S2_S2_S2_S2_S2_.has_dyn_sized_stack, 0
	.set _ZN9rocsparseL29gtsv_spike_block_level_kernelILj256ELj32EfEEviiiPT1_PKS1_S4_S2_S2_S2_S2_S2_.has_recursion, 0
	.set _ZN9rocsparseL29gtsv_spike_block_level_kernelILj256ELj32EfEEviiiPT1_PKS1_S4_S2_S2_S2_S2_S2_.has_indirect_call, 0
	.section	.AMDGPU.csdata,"",@progbits
; Kernel info:
; codeLenInByte = 3864
; TotalNumSgprs: 28
; NumVgprs: 24
; ScratchSize: 0
; MemoryBound: 0
; FloatMode: 240
; IeeeMode: 1
; LDSByteSize: 6144 bytes/workgroup (compile time only)
; SGPRBlocks: 3
; VGPRBlocks: 5
; NumSGPRsForWavesPerEU: 28
; NumVGPRsForWavesPerEU: 24
; Occupancy: 10
; WaveLimiterHint : 0
; COMPUTE_PGM_RSRC2:SCRATCH_EN: 0
; COMPUTE_PGM_RSRC2:USER_SGPR: 6
; COMPUTE_PGM_RSRC2:TRAP_HANDLER: 0
; COMPUTE_PGM_RSRC2:TGID_X_EN: 1
; COMPUTE_PGM_RSRC2:TGID_Y_EN: 1
; COMPUTE_PGM_RSRC2:TGID_Z_EN: 0
; COMPUTE_PGM_RSRC2:TIDIG_COMP_CNT: 0
	.section	.text._ZN9rocsparseL33gtsv_solve_spike_propagate_kernelILj256ELj32EfEEviiiPT1_PKS1_S4_S4_,"axG",@progbits,_ZN9rocsparseL33gtsv_solve_spike_propagate_kernelILj256ELj32EfEEviiiPT1_PKS1_S4_S4_,comdat
	.globl	_ZN9rocsparseL33gtsv_solve_spike_propagate_kernelILj256ELj32EfEEviiiPT1_PKS1_S4_S4_ ; -- Begin function _ZN9rocsparseL33gtsv_solve_spike_propagate_kernelILj256ELj32EfEEviiiPT1_PKS1_S4_S4_
	.p2align	8
	.type	_ZN9rocsparseL33gtsv_solve_spike_propagate_kernelILj256ELj32EfEEviiiPT1_PKS1_S4_S4_,@function
_ZN9rocsparseL33gtsv_solve_spike_propagate_kernelILj256ELj32EfEEviiiPT1_PKS1_S4_S4_: ; @_ZN9rocsparseL33gtsv_solve_spike_propagate_kernelILj256ELj32EfEEviiiPT1_PKS1_S4_S4_
; %bb.0:
	s_load_dword s10, s[4:5], 0x0
	v_lshl_or_b32 v1, s6, 8, v0
	v_mov_b32_e32 v4, 0
	v_ashrrev_i32_e32 v2, 31, v1
	v_mov_b32_e32 v5, 0
	s_waitcnt lgkmcnt(0)
	s_lshr_b32 s12, s10, 5
	v_cmp_le_i32_e64 s[0:1], s12, v1
	v_cmp_gt_i32_e32 vcc, s12, v1
	s_and_saveexec_b64 s[8:9], vcc
	s_cbranch_execz .LBB56_2
; %bb.1:
	s_load_dwordx2 s[14:15], s[4:5], 0x18
	v_lshlrev_b64 v[3:4], 2, v[1:2]
	v_mad_u64_u32 v[5:6], s[2:3], s12, 31, v[1:2]
	s_waitcnt lgkmcnt(0)
	v_mov_b32_e32 v6, s15
	v_add_co_u32_e64 v7, s[2:3], s14, v3
	v_addc_co_u32_e64 v8, s[2:3], v6, v4, s[2:3]
	v_mov_b32_e32 v6, 0
	v_lshlrev_b64 v[3:4], 2, v[5:6]
	v_mov_b32_e32 v5, s15
	v_add_co_u32_e64 v9, s[2:3], s14, v3
	v_addc_co_u32_e64 v10, s[2:3], v5, v4, s[2:3]
	global_load_dword v4, v[7:8], off
	global_load_dword v5, v[9:10], off
.LBB56_2:
	s_or_b64 exec, exec, s[8:9]
	s_load_dwordx2 s[2:3], s[4:5], 0x10
	v_lshlrev_b32_e32 v3, 2, v0
	v_add_u32_e32 v6, 16, v3
	s_waitcnt vmcnt(0)
	ds_write2st64_b32 v6, v4, v5 offset0:16 offset1:20
	s_and_saveexec_b64 s[8:9], s[0:1]
	s_xor_b64 s[0:1], exec, s[8:9]
; %bb.3:
	v_mov_b32_e32 v2, 0
	ds_write2st64_b32 v6, v2, v2 offset0:8 offset1:12
; %bb.4:
	s_or_saveexec_b64 s[8:9], s[0:1]
	v_mov_b32_e32 v4, 0
	s_mul_i32 s10, s10, s7
	v_mov_b32_e32 v5, 0
	s_xor_b64 exec, exec, s[8:9]
	s_cbranch_execz .LBB56_6
; %bb.5:
	s_load_dwordx2 s[14:15], s[4:5], 0x20
	v_mad_u64_u32 v[7:8], s[0:1], s12, 31, v[1:2]
	v_lshlrev_b64 v[5:6], 2, v[1:2]
	v_mov_b32_e32 v8, 0
	s_waitcnt lgkmcnt(0)
	v_mov_b32_e32 v2, s15
	v_add_co_u32_e64 v5, s[0:1], s14, v5
	v_lshlrev_b64 v[9:10], 2, v[7:8]
	v_addc_co_u32_e64 v6, s[0:1], v2, v6, s[0:1]
	v_add_co_u32_e64 v9, s[0:1], s14, v9
	v_add_u32_e32 v7, s10, v7
	v_addc_co_u32_e64 v10, s[0:1], v2, v10, s[0:1]
	global_load_dword v2, v[5:6], off
	global_load_dword v11, v[9:10], off
	v_lshlrev_b64 v[5:6], 2, v[7:8]
	v_mov_b32_e32 v7, s3
	v_add_co_u32_e64 v5, s[0:1], s2, v5
	v_addc_co_u32_e64 v6, s[0:1], v7, v6, s[0:1]
	global_load_dword v5, v[5:6], off
	v_add_u32_e32 v6, 16, v3
	s_waitcnt vmcnt(1)
	ds_write2st64_b32 v6, v2, v11 offset0:8 offset1:12
.LBB56_6:
	s_or_b64 exec, exec, s[8:9]
	v_add_u32_e32 v1, s10, v1
	s_waitcnt vmcnt(0)
	ds_write_b32 v3, v5 offset:4
	s_and_saveexec_b64 s[8:9], vcc
	s_cbranch_execz .LBB56_8
; %bb.7:
	v_ashrrev_i32_e32 v2, 31, v1
	v_lshlrev_b64 v[4:5], 2, v[1:2]
	s_waitcnt lgkmcnt(0)
	v_mov_b32_e32 v2, s3
	v_add_co_u32_e64 v4, s[0:1], s2, v4
	v_addc_co_u32_e64 v5, s[0:1], v2, v5, s[0:1]
	global_load_dword v4, v[4:5], off
.LBB56_8:
	s_or_b64 exec, exec, s[8:9]
	s_mov_b32 s14, 0
	v_cmp_eq_u32_e64 s[0:1], 0, v0
	s_waitcnt vmcnt(0)
	ds_write_b32 v3, v4 offset:1028
	s_waitcnt lgkmcnt(0)
	s_barrier
	s_and_saveexec_b64 s[8:9], s[0:1]
	s_cbranch_execz .LBB56_14
; %bb.9:
	s_load_dword s13, s[4:5], 0x30
	s_load_dwordx2 s[10:11], s[4:5], 0x28
	s_cmp_lt_i32 s6, 1
	s_waitcnt lgkmcnt(0)
	s_mul_i32 s7, s7, s13
	s_cbranch_scc1 .LBB56_11
; %bb.10:
	s_lshl_b32 s4, s7, 1
	s_add_i32 s5, s6, s13
	s_add_i32 s4, s5, s4
	s_add_i32 s4, s4, -1
	s_mov_b32 s5, 0
	s_lshl_b64 s[4:5], s[4:5], 2
	s_add_u32 s4, s10, s4
	s_addc_u32 s5, s11, s5
	s_load_dword s14, s[4:5], 0x0
.LBB56_11:
	s_add_i32 s4, s13, -1
	v_mov_b32_e32 v2, 0
	s_waitcnt lgkmcnt(0)
	v_mov_b32_e32 v4, s14
	s_mov_b32 s5, 0
	s_cmp_ge_u32 s6, s4
	s_mov_b32 s14, 0
	ds_write_b32 v2, v4
	s_cbranch_scc1 .LBB56_13
; %bb.12:
	s_lshl_b32 s4, s7, 1
	s_add_i32 s4, s6, s4
	s_add_i32 s14, s4, 1
	s_mov_b32 s15, 0
	s_lshl_b64 s[14:15], s[14:15], 2
	s_add_u32 s14, s10, s14
	s_addc_u32 s15, s11, s15
	s_load_dword s14, s[14:15], 0x0
.LBB56_13:
	s_lshl_b32 s4, s7, 1
	s_add_i32 s4, s4, s6
	s_lshl_b64 s[6:7], s[4:5], 2
	s_add_u32 s6, s10, s6
	s_addc_u32 s7, s11, s7
	s_add_i32 s4, s4, s13
	s_lshl_b64 s[4:5], s[4:5], 2
	s_add_u32 s4, s10, s4
	s_addc_u32 s5, s11, s5
	s_load_dword s10, s[4:5], 0x0
	s_load_dword s11, s[6:7], 0x0
	s_waitcnt lgkmcnt(0)
	v_mov_b32_e32 v4, s14
	ds_write_b32 v2, v4 offset:2052
	v_mov_b32_e32 v4, s10
	v_mov_b32_e32 v5, s11
	ds_write_b64 v2, v[4:5] offset:1024
.LBB56_14:
	s_or_b64 exec, exec, s[8:9]
	s_waitcnt lgkmcnt(0)
	s_barrier
	s_and_saveexec_b64 s[4:5], s[0:1]
	s_cbranch_execz .LBB56_16
; %bb.15:
	s_movk_i32 s0, 0xa10
	v_mov_b32_e32 v2, 0
	v_add_u32_e64 v6, s0, 0
	v_add_u32_e64 v8, 4, 0
	s_movk_i32 s0, 0x1210
	ds_read2st64_b32 v[4:5], v2 offset1:2
	ds_read2_b32 v[6:7], v6 offset1:255
	ds_read2st64_b32 v[8:9], v8 offset0:6 offset1:8
	v_add_u32_e64 v10, s0, 0
	ds_read2_b32 v[10:11], v10 offset1:255
	s_waitcnt lgkmcnt(1)
	v_fma_f32 v5, -v7, v9, v5
	s_waitcnt lgkmcnt(0)
	v_fma_f32 v5, -v11, v4, v5
	ds_write_b32 v2, v5 offset:512
	v_fma_f32 v5, -v6, v9, v8
	v_fma_f32 v4, -v10, v4, v5
	ds_write_b32 v2, v4 offset:1540
.LBB56_16:
	s_or_b64 exec, exec, s[4:5]
	v_cmp_gt_u32_e64 s[0:1], 2, v0
	s_waitcnt lgkmcnt(0)
	s_barrier
	s_and_saveexec_b64 s[4:5], s[0:1]
	s_cbranch_execz .LBB56_18
; %bb.17:
	s_movk_i32 s0, 0x1fc
	v_mad_u32_u24 v2, v0, s0, v3
	v_lshlrev_b32_e32 v10, 9, v0
	v_add_u32_e32 v6, 0x910, v10
	v_add_u32_e32 v8, 4, v2
	ds_read2st64_b32 v[4:5], v2 offset1:1
	ds_read2_b32 v[6:7], v6 offset1:255
	ds_read2st64_b32 v[8:9], v8 offset0:5 offset1:6
	v_add_u32_e32 v10, 0x1110, v10
	ds_read2_b32 v[10:11], v10 offset1:255
	s_waitcnt lgkmcnt(1)
	v_fma_f32 v5, -v7, v9, v5
	s_waitcnt lgkmcnt(0)
	v_fma_f32 v5, -v11, v4, v5
	ds_write_b32 v2, v5 offset:256
	v_fma_f32 v5, -v6, v9, v8
	v_fma_f32 v4, -v10, v4, v5
	ds_write_b32 v2, v4 offset:1284
.LBB56_18:
	s_or_b64 exec, exec, s[4:5]
	v_cmp_gt_u32_e64 s[0:1], 4, v0
	s_waitcnt lgkmcnt(0)
	s_barrier
	s_and_saveexec_b64 s[4:5], s[0:1]
	s_cbranch_execz .LBB56_20
; %bb.19:
	v_lshlrev_b32_e32 v2, 8, v0
	v_add_u32_e32 v6, 0x890, v2
	v_add_u32_e32 v8, 0x400, v2
	ds_read2_b32 v[4:5], v2 offset1:32
	ds_read2_b32 v[6:7], v6 offset1:255
	ds_read2_b32 v[8:9], v8 offset0:33 offset1:65
	v_add_u32_e32 v10, 0x1090, v2
	ds_read2_b32 v[10:11], v10 offset1:255
	s_waitcnt lgkmcnt(1)
	v_fma_f32 v5, -v7, v9, v5
	s_waitcnt lgkmcnt(0)
	v_fma_f32 v5, -v11, v4, v5
	ds_write_b32 v2, v5 offset:128
	v_fma_f32 v5, -v6, v9, v8
	v_fma_f32 v4, -v10, v4, v5
	ds_write_b32 v2, v4 offset:1156
.LBB56_20:
	s_or_b64 exec, exec, s[4:5]
	v_cmp_gt_u32_e64 s[0:1], 8, v0
	s_waitcnt lgkmcnt(0)
	s_barrier
	s_and_saveexec_b64 s[4:5], s[0:1]
	s_cbranch_execz .LBB56_22
; %bb.21:
	v_lshlrev_b32_e32 v2, 7, v0
	v_add_u32_e32 v6, 0x850, v2
	v_add_u32_e32 v8, 0x400, v2
	ds_read2_b32 v[4:5], v2 offset1:16
	ds_read2_b32 v[6:7], v6 offset1:255
	ds_read2_b32 v[8:9], v8 offset0:17 offset1:33
	v_add_u32_e32 v10, 0x1050, v2
	ds_read2_b32 v[10:11], v10 offset1:255
	s_waitcnt lgkmcnt(1)
	v_fma_f32 v5, -v7, v9, v5
	s_waitcnt lgkmcnt(0)
	v_fma_f32 v5, -v11, v4, v5
	ds_write_b32 v2, v5 offset:64
	v_fma_f32 v5, -v6, v9, v8
	v_fma_f32 v4, -v10, v4, v5
	ds_write_b32 v2, v4 offset:1092
.LBB56_22:
	;; [unrolled: 24-line block ×5, first 2 shown]
	s_or_b64 exec, exec, s[4:5]
	s_movk_i32 s0, 0x80
	v_cmp_gt_u32_e64 s[0:1], s0, v0
	s_waitcnt lgkmcnt(0)
	s_barrier
	s_and_saveexec_b64 s[4:5], s[0:1]
	s_cbranch_execz .LBB56_30
; %bb.29:
	v_lshlrev_b32_e32 v0, 3, v0
	v_add_u32_e32 v2, 0x814, v0
	ds_read2_b64 v[4:7], v0 offset1:129
	ds_read2_b32 v[8:9], v2 offset1:255
	v_add_u32_e32 v2, 0x1014, v0
	ds_read2_b32 v[10:11], v2 offset1:255
	s_waitcnt lgkmcnt(1)
	v_fma_f32 v2, -v9, v7, v5
	v_fma_f32 v5, -v8, v7, v6
	s_waitcnt lgkmcnt(0)
	v_fma_f32 v2, -v11, v4, v2
	ds_write_b32 v0, v2 offset:4
	v_fma_f32 v2, -v10, v4, v5
	ds_write_b32 v0, v2 offset:1032
.LBB56_30:
	s_or_b64 exec, exec, s[4:5]
	s_waitcnt lgkmcnt(0)
	s_barrier
	s_and_saveexec_b64 s[0:1], vcc
	s_cbranch_execz .LBB56_32
; %bb.31:
	v_add_u32_e32 v0, 4, v3
	ds_read2st64_b32 v[3:4], v0 offset1:4
	v_ashrrev_i32_e32 v2, 31, v1
	v_lshlrev_b64 v[5:6], 2, v[1:2]
	v_mov_b32_e32 v2, s3
	v_mad_u64_u32 v[0:1], s[0:1], s12, 31, v[1:2]
	v_add_co_u32_e32 v1, vcc, s2, v5
	v_addc_co_u32_e32 v2, vcc, v2, v6, vcc
	s_waitcnt lgkmcnt(0)
	global_store_dword v[1:2], v4, off
	v_mov_b32_e32 v1, 0
	v_lshlrev_b64 v[0:1], 2, v[0:1]
	v_mov_b32_e32 v2, s3
	v_add_co_u32_e32 v0, vcc, s2, v0
	v_addc_co_u32_e32 v1, vcc, v2, v1, vcc
	global_store_dword v[0:1], v3, off
.LBB56_32:
	s_endpgm
	.section	.rodata,"a",@progbits
	.p2align	6, 0x0
	.amdhsa_kernel _ZN9rocsparseL33gtsv_solve_spike_propagate_kernelILj256ELj32EfEEviiiPT1_PKS1_S4_S4_
		.amdhsa_group_segment_fixed_size 6160
		.amdhsa_private_segment_fixed_size 0
		.amdhsa_kernarg_size 304
		.amdhsa_user_sgpr_count 6
		.amdhsa_user_sgpr_private_segment_buffer 1
		.amdhsa_user_sgpr_dispatch_ptr 0
		.amdhsa_user_sgpr_queue_ptr 0
		.amdhsa_user_sgpr_kernarg_segment_ptr 1
		.amdhsa_user_sgpr_dispatch_id 0
		.amdhsa_user_sgpr_flat_scratch_init 0
		.amdhsa_user_sgpr_private_segment_size 0
		.amdhsa_uses_dynamic_stack 0
		.amdhsa_system_sgpr_private_segment_wavefront_offset 0
		.amdhsa_system_sgpr_workgroup_id_x 1
		.amdhsa_system_sgpr_workgroup_id_y 1
		.amdhsa_system_sgpr_workgroup_id_z 0
		.amdhsa_system_sgpr_workgroup_info 0
		.amdhsa_system_vgpr_workitem_id 0
		.amdhsa_next_free_vgpr 12
		.amdhsa_next_free_sgpr 16
		.amdhsa_reserve_vcc 1
		.amdhsa_reserve_flat_scratch 0
		.amdhsa_float_round_mode_32 0
		.amdhsa_float_round_mode_16_64 0
		.amdhsa_float_denorm_mode_32 3
		.amdhsa_float_denorm_mode_16_64 3
		.amdhsa_dx10_clamp 1
		.amdhsa_ieee_mode 1
		.amdhsa_fp16_overflow 0
		.amdhsa_exception_fp_ieee_invalid_op 0
		.amdhsa_exception_fp_denorm_src 0
		.amdhsa_exception_fp_ieee_div_zero 0
		.amdhsa_exception_fp_ieee_overflow 0
		.amdhsa_exception_fp_ieee_underflow 0
		.amdhsa_exception_fp_ieee_inexact 0
		.amdhsa_exception_int_div_zero 0
	.end_amdhsa_kernel
	.section	.text._ZN9rocsparseL33gtsv_solve_spike_propagate_kernelILj256ELj32EfEEviiiPT1_PKS1_S4_S4_,"axG",@progbits,_ZN9rocsparseL33gtsv_solve_spike_propagate_kernelILj256ELj32EfEEviiiPT1_PKS1_S4_S4_,comdat
.Lfunc_end56:
	.size	_ZN9rocsparseL33gtsv_solve_spike_propagate_kernelILj256ELj32EfEEviiiPT1_PKS1_S4_S4_, .Lfunc_end56-_ZN9rocsparseL33gtsv_solve_spike_propagate_kernelILj256ELj32EfEEviiiPT1_PKS1_S4_S4_
                                        ; -- End function
	.set _ZN9rocsparseL33gtsv_solve_spike_propagate_kernelILj256ELj32EfEEviiiPT1_PKS1_S4_S4_.num_vgpr, 12
	.set _ZN9rocsparseL33gtsv_solve_spike_propagate_kernelILj256ELj32EfEEviiiPT1_PKS1_S4_S4_.num_agpr, 0
	.set _ZN9rocsparseL33gtsv_solve_spike_propagate_kernelILj256ELj32EfEEviiiPT1_PKS1_S4_S4_.numbered_sgpr, 16
	.set _ZN9rocsparseL33gtsv_solve_spike_propagate_kernelILj256ELj32EfEEviiiPT1_PKS1_S4_S4_.num_named_barrier, 0
	.set _ZN9rocsparseL33gtsv_solve_spike_propagate_kernelILj256ELj32EfEEviiiPT1_PKS1_S4_S4_.private_seg_size, 0
	.set _ZN9rocsparseL33gtsv_solve_spike_propagate_kernelILj256ELj32EfEEviiiPT1_PKS1_S4_S4_.uses_vcc, 1
	.set _ZN9rocsparseL33gtsv_solve_spike_propagate_kernelILj256ELj32EfEEviiiPT1_PKS1_S4_S4_.uses_flat_scratch, 0
	.set _ZN9rocsparseL33gtsv_solve_spike_propagate_kernelILj256ELj32EfEEviiiPT1_PKS1_S4_S4_.has_dyn_sized_stack, 0
	.set _ZN9rocsparseL33gtsv_solve_spike_propagate_kernelILj256ELj32EfEEviiiPT1_PKS1_S4_S4_.has_recursion, 0
	.set _ZN9rocsparseL33gtsv_solve_spike_propagate_kernelILj256ELj32EfEEviiiPT1_PKS1_S4_S4_.has_indirect_call, 0
	.section	.AMDGPU.csdata,"",@progbits
; Kernel info:
; codeLenInByte = 1984
; TotalNumSgprs: 20
; NumVgprs: 12
; ScratchSize: 0
; MemoryBound: 0
; FloatMode: 240
; IeeeMode: 1
; LDSByteSize: 6160 bytes/workgroup (compile time only)
; SGPRBlocks: 2
; VGPRBlocks: 2
; NumSGPRsForWavesPerEU: 20
; NumVGPRsForWavesPerEU: 12
; Occupancy: 10
; WaveLimiterHint : 0
; COMPUTE_PGM_RSRC2:SCRATCH_EN: 0
; COMPUTE_PGM_RSRC2:USER_SGPR: 6
; COMPUTE_PGM_RSRC2:TRAP_HANDLER: 0
; COMPUTE_PGM_RSRC2:TGID_X_EN: 1
; COMPUTE_PGM_RSRC2:TGID_Y_EN: 1
; COMPUTE_PGM_RSRC2:TGID_Z_EN: 0
; COMPUTE_PGM_RSRC2:TIDIG_COMP_CNT: 0
	.section	.text._ZN9rocsparseL39gtsv_spike_backward_substitution_kernelILj256ELj32EfEEviiiPT1_PKS1_S4_,"axG",@progbits,_ZN9rocsparseL39gtsv_spike_backward_substitution_kernelILj256ELj32EfEEviiiPT1_PKS1_S4_,comdat
	.globl	_ZN9rocsparseL39gtsv_spike_backward_substitution_kernelILj256ELj32EfEEviiiPT1_PKS1_S4_ ; -- Begin function _ZN9rocsparseL39gtsv_spike_backward_substitution_kernelILj256ELj32EfEEviiiPT1_PKS1_S4_
	.p2align	8
	.type	_ZN9rocsparseL39gtsv_spike_backward_substitution_kernelILj256ELj32EfEEviiiPT1_PKS1_S4_,@function
_ZN9rocsparseL39gtsv_spike_backward_substitution_kernelILj256ELj32EfEEviiiPT1_PKS1_S4_: ; @_ZN9rocsparseL39gtsv_spike_backward_substitution_kernelILj256ELj32EfEEviiiPT1_PKS1_S4_
; %bb.0:
	s_load_dword s12, s[4:5], 0x0
	s_lshl_b32 s6, s6, 8
	v_or_b32_e32 v3, s6, v0
	s_waitcnt lgkmcnt(0)
	s_lshr_b32 s10, s12, 5
	v_cmp_gt_i32_e32 vcc, s10, v3
	s_and_saveexec_b64 s[0:1], vcc
	s_cbranch_execz .LBB57_9
; %bb.1:
	s_load_dwordx2 s[8:9], s[4:5], 0x10
	v_cmp_lt_i32_e32 vcc, 0, v3
	v_mov_b32_e32 v1, 0
	s_mul_i32 s11, s12, s7
	s_and_saveexec_b64 s[0:1], vcc
	s_cbranch_execz .LBB57_3
; %bb.2:
	s_mul_i32 s2, s10, 31
	s_mul_i32 s3, s12, s7
	s_add_i32 s2, s2, s3
	v_add3_u32 v1, v3, s2, -1
	v_mov_b32_e32 v2, 0
	v_lshlrev_b64 v[1:2], 2, v[1:2]
	s_waitcnt lgkmcnt(0)
	v_mov_b32_e32 v4, s9
	v_add_co_u32_e32 v1, vcc, s8, v1
	v_addc_co_u32_e32 v2, vcc, v4, v2, vcc
	global_load_dword v1, v[1:2], off
.LBB57_3:
	s_or_b64 exec, exec, s[0:1]
	s_load_dwordx4 s[0:3], s[4:5], 0x18
	v_add_u32_e32 v2, 32, v3
	v_cmp_le_u32_e32 vcc, s12, v2
	s_and_saveexec_b64 s[4:5], vcc
	s_xor_b64 s[4:5], exec, s[4:5]
; %bb.4:
                                        ; implicit-def: $vgpr3
; %bb.5:
	s_or_saveexec_b64 s[4:5], s[4:5]
	v_mov_b32_e32 v2, 0
	v_mov_b32_e32 v13, s11
	s_xor_b64 exec, exec, s[4:5]
	s_cbranch_execz .LBB57_7
; %bb.6:
	s_ashr_i32 s7, s11, 31
	v_ashrrev_i32_e32 v4, 31, v3
	v_mov_b32_e32 v5, s7
	v_add_co_u32_e32 v2, vcc, s11, v3
	v_addc_co_u32_e32 v3, vcc, v4, v5, vcc
	v_lshlrev_b64 v[2:3], 2, v[2:3]
	s_waitcnt lgkmcnt(0)
	v_mov_b32_e32 v4, s9
	v_add_co_u32_e32 v2, vcc, s8, v2
	v_addc_co_u32_e32 v3, vcc, v4, v3, vcc
	global_load_dword v2, v[2:3], off offset:4
	v_mov_b32_e32 v13, s11
.LBB57_7:
	s_or_b64 exec, exec, s[4:5]
	v_add_u32_e32 v11, v0, v13
	s_lshl_b32 s5, s10, 1
	v_add_u32_e32 v3, s5, v11
	v_add_u32_e32 v4, s5, v0
	s_mul_i32 s5, s10, 3
	v_add_u32_e32 v5, s5, v11
	v_add_u32_e32 v6, s5, v0
	s_lshl_b32 s5, s10, 2
	s_mul_i32 s4, s10, 6
	v_add_u32_e32 v7, s5, v11
	v_add_u32_e32 v8, s5, v0
	s_mul_i32 s5, s10, 5
	v_add_u32_e32 v10, s5, v0
	v_add_u32_e32 v12, s4, v0
	;; [unrolled: 1-line block ×6, first 2 shown]
	s_mov_b32 s5, 30
	s_waitcnt lgkmcnt(0)
	v_mov_b32_e32 v14, s9
	v_mov_b32_e32 v15, s1
	;; [unrolled: 1-line block ×3, first 2 shown]
.LBB57_8:                               ; =>This Inner Loop Header: Depth=1
	v_add_u32_e32 v17, s6, v13
	v_ashrrev_i32_e32 v18, 31, v17
	v_lshlrev_b64 v[17:18], 2, v[17:18]
	v_add_u32_e32 v19, s6, v0
	v_ashrrev_i32_e32 v20, 31, v19
	v_add_co_u32_e32 v17, vcc, s8, v17
	v_lshlrev_b64 v[19:20], 2, v[19:20]
	v_addc_co_u32_e32 v18, vcc, v14, v18, vcc
	v_add_co_u32_e32 v21, vcc, s0, v19
	v_addc_co_u32_e32 v22, vcc, v15, v20, vcc
	v_add_co_u32_e32 v19, vcc, s2, v19
	v_addc_co_u32_e32 v20, vcc, v16, v20, vcc
	global_load_dword v21, v[21:22], off
	s_nop 0
	global_load_dword v22, v[19:20], off
	global_load_dword v23, v[17:18], off
	s_add_i32 s5, s5, -6
	v_add_u32_e32 v0, s4, v0
	v_add_u32_e32 v13, s4, v13
	s_cmp_lg_u32 s5, 0
	s_waitcnt vmcnt(0)
	v_fma_f32 v19, -v1, v21, v23
	v_fma_f32 v19, -v2, v22, v19
	global_store_dword v[17:18], v19, off
	v_add_u32_e32 v17, s6, v3
	v_ashrrev_i32_e32 v18, 31, v17
	v_lshlrev_b64 v[17:18], 2, v[17:18]
	v_add_u32_e32 v19, s6, v4
	v_ashrrev_i32_e32 v20, 31, v19
	v_add_co_u32_e32 v17, vcc, s8, v17
	v_lshlrev_b64 v[19:20], 2, v[19:20]
	v_addc_co_u32_e32 v18, vcc, v14, v18, vcc
	v_add_co_u32_e32 v21, vcc, s0, v19
	v_addc_co_u32_e32 v22, vcc, v15, v20, vcc
	v_add_co_u32_e32 v19, vcc, s2, v19
	v_addc_co_u32_e32 v20, vcc, v16, v20, vcc
	global_load_dword v21, v[21:22], off
	s_nop 0
	global_load_dword v22, v[19:20], off
	global_load_dword v23, v[17:18], off
	v_add_u32_e32 v3, s4, v3
	v_add_u32_e32 v4, s4, v4
	s_waitcnt vmcnt(0)
	v_fma_f32 v19, -v1, v21, v23
	v_fma_f32 v19, -v2, v22, v19
	global_store_dword v[17:18], v19, off
	v_add_u32_e32 v17, s6, v5
	v_ashrrev_i32_e32 v18, 31, v17
	v_lshlrev_b64 v[17:18], 2, v[17:18]
	v_add_u32_e32 v19, s6, v6
	v_ashrrev_i32_e32 v20, 31, v19
	v_add_co_u32_e32 v17, vcc, s8, v17
	v_lshlrev_b64 v[19:20], 2, v[19:20]
	v_addc_co_u32_e32 v18, vcc, v14, v18, vcc
	v_add_co_u32_e32 v21, vcc, s0, v19
	v_addc_co_u32_e32 v22, vcc, v15, v20, vcc
	v_add_co_u32_e32 v19, vcc, s2, v19
	v_addc_co_u32_e32 v20, vcc, v16, v20, vcc
	global_load_dword v21, v[21:22], off
	s_nop 0
	global_load_dword v22, v[19:20], off
	global_load_dword v23, v[17:18], off
	v_add_u32_e32 v5, s4, v5
	v_add_u32_e32 v6, s4, v6
	s_waitcnt vmcnt(0)
	v_fma_f32 v19, -v1, v21, v23
	v_fma_f32 v19, -v2, v22, v19
	global_store_dword v[17:18], v19, off
	v_add_u32_e32 v17, s6, v7
	v_ashrrev_i32_e32 v18, 31, v17
	v_lshlrev_b64 v[17:18], 2, v[17:18]
	v_add_u32_e32 v19, s6, v8
	v_ashrrev_i32_e32 v20, 31, v19
	v_add_co_u32_e32 v17, vcc, s8, v17
	v_lshlrev_b64 v[19:20], 2, v[19:20]
	v_addc_co_u32_e32 v18, vcc, v14, v18, vcc
	v_add_co_u32_e32 v21, vcc, s0, v19
	v_addc_co_u32_e32 v22, vcc, v15, v20, vcc
	v_add_co_u32_e32 v19, vcc, s2, v19
	v_addc_co_u32_e32 v20, vcc, v16, v20, vcc
	global_load_dword v21, v[21:22], off
	s_nop 0
	global_load_dword v22, v[19:20], off
	global_load_dword v23, v[17:18], off
	v_add_u32_e32 v7, s4, v7
	v_add_u32_e32 v8, s4, v8
	s_waitcnt vmcnt(0)
	v_fma_f32 v19, -v1, v21, v23
	v_fma_f32 v19, -v2, v22, v19
	global_store_dword v[17:18], v19, off
	v_add_u32_e32 v17, s6, v9
	v_ashrrev_i32_e32 v18, 31, v17
	v_lshlrev_b64 v[17:18], 2, v[17:18]
	v_add_u32_e32 v19, s6, v10
	v_ashrrev_i32_e32 v20, 31, v19
	v_add_co_u32_e32 v17, vcc, s8, v17
	v_lshlrev_b64 v[19:20], 2, v[19:20]
	v_addc_co_u32_e32 v18, vcc, v14, v18, vcc
	v_add_co_u32_e32 v21, vcc, s0, v19
	v_addc_co_u32_e32 v22, vcc, v15, v20, vcc
	v_add_co_u32_e32 v19, vcc, s2, v19
	v_addc_co_u32_e32 v20, vcc, v16, v20, vcc
	global_load_dword v21, v[21:22], off
	s_nop 0
	global_load_dword v22, v[19:20], off
	global_load_dword v23, v[17:18], off
	v_add_u32_e32 v9, s4, v9
	v_add_u32_e32 v10, s4, v10
	s_waitcnt vmcnt(0)
	v_fma_f32 v19, -v1, v21, v23
	v_fma_f32 v19, -v2, v22, v19
	global_store_dword v[17:18], v19, off
	v_add_u32_e32 v17, s6, v11
	v_ashrrev_i32_e32 v18, 31, v17
	v_lshlrev_b64 v[17:18], 2, v[17:18]
	v_add_u32_e32 v19, s6, v12
	v_ashrrev_i32_e32 v20, 31, v19
	v_add_co_u32_e32 v17, vcc, s8, v17
	v_lshlrev_b64 v[19:20], 2, v[19:20]
	v_addc_co_u32_e32 v18, vcc, v14, v18, vcc
	v_add_co_u32_e32 v21, vcc, s0, v19
	v_addc_co_u32_e32 v22, vcc, v15, v20, vcc
	v_add_co_u32_e32 v19, vcc, s2, v19
	v_addc_co_u32_e32 v20, vcc, v16, v20, vcc
	global_load_dword v21, v[21:22], off
	s_nop 0
	global_load_dword v22, v[19:20], off
	global_load_dword v23, v[17:18], off
	v_add_u32_e32 v11, s4, v11
	v_add_u32_e32 v12, s4, v12
	s_waitcnt vmcnt(0)
	v_fma_f32 v19, -v1, v21, v23
	v_fma_f32 v19, -v2, v22, v19
	global_store_dword v[17:18], v19, off
	s_cbranch_scc1 .LBB57_8
.LBB57_9:
	s_endpgm
	.section	.rodata,"a",@progbits
	.p2align	6, 0x0
	.amdhsa_kernel _ZN9rocsparseL39gtsv_spike_backward_substitution_kernelILj256ELj32EfEEviiiPT1_PKS1_S4_
		.amdhsa_group_segment_fixed_size 0
		.amdhsa_private_segment_fixed_size 0
		.amdhsa_kernarg_size 40
		.amdhsa_user_sgpr_count 6
		.amdhsa_user_sgpr_private_segment_buffer 1
		.amdhsa_user_sgpr_dispatch_ptr 0
		.amdhsa_user_sgpr_queue_ptr 0
		.amdhsa_user_sgpr_kernarg_segment_ptr 1
		.amdhsa_user_sgpr_dispatch_id 0
		.amdhsa_user_sgpr_flat_scratch_init 0
		.amdhsa_user_sgpr_private_segment_size 0
		.amdhsa_uses_dynamic_stack 0
		.amdhsa_system_sgpr_private_segment_wavefront_offset 0
		.amdhsa_system_sgpr_workgroup_id_x 1
		.amdhsa_system_sgpr_workgroup_id_y 1
		.amdhsa_system_sgpr_workgroup_id_z 0
		.amdhsa_system_sgpr_workgroup_info 0
		.amdhsa_system_vgpr_workitem_id 0
		.amdhsa_next_free_vgpr 24
		.amdhsa_next_free_sgpr 13
		.amdhsa_reserve_vcc 1
		.amdhsa_reserve_flat_scratch 0
		.amdhsa_float_round_mode_32 0
		.amdhsa_float_round_mode_16_64 0
		.amdhsa_float_denorm_mode_32 3
		.amdhsa_float_denorm_mode_16_64 3
		.amdhsa_dx10_clamp 1
		.amdhsa_ieee_mode 1
		.amdhsa_fp16_overflow 0
		.amdhsa_exception_fp_ieee_invalid_op 0
		.amdhsa_exception_fp_denorm_src 0
		.amdhsa_exception_fp_ieee_div_zero 0
		.amdhsa_exception_fp_ieee_overflow 0
		.amdhsa_exception_fp_ieee_underflow 0
		.amdhsa_exception_fp_ieee_inexact 0
		.amdhsa_exception_int_div_zero 0
	.end_amdhsa_kernel
	.section	.text._ZN9rocsparseL39gtsv_spike_backward_substitution_kernelILj256ELj32EfEEviiiPT1_PKS1_S4_,"axG",@progbits,_ZN9rocsparseL39gtsv_spike_backward_substitution_kernelILj256ELj32EfEEviiiPT1_PKS1_S4_,comdat
.Lfunc_end57:
	.size	_ZN9rocsparseL39gtsv_spike_backward_substitution_kernelILj256ELj32EfEEviiiPT1_PKS1_S4_, .Lfunc_end57-_ZN9rocsparseL39gtsv_spike_backward_substitution_kernelILj256ELj32EfEEviiiPT1_PKS1_S4_
                                        ; -- End function
	.set _ZN9rocsparseL39gtsv_spike_backward_substitution_kernelILj256ELj32EfEEviiiPT1_PKS1_S4_.num_vgpr, 24
	.set _ZN9rocsparseL39gtsv_spike_backward_substitution_kernelILj256ELj32EfEEviiiPT1_PKS1_S4_.num_agpr, 0
	.set _ZN9rocsparseL39gtsv_spike_backward_substitution_kernelILj256ELj32EfEEviiiPT1_PKS1_S4_.numbered_sgpr, 13
	.set _ZN9rocsparseL39gtsv_spike_backward_substitution_kernelILj256ELj32EfEEviiiPT1_PKS1_S4_.num_named_barrier, 0
	.set _ZN9rocsparseL39gtsv_spike_backward_substitution_kernelILj256ELj32EfEEviiiPT1_PKS1_S4_.private_seg_size, 0
	.set _ZN9rocsparseL39gtsv_spike_backward_substitution_kernelILj256ELj32EfEEviiiPT1_PKS1_S4_.uses_vcc, 1
	.set _ZN9rocsparseL39gtsv_spike_backward_substitution_kernelILj256ELj32EfEEviiiPT1_PKS1_S4_.uses_flat_scratch, 0
	.set _ZN9rocsparseL39gtsv_spike_backward_substitution_kernelILj256ELj32EfEEviiiPT1_PKS1_S4_.has_dyn_sized_stack, 0
	.set _ZN9rocsparseL39gtsv_spike_backward_substitution_kernelILj256ELj32EfEEviiiPT1_PKS1_S4_.has_recursion, 0
	.set _ZN9rocsparseL39gtsv_spike_backward_substitution_kernelILj256ELj32EfEEviiiPT1_PKS1_S4_.has_indirect_call, 0
	.section	.AMDGPU.csdata,"",@progbits
; Kernel info:
; codeLenInByte = 1056
; TotalNumSgprs: 17
; NumVgprs: 24
; ScratchSize: 0
; MemoryBound: 0
; FloatMode: 240
; IeeeMode: 1
; LDSByteSize: 0 bytes/workgroup (compile time only)
; SGPRBlocks: 2
; VGPRBlocks: 5
; NumSGPRsForWavesPerEU: 17
; NumVGPRsForWavesPerEU: 24
; Occupancy: 10
; WaveLimiterHint : 0
; COMPUTE_PGM_RSRC2:SCRATCH_EN: 0
; COMPUTE_PGM_RSRC2:USER_SGPR: 6
; COMPUTE_PGM_RSRC2:TRAP_HANDLER: 0
; COMPUTE_PGM_RSRC2:TGID_X_EN: 1
; COMPUTE_PGM_RSRC2:TGID_Y_EN: 1
; COMPUTE_PGM_RSRC2:TGID_Z_EN: 0
; COMPUTE_PGM_RSRC2:TIDIG_COMP_CNT: 0
	.section	.text._ZN9rocsparseL32gtsv_transpose_back_array_kernelILj256ELj32EfEEviiiPKT1_PS1_,"axG",@progbits,_ZN9rocsparseL32gtsv_transpose_back_array_kernelILj256ELj32EfEEviiiPKT1_PS1_,comdat
	.globl	_ZN9rocsparseL32gtsv_transpose_back_array_kernelILj256ELj32EfEEviiiPKT1_PS1_ ; -- Begin function _ZN9rocsparseL32gtsv_transpose_back_array_kernelILj256ELj32EfEEviiiPKT1_PS1_
	.p2align	8
	.type	_ZN9rocsparseL32gtsv_transpose_back_array_kernelILj256ELj32EfEEviiiPKT1_PS1_,@function
_ZN9rocsparseL32gtsv_transpose_back_array_kernelILj256ELj32EfEEviiiPKT1_PS1_: ; @_ZN9rocsparseL32gtsv_transpose_back_array_kernelILj256ELj32EfEEviiiPKT1_PS1_
; %bb.0:
	s_load_dwordx4 s[0:3], s[4:5], 0x0
	v_lshl_or_b32 v0, s6, 8, v0
	v_lshlrev_b32_e32 v3, 5, v0
	s_waitcnt lgkmcnt(0)
	v_cvt_f32_u32_e32 v1, s1
	s_sub_i32 s3, 0, s1
	v_rcp_iflag_f32_e32 v1, v1
	v_mul_f32_e32 v1, 0x4f7ffffe, v1
	v_cvt_u32_f32_e32 v1, v1
	v_mul_lo_u32 v2, s3, v1
	v_mul_hi_u32 v2, v1, v2
	v_add_u32_e32 v1, v1, v2
	v_mul_hi_u32 v1, v3, v1
	v_mul_lo_u32 v2, v1, s1
	v_add_u32_e32 v4, 1, v1
	v_sub_u32_e32 v2, v3, v2
	v_cmp_le_u32_e32 vcc, s1, v2
	v_cndmask_b32_e32 v1, v1, v4, vcc
	v_subrev_u32_e32 v4, s1, v2
	v_cndmask_b32_e32 v2, v2, v4, vcc
	v_add_u32_e32 v4, 1, v1
	v_cmp_le_u32_e32 vcc, s1, v2
	v_cndmask_b32_e32 v1, v1, v4, vcc
	v_mul_lo_u32 v2, v1, s1
	v_sub_u32_e32 v2, v3, v2
	v_add_u32_e32 v1, v1, v2
	v_cmp_gt_i32_e32 vcc, s0, v1
	s_and_saveexec_b64 s[8:9], vcc
	s_cbranch_execz .LBB58_2
; %bb.1:
	s_load_dwordx4 s[8:11], s[4:5], 0x10
	s_mul_i32 s0, s1, s7
	v_add_u32_e32 v2, s0, v0
	v_ashrrev_i32_e32 v3, 31, v2
	v_lshlrev_b64 v[2:3], 2, v[2:3]
	s_waitcnt lgkmcnt(0)
	v_mov_b32_e32 v0, s9
	v_add_co_u32_e32 v2, vcc, s8, v2
	v_addc_co_u32_e32 v3, vcc, v0, v3, vcc
	global_load_dword v2, v[2:3], off
	s_mul_i32 s0, s2, s7
	v_add_u32_e32 v0, s0, v1
	v_ashrrev_i32_e32 v1, 31, v0
	v_lshlrev_b64 v[0:1], 2, v[0:1]
	v_mov_b32_e32 v3, s11
	v_add_co_u32_e32 v0, vcc, s10, v0
	v_addc_co_u32_e32 v1, vcc, v3, v1, vcc
	s_waitcnt vmcnt(0)
	global_store_dword v[0:1], v2, off
.LBB58_2:
	s_endpgm
	.section	.rodata,"a",@progbits
	.p2align	6, 0x0
	.amdhsa_kernel _ZN9rocsparseL32gtsv_transpose_back_array_kernelILj256ELj32EfEEviiiPKT1_PS1_
		.amdhsa_group_segment_fixed_size 0
		.amdhsa_private_segment_fixed_size 0
		.amdhsa_kernarg_size 32
		.amdhsa_user_sgpr_count 6
		.amdhsa_user_sgpr_private_segment_buffer 1
		.amdhsa_user_sgpr_dispatch_ptr 0
		.amdhsa_user_sgpr_queue_ptr 0
		.amdhsa_user_sgpr_kernarg_segment_ptr 1
		.amdhsa_user_sgpr_dispatch_id 0
		.amdhsa_user_sgpr_flat_scratch_init 0
		.amdhsa_user_sgpr_private_segment_size 0
		.amdhsa_uses_dynamic_stack 0
		.amdhsa_system_sgpr_private_segment_wavefront_offset 0
		.amdhsa_system_sgpr_workgroup_id_x 1
		.amdhsa_system_sgpr_workgroup_id_y 1
		.amdhsa_system_sgpr_workgroup_id_z 0
		.amdhsa_system_sgpr_workgroup_info 0
		.amdhsa_system_vgpr_workitem_id 0
		.amdhsa_next_free_vgpr 5
		.amdhsa_next_free_sgpr 12
		.amdhsa_reserve_vcc 1
		.amdhsa_reserve_flat_scratch 0
		.amdhsa_float_round_mode_32 0
		.amdhsa_float_round_mode_16_64 0
		.amdhsa_float_denorm_mode_32 3
		.amdhsa_float_denorm_mode_16_64 3
		.amdhsa_dx10_clamp 1
		.amdhsa_ieee_mode 1
		.amdhsa_fp16_overflow 0
		.amdhsa_exception_fp_ieee_invalid_op 0
		.amdhsa_exception_fp_denorm_src 0
		.amdhsa_exception_fp_ieee_div_zero 0
		.amdhsa_exception_fp_ieee_overflow 0
		.amdhsa_exception_fp_ieee_underflow 0
		.amdhsa_exception_fp_ieee_inexact 0
		.amdhsa_exception_int_div_zero 0
	.end_amdhsa_kernel
	.section	.text._ZN9rocsparseL32gtsv_transpose_back_array_kernelILj256ELj32EfEEviiiPKT1_PS1_,"axG",@progbits,_ZN9rocsparseL32gtsv_transpose_back_array_kernelILj256ELj32EfEEviiiPKT1_PS1_,comdat
.Lfunc_end58:
	.size	_ZN9rocsparseL32gtsv_transpose_back_array_kernelILj256ELj32EfEEviiiPKT1_PS1_, .Lfunc_end58-_ZN9rocsparseL32gtsv_transpose_back_array_kernelILj256ELj32EfEEviiiPKT1_PS1_
                                        ; -- End function
	.set _ZN9rocsparseL32gtsv_transpose_back_array_kernelILj256ELj32EfEEviiiPKT1_PS1_.num_vgpr, 5
	.set _ZN9rocsparseL32gtsv_transpose_back_array_kernelILj256ELj32EfEEviiiPKT1_PS1_.num_agpr, 0
	.set _ZN9rocsparseL32gtsv_transpose_back_array_kernelILj256ELj32EfEEviiiPKT1_PS1_.numbered_sgpr, 12
	.set _ZN9rocsparseL32gtsv_transpose_back_array_kernelILj256ELj32EfEEviiiPKT1_PS1_.num_named_barrier, 0
	.set _ZN9rocsparseL32gtsv_transpose_back_array_kernelILj256ELj32EfEEviiiPKT1_PS1_.private_seg_size, 0
	.set _ZN9rocsparseL32gtsv_transpose_back_array_kernelILj256ELj32EfEEviiiPKT1_PS1_.uses_vcc, 1
	.set _ZN9rocsparseL32gtsv_transpose_back_array_kernelILj256ELj32EfEEviiiPKT1_PS1_.uses_flat_scratch, 0
	.set _ZN9rocsparseL32gtsv_transpose_back_array_kernelILj256ELj32EfEEviiiPKT1_PS1_.has_dyn_sized_stack, 0
	.set _ZN9rocsparseL32gtsv_transpose_back_array_kernelILj256ELj32EfEEviiiPKT1_PS1_.has_recursion, 0
	.set _ZN9rocsparseL32gtsv_transpose_back_array_kernelILj256ELj32EfEEviiiPKT1_PS1_.has_indirect_call, 0
	.section	.AMDGPU.csdata,"",@progbits
; Kernel info:
; codeLenInByte = 248
; TotalNumSgprs: 16
; NumVgprs: 5
; ScratchSize: 0
; MemoryBound: 0
; FloatMode: 240
; IeeeMode: 1
; LDSByteSize: 0 bytes/workgroup (compile time only)
; SGPRBlocks: 1
; VGPRBlocks: 1
; NumSGPRsForWavesPerEU: 16
; NumVGPRsForWavesPerEU: 5
; Occupancy: 10
; WaveLimiterHint : 0
; COMPUTE_PGM_RSRC2:SCRATCH_EN: 0
; COMPUTE_PGM_RSRC2:USER_SGPR: 6
; COMPUTE_PGM_RSRC2:TRAP_HANDLER: 0
; COMPUTE_PGM_RSRC2:TGID_X_EN: 1
; COMPUTE_PGM_RSRC2:TGID_Y_EN: 1
; COMPUTE_PGM_RSRC2:TGID_Z_EN: 0
; COMPUTE_PGM_RSRC2:TIDIG_COMP_CNT: 0
	.section	.text._ZN9rocsparseL42gtsv_transpose_and_pad_array_shared_kernelILj256ELj64EfEEviiiPKT1_PS1_S1_,"axG",@progbits,_ZN9rocsparseL42gtsv_transpose_and_pad_array_shared_kernelILj256ELj64EfEEviiiPKT1_PS1_S1_,comdat
	.globl	_ZN9rocsparseL42gtsv_transpose_and_pad_array_shared_kernelILj256ELj64EfEEviiiPKT1_PS1_S1_ ; -- Begin function _ZN9rocsparseL42gtsv_transpose_and_pad_array_shared_kernelILj256ELj64EfEEviiiPKT1_PS1_S1_
	.p2align	8
	.type	_ZN9rocsparseL42gtsv_transpose_and_pad_array_shared_kernelILj256ELj64EfEEviiiPKT1_PS1_S1_,@function
_ZN9rocsparseL42gtsv_transpose_and_pad_array_shared_kernelILj256ELj64EfEEviiiPKT1_PS1_S1_: ; @_ZN9rocsparseL42gtsv_transpose_and_pad_array_shared_kernelILj256ELj64EfEEviiiPKT1_PS1_S1_
; %bb.0:
	s_load_dwordx4 s[0:3], s[4:5], 0x0
	s_waitcnt lgkmcnt(0)
	s_load_dword s3, s[4:5], 0x20
	v_lshl_or_b32 v2, s6, 8, v0
	v_cmp_gt_i32_e32 vcc, s0, v2
	s_waitcnt lgkmcnt(0)
	v_mov_b32_e32 v1, s3
	s_and_saveexec_b64 s[8:9], vcc
	s_cbranch_execz .LBB59_2
; %bb.1:
	s_load_dwordx2 s[10:11], s[4:5], 0x10
	s_mul_i32 s0, s2, s7
	v_add_u32_e32 v1, s0, v2
	v_ashrrev_i32_e32 v2, 31, v1
	v_lshlrev_b64 v[1:2], 2, v[1:2]
	s_waitcnt lgkmcnt(0)
	v_mov_b32_e32 v3, s11
	v_add_co_u32_e32 v1, vcc, s10, v1
	v_addc_co_u32_e32 v2, vcc, v3, v2, vcc
	global_load_dword v1, v[1:2], off
.LBB59_2:
	s_or_b64 exec, exec, s[8:9]
	v_lshrrev_b32_e32 v2, 2, v0
	v_and_b32_e32 v3, 3, v0
	v_lshlrev_b32_e32 v0, 2, v0
	s_waitcnt vmcnt(0)
	ds_write_b32 v0, v1
	s_lshr_b32 s0, s1, 6
	v_lshl_or_b32 v0, s6, 2, v3
	v_mad_u64_u32 v[0:1], s[2:3], s0, v2, v[0:1]
	s_waitcnt lgkmcnt(0)
	s_barrier
	v_cmp_gt_i32_e32 vcc, s1, v0
	s_and_saveexec_b64 s[2:3], vcc
	s_cbranch_execz .LBB59_4
; %bb.3:
	s_load_dwordx2 s[2:3], s[4:5], 0x18
	v_lshlrev_b32_e32 v1, 2, v2
	s_mul_i32 s0, s1, s7
	v_lshl_or_b32 v1, v3, 8, v1
	v_add_u32_e32 v0, s0, v0
	ds_read_b32 v2, v1
	v_ashrrev_i32_e32 v1, 31, v0
	v_lshlrev_b64 v[0:1], 2, v[0:1]
	s_waitcnt lgkmcnt(0)
	v_mov_b32_e32 v3, s3
	v_add_co_u32_e32 v0, vcc, s2, v0
	v_addc_co_u32_e32 v1, vcc, v3, v1, vcc
	global_store_dword v[0:1], v2, off
.LBB59_4:
	s_endpgm
	.section	.rodata,"a",@progbits
	.p2align	6, 0x0
	.amdhsa_kernel _ZN9rocsparseL42gtsv_transpose_and_pad_array_shared_kernelILj256ELj64EfEEviiiPKT1_PS1_S1_
		.amdhsa_group_segment_fixed_size 1024
		.amdhsa_private_segment_fixed_size 0
		.amdhsa_kernarg_size 36
		.amdhsa_user_sgpr_count 6
		.amdhsa_user_sgpr_private_segment_buffer 1
		.amdhsa_user_sgpr_dispatch_ptr 0
		.amdhsa_user_sgpr_queue_ptr 0
		.amdhsa_user_sgpr_kernarg_segment_ptr 1
		.amdhsa_user_sgpr_dispatch_id 0
		.amdhsa_user_sgpr_flat_scratch_init 0
		.amdhsa_user_sgpr_private_segment_size 0
		.amdhsa_uses_dynamic_stack 0
		.amdhsa_system_sgpr_private_segment_wavefront_offset 0
		.amdhsa_system_sgpr_workgroup_id_x 1
		.amdhsa_system_sgpr_workgroup_id_y 1
		.amdhsa_system_sgpr_workgroup_id_z 0
		.amdhsa_system_sgpr_workgroup_info 0
		.amdhsa_system_vgpr_workitem_id 0
		.amdhsa_next_free_vgpr 4
		.amdhsa_next_free_sgpr 12
		.amdhsa_reserve_vcc 1
		.amdhsa_reserve_flat_scratch 0
		.amdhsa_float_round_mode_32 0
		.amdhsa_float_round_mode_16_64 0
		.amdhsa_float_denorm_mode_32 3
		.amdhsa_float_denorm_mode_16_64 3
		.amdhsa_dx10_clamp 1
		.amdhsa_ieee_mode 1
		.amdhsa_fp16_overflow 0
		.amdhsa_exception_fp_ieee_invalid_op 0
		.amdhsa_exception_fp_denorm_src 0
		.amdhsa_exception_fp_ieee_div_zero 0
		.amdhsa_exception_fp_ieee_overflow 0
		.amdhsa_exception_fp_ieee_underflow 0
		.amdhsa_exception_fp_ieee_inexact 0
		.amdhsa_exception_int_div_zero 0
	.end_amdhsa_kernel
	.section	.text._ZN9rocsparseL42gtsv_transpose_and_pad_array_shared_kernelILj256ELj64EfEEviiiPKT1_PS1_S1_,"axG",@progbits,_ZN9rocsparseL42gtsv_transpose_and_pad_array_shared_kernelILj256ELj64EfEEviiiPKT1_PS1_S1_,comdat
.Lfunc_end59:
	.size	_ZN9rocsparseL42gtsv_transpose_and_pad_array_shared_kernelILj256ELj64EfEEviiiPKT1_PS1_S1_, .Lfunc_end59-_ZN9rocsparseL42gtsv_transpose_and_pad_array_shared_kernelILj256ELj64EfEEviiiPKT1_PS1_S1_
                                        ; -- End function
	.set _ZN9rocsparseL42gtsv_transpose_and_pad_array_shared_kernelILj256ELj64EfEEviiiPKT1_PS1_S1_.num_vgpr, 4
	.set _ZN9rocsparseL42gtsv_transpose_and_pad_array_shared_kernelILj256ELj64EfEEviiiPKT1_PS1_S1_.num_agpr, 0
	.set _ZN9rocsparseL42gtsv_transpose_and_pad_array_shared_kernelILj256ELj64EfEEviiiPKT1_PS1_S1_.numbered_sgpr, 12
	.set _ZN9rocsparseL42gtsv_transpose_and_pad_array_shared_kernelILj256ELj64EfEEviiiPKT1_PS1_S1_.num_named_barrier, 0
	.set _ZN9rocsparseL42gtsv_transpose_and_pad_array_shared_kernelILj256ELj64EfEEviiiPKT1_PS1_S1_.private_seg_size, 0
	.set _ZN9rocsparseL42gtsv_transpose_and_pad_array_shared_kernelILj256ELj64EfEEviiiPKT1_PS1_S1_.uses_vcc, 1
	.set _ZN9rocsparseL42gtsv_transpose_and_pad_array_shared_kernelILj256ELj64EfEEviiiPKT1_PS1_S1_.uses_flat_scratch, 0
	.set _ZN9rocsparseL42gtsv_transpose_and_pad_array_shared_kernelILj256ELj64EfEEviiiPKT1_PS1_S1_.has_dyn_sized_stack, 0
	.set _ZN9rocsparseL42gtsv_transpose_and_pad_array_shared_kernelILj256ELj64EfEEviiiPKT1_PS1_S1_.has_recursion, 0
	.set _ZN9rocsparseL42gtsv_transpose_and_pad_array_shared_kernelILj256ELj64EfEEviiiPKT1_PS1_S1_.has_indirect_call, 0
	.section	.AMDGPU.csdata,"",@progbits
; Kernel info:
; codeLenInByte = 244
; TotalNumSgprs: 16
; NumVgprs: 4
; ScratchSize: 0
; MemoryBound: 0
; FloatMode: 240
; IeeeMode: 1
; LDSByteSize: 1024 bytes/workgroup (compile time only)
; SGPRBlocks: 1
; VGPRBlocks: 0
; NumSGPRsForWavesPerEU: 16
; NumVGPRsForWavesPerEU: 4
; Occupancy: 10
; WaveLimiterHint : 0
; COMPUTE_PGM_RSRC2:SCRATCH_EN: 0
; COMPUTE_PGM_RSRC2:USER_SGPR: 6
; COMPUTE_PGM_RSRC2:TRAP_HANDLER: 0
; COMPUTE_PGM_RSRC2:TGID_X_EN: 1
; COMPUTE_PGM_RSRC2:TGID_Y_EN: 1
; COMPUTE_PGM_RSRC2:TGID_Z_EN: 0
; COMPUTE_PGM_RSRC2:TIDIG_COMP_CNT: 0
	.section	.text._ZN9rocsparseL18gtsv_LBM_wv_kernelILj256ELj64EfEEviiiPKT1_S3_S3_PS1_S4_S4_Pi,"axG",@progbits,_ZN9rocsparseL18gtsv_LBM_wv_kernelILj256ELj64EfEEviiiPKT1_S3_S3_PS1_S4_S4_Pi,comdat
	.globl	_ZN9rocsparseL18gtsv_LBM_wv_kernelILj256ELj64EfEEviiiPKT1_S3_S3_PS1_S4_S4_Pi ; -- Begin function _ZN9rocsparseL18gtsv_LBM_wv_kernelILj256ELj64EfEEviiiPKT1_S3_S3_PS1_S4_S4_Pi
	.p2align	8
	.type	_ZN9rocsparseL18gtsv_LBM_wv_kernelILj256ELj64EfEEviiiPKT1_S3_S3_PS1_S4_S4_Pi,@function
_ZN9rocsparseL18gtsv_LBM_wv_kernelILj256ELj64EfEEviiiPKT1_S3_S3_PS1_S4_S4_Pi: ; @_ZN9rocsparseL18gtsv_LBM_wv_kernelILj256ELj64EfEEviiiPKT1_S3_S3_PS1_S4_S4_Pi
; %bb.0:
	s_load_dword s27, s[4:5], 0x0
	v_lshl_or_b32 v0, s6, 8, v0
	s_waitcnt lgkmcnt(0)
	s_lshr_b32 s26, s27, 6
	v_cmp_gt_i32_e32 vcc, s26, v0
	s_and_saveexec_b64 s[0:1], vcc
	s_cbranch_execz .LBB60_30
; %bb.1:
	s_load_dwordx2 s[16:17], s[4:5], 0x10
	s_load_dwordx8 s[8:15], s[4:5], 0x20
	v_ashrrev_i32_e32 v1, 31, v0
	v_lshlrev_b64 v[4:5], 2, v[0:1]
	s_mul_i32 s28, s26, 63
	s_waitcnt lgkmcnt(0)
	v_mov_b32_e32 v2, s17
	v_add_co_u32_e32 v1, vcc, s16, v4
	v_addc_co_u32_e32 v2, vcc, v2, v5, vcc
	global_load_dword v8, v[1:2], off
	v_add_u32_e32 v2, s28, v0
	v_mov_b32_e32 v3, 0
	v_lshlrev_b64 v[6:7], 2, v[2:3]
	v_mov_b32_e32 v2, s9
	v_add_co_u32_e32 v1, vcc, s8, v6
	v_addc_co_u32_e32 v2, vcc, v2, v7, vcc
	global_load_dword v9, v[1:2], off
	s_load_dwordx2 s[6:7], s[4:5], 0x40
	v_mov_b32_e32 v2, s11
	v_add_co_u32_e32 v1, vcc, s10, v4
	v_addc_co_u32_e32 v2, vcc, v2, v5, vcc
	s_cmp_lt_i32 s27, 1
	v_add_u32_e32 v10, s26, v0
	v_mov_b32_e32 v11, s13
	v_add_co_u32_e32 v6, vcc, s12, v6
	v_addc_co_u32_e32 v7, vcc, v11, v7, vcc
	s_waitcnt vmcnt(1)
	global_store_dword v[1:2], v8, off
	s_waitcnt vmcnt(1)
	global_store_dword v[6:7], v9, off
	s_cbranch_scc1 .LBB60_23
; %bb.2:
	s_load_dwordx2 s[18:19], s[4:5], 0x18
	s_mov_b32 s22, 0x372fe950
	s_mul_i32 s29, s26, 62
	s_lshl_b32 s30, s26, 1
	v_add_u32_e32 v11, s26, v10
	s_waitcnt lgkmcnt(0)
	v_mov_b32_e32 v6, s19
	v_add_co_u32_e32 v3, vcc, s18, v4
	v_addc_co_u32_e32 v4, vcc, v6, v5, vcc
	global_load_dword v15, v[3:4], off
	v_mov_b32_e32 v3, 0
	s_mov_b64 s[20:21], 0
	s_mov_b32 s23, 0x3fe3c6ef
	v_mov_b32_e32 v12, 2
	v_mov_b32_e32 v13, 1
	;; [unrolled: 1-line block ×3, first 2 shown]
	s_branch .LBB60_5
.LBB60_3:                               ;   in Loop: Header=BB60_5 Depth=1
	s_or_b64 exec, exec, s[4:5]
	v_fma_f32 v15, -v5, v7, v17
	v_mov_b32_e32 v4, s26
.LBB60_4:                               ;   in Loop: Header=BB60_5 Depth=1
	s_or_b64 exec, exec, s[2:3]
	v_add_u32_e32 v3, v4, v3
	v_cmp_le_i32_e32 vcc, s27, v3
	s_or_b64 s[20:21], vcc, s[20:21]
	s_andn2_b64 exec, exec, s[20:21]
	s_cbranch_execz .LBB60_22
.LBB60_5:                               ; =>This Inner Loop Header: Depth=1
	v_add_u32_e32 v4, v3, v0
	v_ashrrev_i32_e32 v5, 31, v4
	v_lshlrev_b64 v[5:6], 2, v[4:5]
	v_cmp_gt_u32_e64 s[0:1], s28, v3
	v_add_co_u32_e32 v7, vcc, s8, v5
	v_addc_co_u32_e32 v8, vcc, v14, v6, vcc
	global_load_dword v18, v[7:8], off
	v_mov_b32_e32 v16, 0
	s_and_saveexec_b64 s[2:3], s[0:1]
	s_cbranch_execz .LBB60_7
; %bb.6:                                ;   in Loop: Header=BB60_5 Depth=1
	v_add_u32_e32 v7, v10, v3
	v_ashrrev_i32_e32 v8, 31, v7
	v_lshlrev_b64 v[7:8], 2, v[7:8]
	v_mov_b32_e32 v4, s17
	v_add_co_u32_e32 v7, vcc, s16, v7
	v_addc_co_u32_e32 v8, vcc, v4, v8, vcc
	global_load_dword v16, v[7:8], off
.LBB60_7:                               ;   in Loop: Header=BB60_5 Depth=1
	s_or_b64 exec, exec, s[2:3]
	v_mov_b32_e32 v19, 0
	v_mov_b32_e32 v17, 0
	s_and_saveexec_b64 s[2:3], s[0:1]
	s_cbranch_execz .LBB60_9
; %bb.8:                                ;   in Loop: Header=BB60_5 Depth=1
	v_add_u32_e32 v7, v10, v3
	v_ashrrev_i32_e32 v8, 31, v7
	v_lshlrev_b64 v[7:8], 2, v[7:8]
	v_mov_b32_e32 v4, s19
	v_add_co_u32_e32 v7, vcc, s18, v7
	v_addc_co_u32_e32 v8, vcc, v4, v8, vcc
	global_load_dword v17, v[7:8], off
.LBB60_9:                               ;   in Loop: Header=BB60_5 Depth=1
	s_or_b64 exec, exec, s[2:3]
	s_and_saveexec_b64 s[2:3], s[0:1]
	s_cbranch_execz .LBB60_11
; %bb.10:                               ;   in Loop: Header=BB60_5 Depth=1
	v_add_u32_e32 v7, v10, v3
	v_ashrrev_i32_e32 v8, 31, v7
	v_lshlrev_b64 v[7:8], 2, v[7:8]
	v_mov_b32_e32 v4, s9
	v_add_co_u32_e32 v7, vcc, s8, v7
	v_addc_co_u32_e32 v8, vcc, v4, v8, vcc
	global_load_dword v19, v[7:8], off
.LBB60_11:                              ;   in Loop: Header=BB60_5 Depth=1
	s_or_b64 exec, exec, s[2:3]
	v_cmp_gt_u32_e64 s[2:3], s29, v3
	v_mov_b32_e32 v20, 0
	s_and_saveexec_b64 s[4:5], s[2:3]
	s_cbranch_execz .LBB60_13
; %bb.12:                               ;   in Loop: Header=BB60_5 Depth=1
	v_add_u32_e32 v7, v11, v3
	v_ashrrev_i32_e32 v8, 31, v7
	v_lshlrev_b64 v[7:8], 2, v[7:8]
	v_mov_b32_e32 v4, s17
	v_add_co_u32_e32 v7, vcc, s16, v7
	v_addc_co_u32_e32 v8, vcc, v4, v8, vcc
	global_load_dword v20, v[7:8], off
.LBB60_13:                              ;   in Loop: Header=BB60_5 Depth=1
	s_or_b64 exec, exec, s[4:5]
	s_waitcnt vmcnt(0)
	v_cmp_gt_f32_e32 vcc, 0, v16
	v_cndmask_b32_e64 v4, v16, -v16, vcc
	v_cmp_gt_f32_e32 vcc, 0, v20
	v_cndmask_b32_e64 v7, v20, -v20, vcc
	v_cmp_lt_f32_e32 vcc, v4, v7
	v_cndmask_b32_e32 v4, v4, v7, vcc
	v_cmp_gt_f32_e32 vcc, 0, v17
	v_cndmask_b32_e64 v7, v17, -v17, vcc
	v_cmp_lt_f32_e32 vcc, v7, v4
	v_cndmask_b32_e32 v4, v7, v4, vcc
	;; [unrolled: 4-line block ×4, first 2 shown]
	v_cmp_gt_f32_e32 vcc, 0, v15
	v_cvt_f64_f32_e32 v[7:8], v4
	v_cndmask_b32_e64 v4, v15, -v15, vcc
	v_cvt_f64_f32_e32 v[21:22], v4
	v_cmp_ne_u32_e64 s[4:5], s28, v3
	v_mul_f64 v[8:9], v[21:22], v[7:8]
	v_mul_f32_e32 v7, v18, v16
	v_cmp_gt_f32_e32 vcc, 0, v7
	v_cndmask_b32_e64 v4, v7, -v7, vcc
	v_cvt_f64_f32_e32 v[21:22], v4
	v_mul_f64 v[21:22], v[21:22], s[22:23]
	v_cmp_nge_f64_e32 vcc, v[8:9], v[21:22]
	s_and_b64 s[4:5], s[4:5], vcc
	s_and_saveexec_b64 s[24:25], s[4:5]
	s_xor_b64 s[4:5], exec, s[24:25]
	s_cbranch_execz .LBB60_19
; %bb.14:                               ;   in Loop: Header=BB60_5 Depth=1
	v_mov_b32_e32 v4, s13
	v_add_co_u32_e32 v25, vcc, s12, v5
	v_addc_co_u32_e32 v26, vcc, v4, v6, vcc
	v_mov_b32_e32 v4, s15
	v_add_co_u32_e32 v8, vcc, s14, v5
	v_addc_co_u32_e32 v9, vcc, v4, v6, vcc
	;; [unrolled: 3-line block ×3, first 2 shown]
	v_fma_f32 v4, v15, v17, -v7
	v_div_scale_f32 v5, s[24:25], v4, v4, 1.0
	v_rcp_f32_e32 v6, v5
	v_fma_f32 v7, -v5, v6, 1.0
	v_fmac_f32_e32 v6, v7, v6
	v_div_scale_f32 v7, vcc, 1.0, v4, 1.0
	v_mul_f32_e32 v21, v7, v6
	v_fma_f32 v22, -v5, v21, v7
	v_fmac_f32_e32 v21, v22, v6
	v_fma_f32 v5, -v5, v21, v7
	v_div_fmas_f32 v5, v5, v6, v21
	v_mov_b32_e32 v7, s11
	v_div_fixup_f32 v21, v5, v4, 1.0
	v_mul_f32_e64 v4, v19, -v18
	v_mul_f32_e32 v4, v21, v4
	global_store_dword v[8:9], v4, off
	v_ashrrev_i32_e32 v4, 31, v3
	v_lshlrev_b64 v[4:5], 2, v[3:4]
	v_add_co_u32_e32 v8, vcc, v1, v4
	v_add_u32_e32 v4, v10, v3
	v_addc_co_u32_e32 v9, vcc, v2, v5, vcc
	v_ashrrev_i32_e32 v5, 31, v4
	v_lshlrev_b64 v[4:5], 2, v[4:5]
	v_add_co_u32_e32 v6, vcc, s10, v4
	v_addc_co_u32_e32 v7, vcc, v7, v5, vcc
	global_load_dword v23, v[6:7], off
	global_load_dword v22, v[8:9], off
	s_waitcnt vmcnt(1)
	v_mul_f32_e32 v24, v18, v23
	s_waitcnt vmcnt(0)
	v_fma_f32 v24, v17, v22, -v24
	v_mul_f32_e32 v24, v21, v24
	global_store_dword v[8:9], v24, off
	v_mov_b32_e32 v9, s13
	v_add_co_u32_e32 v8, vcc, s12, v4
	v_addc_co_u32_e32 v9, vcc, v9, v5, vcc
	global_load_dword v24, v[8:9], off
	s_waitcnt vmcnt(0)
	v_mul_f32_e32 v29, v18, v24
	global_load_dword v18, v[25:26], off
	s_waitcnt vmcnt(0)
	v_fma_f32 v17, v17, v18, -v29
	v_mul_f32_e32 v17, v21, v17
	global_store_dword v[25:26], v17, off
	global_store_dword v[27:28], v12, off
	s_and_saveexec_b64 s[24:25], s[0:1]
	s_cbranch_execz .LBB60_16
; %bb.15:                               ;   in Loop: Header=BB60_5 Depth=1
	v_mul_f32_e32 v17, v16, v22
	v_fma_f32 v17, v15, v23, -v17
	v_mul_f32_e32 v17, v21, v17
	global_store_dword v[6:7], v17, off
	v_mul_f32_e32 v6, v16, v18
	v_fma_f32 v6, v15, v24, -v6
	v_mul_f32_e32 v6, v21, v6
	global_store_dword v[8:9], v6, off
	v_mul_f32_e32 v6, v15, v19
	v_mul_f32_e32 v8, v21, v6
	v_mov_b32_e32 v7, s15
	v_add_co_u32_e32 v6, vcc, s14, v4
	v_addc_co_u32_e32 v7, vcc, v7, v5, vcc
	global_store_dword v[6:7], v8, off
	v_mov_b32_e32 v6, s7
	v_add_co_u32_e32 v4, vcc, s6, v4
	v_addc_co_u32_e32 v5, vcc, v6, v5, vcc
	global_store_dword v[4:5], v12, off
.LBB60_16:                              ;   in Loop: Header=BB60_5 Depth=1
	s_or_b64 exec, exec, s[24:25]
	v_mov_b32_e32 v4, 0
	s_and_saveexec_b64 s[24:25], s[2:3]
	s_cbranch_execz .LBB60_18
; %bb.17:                               ;   in Loop: Header=BB60_5 Depth=1
	v_add_u32_e32 v4, v11, v3
	v_ashrrev_i32_e32 v5, 31, v4
	v_lshlrev_b64 v[4:5], 2, v[4:5]
	v_mov_b32_e32 v7, s11
	v_add_co_u32_e32 v6, vcc, s10, v4
	v_addc_co_u32_e32 v7, vcc, v7, v5, vcc
	v_mov_b32_e32 v9, s19
	v_add_co_u32_e32 v4, vcc, s18, v4
	v_addc_co_u32_e32 v5, vcc, v9, v5, vcc
	global_load_dword v8, v[6:7], off
	v_mul_f32_e32 v9, v15, v20
	global_load_dword v4, v[4:5], off
	v_mul_f32_e32 v5, v20, v16
	v_mul_f32_e32 v15, v21, v9
	;; [unrolled: 1-line block ×5, first 2 shown]
	v_fma_f32 v5, v5, v22, -v15
	s_waitcnt vmcnt(1)
	v_add_f32_e32 v5, v5, v8
	global_store_dword v[6:7], v5, off
	s_waitcnt vmcnt(1)
	v_fma_f32 v4, -v21, v9, v4
.LBB60_18:                              ;   in Loop: Header=BB60_5 Depth=1
	s_or_b64 exec, exec, s[24:25]
	v_mov_b32_e32 v15, v4
                                        ; implicit-def: $vgpr7
                                        ; implicit-def: $vgpr17
                                        ; implicit-def: $vgpr18
                                        ; implicit-def: $vgpr5_vgpr6
                                        ; implicit-def: $vgpr16
.LBB60_19:                              ;   in Loop: Header=BB60_5 Depth=1
	s_or_saveexec_b64 s[2:3], s[4:5]
	v_mov_b32_e32 v4, s30
	s_xor_b64 exec, exec, s[2:3]
	s_cbranch_execz .LBB60_4
; %bb.20:                               ;   in Loop: Header=BB60_5 Depth=1
	v_ashrrev_i32_e32 v4, 31, v3
	v_lshlrev_b64 v[8:9], 2, v[3:4]
	v_mov_b32_e32 v4, s13
	v_add_co_u32_e32 v19, vcc, s12, v5
	v_addc_co_u32_e32 v20, vcc, v4, v6, vcc
	v_add_co_u32_e32 v8, vcc, v1, v8
	global_load_dword v25, v[19:20], off
	v_addc_co_u32_e32 v9, vcc, v2, v9, vcc
	global_load_dword v4, v[8:9], off
	v_div_scale_f32 v21, s[4:5], v15, v15, 1.0
	v_div_scale_f32 v22, vcc, 1.0, v15, 1.0
	v_rcp_f32_e32 v23, v21
	v_fma_f32 v24, -v21, v23, 1.0
	v_fmac_f32_e32 v23, v24, v23
	v_mul_f32_e32 v24, v22, v23
	v_fma_f32 v26, -v21, v24, v22
	v_fmac_f32_e32 v24, v26, v23
	v_fma_f32 v21, -v21, v24, v22
	v_div_fmas_f32 v26, v21, v23, v24
	v_mov_b32_e32 v22, s15
	v_add_co_u32_e32 v21, vcc, s14, v5
	v_addc_co_u32_e32 v22, vcc, v22, v6, vcc
	v_mov_b32_e32 v24, s7
	v_add_co_u32_e32 v23, vcc, s6, v5
	v_addc_co_u32_e32 v24, vcc, v24, v6, vcc
	v_div_fixup_f32 v5, v26, v15, 1.0
	v_mul_f32_e32 v6, v5, v18
	global_store_dword v[21:22], v6, off
	s_waitcnt vmcnt(2)
	v_mul_f32_e32 v6, v5, v25
	global_store_dword v[19:20], v6, off
	s_waitcnt vmcnt(2)
	v_mul_f32_e32 v6, v5, v4
	global_store_dword v[8:9], v6, off
	global_store_dword v[23:24], v13, off
	s_and_saveexec_b64 s[4:5], s[0:1]
	s_cbranch_execz .LBB60_3
; %bb.21:                               ;   in Loop: Header=BB60_5 Depth=1
	v_add_u32_e32 v8, v10, v3
	v_ashrrev_i32_e32 v9, 31, v8
	v_lshlrev_b64 v[8:9], 2, v[8:9]
	v_mov_b32_e32 v6, s11
	v_add_co_u32_e32 v8, vcc, s10, v8
	v_addc_co_u32_e32 v9, vcc, v6, v9, vcc
	global_load_dword v6, v[8:9], off
	v_mul_f32_e32 v15, v16, v5
	s_waitcnt vmcnt(0)
	v_fma_f32 v4, -v15, v4, v6
	global_store_dword v[8:9], v4, off
	s_branch .LBB60_3
.LBB60_22:
	s_or_b64 exec, exec, s[20:21]
.LBB60_23:
	v_subrev_u32_e32 v5, s26, v3
	v_add_u32_e32 v3, v5, v0
	v_ashrrev_i32_e32 v4, 31, v3
	v_lshlrev_b64 v[3:4], 2, v[3:4]
	s_waitcnt lgkmcnt(0)
	v_mov_b32_e32 v6, s7
	v_add_co_u32_e32 v3, vcc, s6, v3
	v_addc_co_u32_e32 v4, vcc, v6, v4, vcc
	s_waitcnt vmcnt(0)
	buffer_wbinvl1_vol
	global_load_dword v3, v[3:4], off
	s_waitcnt vmcnt(0)
	v_mul_lo_u32 v3, v3, s26
	v_sub_u32_e32 v3, v5, v3
	v_cmp_lt_i32_e32 vcc, -1, v3
	s_and_b64 exec, exec, vcc
	s_cbranch_execz .LBB60_30
; %bb.24:
	v_subrev_u32_e32 v7, s26, v0
	s_lshl_b32 s4, s26, 1
	s_mov_b64 s[0:1], 0
	v_mov_b32_e32 v8, s7
	v_mov_b32_e32 v9, s15
	s_branch .LBB60_26
.LBB60_25:                              ;   in Loop: Header=BB60_26 Depth=1
	s_or_b64 exec, exec, s[2:3]
	v_sub_u32_e32 v3, v3, v4
	v_cmp_gt_i32_e32 vcc, 0, v3
	s_or_b64 s[0:1], vcc, s[0:1]
	s_andn2_b64 exec, exec, s[0:1]
	s_cbranch_execz .LBB60_30
.LBB60_26:                              ; =>This Inner Loop Header: Depth=1
	v_add_u32_e32 v4, v3, v0
	v_ashrrev_i32_e32 v5, 31, v4
	v_lshlrev_b64 v[5:6], 2, v[4:5]
	s_waitcnt vmcnt(0)
	v_add_co_u32_e32 v11, vcc, s6, v5
	v_addc_co_u32_e32 v12, vcc, v8, v6, vcc
	global_load_dword v4, v[11:12], off
	v_add_co_u32_e32 v11, vcc, s14, v5
	v_addc_co_u32_e32 v12, vcc, v9, v6, vcc
	global_load_dword v11, v[11:12], off
	s_waitcnt vmcnt(1)
	v_cmp_ne_u32_e32 vcc, 1, v4
	s_and_saveexec_b64 s[2:3], vcc
	s_xor_b64 s[2:3], exec, s[2:3]
	s_cbranch_execz .LBB60_28
; %bb.27:                               ;   in Loop: Header=BB60_26 Depth=1
	v_add_u32_e32 v12, v10, v3
	v_ashrrev_i32_e32 v13, 31, v12
	v_lshlrev_b64 v[12:13], 2, v[12:13]
	v_mov_b32_e32 v4, s11
	v_add_co_u32_e32 v14, vcc, s10, v12
	v_addc_co_u32_e32 v15, vcc, v4, v13, vcc
	v_ashrrev_i32_e32 v4, 31, v3
	v_lshlrev_b64 v[16:17], 2, v[3:4]
	v_mov_b32_e32 v4, s13
	v_add_co_u32_e32 v16, vcc, v1, v16
	v_addc_co_u32_e32 v17, vcc, v2, v17, vcc
	v_add_co_u32_e32 v12, vcc, s12, v12
	v_addc_co_u32_e32 v13, vcc, v4, v13, vcc
	global_load_dword v24, v[14:15], off
	global_load_dword v25, v[16:17], off
	v_mov_b32_e32 v18, s13
	v_add_co_u32_e32 v4, vcc, s12, v5
	v_addc_co_u32_e32 v5, vcc, v18, v6, vcc
	global_load_dword v6, v[12:13], off
	global_load_dword v26, v[4:5], off
	v_add_u32_e32 v18, v7, v3
	v_ashrrev_i32_e32 v19, 31, v18
	v_lshlrev_b64 v[18:19], 2, v[18:19]
	v_mov_b32_e32 v21, s11
	v_add_co_u32_e32 v20, vcc, s10, v18
	v_addc_co_u32_e32 v21, vcc, v21, v19, vcc
	v_mov_b32_e32 v23, s13
	v_add_co_u32_e32 v22, vcc, s12, v18
	v_addc_co_u32_e32 v23, vcc, v23, v19, vcc
	v_add_co_u32_e32 v18, vcc, s14, v18
	v_addc_co_u32_e32 v19, vcc, v9, v19, vcc
	global_load_dword v18, v[18:19], off
	s_waitcnt vmcnt(3)
	v_fma_f32 v19, -v11, v24, v25
	s_waitcnt vmcnt(1)
	v_fma_f32 v6, -v11, v6, v26
	global_store_dword v[16:17], v19, off
	global_store_dword v[4:5], v6, off
	global_load_dword v4, v[14:15], off
	s_nop 0
	global_load_dword v5, v[20:21], off
	global_load_dword v6, v[12:13], off
	;; [unrolled: 1-line block ×3, first 2 shown]
	s_waitcnt vmcnt(2)
	v_fma_f32 v4, -v18, v4, v5
	s_waitcnt vmcnt(0)
	v_fma_f32 v5, -v18, v6, v11
	global_store_dword v[20:21], v4, off
	global_store_dword v[22:23], v5, off
                                        ; implicit-def: $vgpr11
                                        ; implicit-def: $vgpr5_vgpr6
.LBB60_28:                              ;   in Loop: Header=BB60_26 Depth=1
	s_or_saveexec_b64 s[2:3], s[2:3]
	v_mov_b32_e32 v4, s4
	s_xor_b64 exec, exec, s[2:3]
	s_cbranch_execz .LBB60_25
; %bb.29:                               ;   in Loop: Header=BB60_26 Depth=1
	v_add_u32_e32 v12, v10, v3
	v_ashrrev_i32_e32 v13, 31, v12
	v_lshlrev_b64 v[12:13], 2, v[12:13]
	v_mov_b32_e32 v4, s11
	v_add_co_u32_e32 v14, vcc, s10, v12
	v_addc_co_u32_e32 v15, vcc, v4, v13, vcc
	v_ashrrev_i32_e32 v4, 31, v3
	v_lshlrev_b64 v[16:17], 2, v[3:4]
	v_mov_b32_e32 v4, s13
	v_add_co_u32_e32 v16, vcc, v1, v16
	v_addc_co_u32_e32 v17, vcc, v2, v17, vcc
	v_add_co_u32_e32 v12, vcc, s12, v12
	v_addc_co_u32_e32 v13, vcc, v4, v13, vcc
	global_load_dword v18, v[14:15], off
	global_load_dword v19, v[16:17], off
	v_mov_b32_e32 v14, s13
	v_add_co_u32_e32 v4, vcc, s12, v5
	v_addc_co_u32_e32 v5, vcc, v14, v6, vcc
	global_load_dword v6, v[12:13], off
	global_load_dword v14, v[4:5], off
	s_waitcnt vmcnt(2)
	v_fma_f32 v12, -v11, v18, v19
	s_waitcnt vmcnt(0)
	v_fma_f32 v6, -v11, v6, v14
	global_store_dword v[16:17], v12, off
	global_store_dword v[4:5], v6, off
	v_mov_b32_e32 v4, s26
	s_branch .LBB60_25
.LBB60_30:
	s_endpgm
	.section	.rodata,"a",@progbits
	.p2align	6, 0x0
	.amdhsa_kernel _ZN9rocsparseL18gtsv_LBM_wv_kernelILj256ELj64EfEEviiiPKT1_S3_S3_PS1_S4_S4_Pi
		.amdhsa_group_segment_fixed_size 0
		.amdhsa_private_segment_fixed_size 0
		.amdhsa_kernarg_size 72
		.amdhsa_user_sgpr_count 6
		.amdhsa_user_sgpr_private_segment_buffer 1
		.amdhsa_user_sgpr_dispatch_ptr 0
		.amdhsa_user_sgpr_queue_ptr 0
		.amdhsa_user_sgpr_kernarg_segment_ptr 1
		.amdhsa_user_sgpr_dispatch_id 0
		.amdhsa_user_sgpr_flat_scratch_init 0
		.amdhsa_user_sgpr_private_segment_size 0
		.amdhsa_uses_dynamic_stack 0
		.amdhsa_system_sgpr_private_segment_wavefront_offset 0
		.amdhsa_system_sgpr_workgroup_id_x 1
		.amdhsa_system_sgpr_workgroup_id_y 0
		.amdhsa_system_sgpr_workgroup_id_z 0
		.amdhsa_system_sgpr_workgroup_info 0
		.amdhsa_system_vgpr_workitem_id 0
		.amdhsa_next_free_vgpr 30
		.amdhsa_next_free_sgpr 31
		.amdhsa_reserve_vcc 1
		.amdhsa_reserve_flat_scratch 0
		.amdhsa_float_round_mode_32 0
		.amdhsa_float_round_mode_16_64 0
		.amdhsa_float_denorm_mode_32 3
		.amdhsa_float_denorm_mode_16_64 3
		.amdhsa_dx10_clamp 1
		.amdhsa_ieee_mode 1
		.amdhsa_fp16_overflow 0
		.amdhsa_exception_fp_ieee_invalid_op 0
		.amdhsa_exception_fp_denorm_src 0
		.amdhsa_exception_fp_ieee_div_zero 0
		.amdhsa_exception_fp_ieee_overflow 0
		.amdhsa_exception_fp_ieee_underflow 0
		.amdhsa_exception_fp_ieee_inexact 0
		.amdhsa_exception_int_div_zero 0
	.end_amdhsa_kernel
	.section	.text._ZN9rocsparseL18gtsv_LBM_wv_kernelILj256ELj64EfEEviiiPKT1_S3_S3_PS1_S4_S4_Pi,"axG",@progbits,_ZN9rocsparseL18gtsv_LBM_wv_kernelILj256ELj64EfEEviiiPKT1_S3_S3_PS1_S4_S4_Pi,comdat
.Lfunc_end60:
	.size	_ZN9rocsparseL18gtsv_LBM_wv_kernelILj256ELj64EfEEviiiPKT1_S3_S3_PS1_S4_S4_Pi, .Lfunc_end60-_ZN9rocsparseL18gtsv_LBM_wv_kernelILj256ELj64EfEEviiiPKT1_S3_S3_PS1_S4_S4_Pi
                                        ; -- End function
	.set _ZN9rocsparseL18gtsv_LBM_wv_kernelILj256ELj64EfEEviiiPKT1_S3_S3_PS1_S4_S4_Pi.num_vgpr, 30
	.set _ZN9rocsparseL18gtsv_LBM_wv_kernelILj256ELj64EfEEviiiPKT1_S3_S3_PS1_S4_S4_Pi.num_agpr, 0
	.set _ZN9rocsparseL18gtsv_LBM_wv_kernelILj256ELj64EfEEviiiPKT1_S3_S3_PS1_S4_S4_Pi.numbered_sgpr, 31
	.set _ZN9rocsparseL18gtsv_LBM_wv_kernelILj256ELj64EfEEviiiPKT1_S3_S3_PS1_S4_S4_Pi.num_named_barrier, 0
	.set _ZN9rocsparseL18gtsv_LBM_wv_kernelILj256ELj64EfEEviiiPKT1_S3_S3_PS1_S4_S4_Pi.private_seg_size, 0
	.set _ZN9rocsparseL18gtsv_LBM_wv_kernelILj256ELj64EfEEviiiPKT1_S3_S3_PS1_S4_S4_Pi.uses_vcc, 1
	.set _ZN9rocsparseL18gtsv_LBM_wv_kernelILj256ELj64EfEEviiiPKT1_S3_S3_PS1_S4_S4_Pi.uses_flat_scratch, 0
	.set _ZN9rocsparseL18gtsv_LBM_wv_kernelILj256ELj64EfEEviiiPKT1_S3_S3_PS1_S4_S4_Pi.has_dyn_sized_stack, 0
	.set _ZN9rocsparseL18gtsv_LBM_wv_kernelILj256ELj64EfEEviiiPKT1_S3_S3_PS1_S4_S4_Pi.has_recursion, 0
	.set _ZN9rocsparseL18gtsv_LBM_wv_kernelILj256ELj64EfEEviiiPKT1_S3_S3_PS1_S4_S4_Pi.has_indirect_call, 0
	.section	.AMDGPU.csdata,"",@progbits
; Kernel info:
; codeLenInByte = 2240
; TotalNumSgprs: 35
; NumVgprs: 30
; ScratchSize: 0
; MemoryBound: 0
; FloatMode: 240
; IeeeMode: 1
; LDSByteSize: 0 bytes/workgroup (compile time only)
; SGPRBlocks: 4
; VGPRBlocks: 7
; NumSGPRsForWavesPerEU: 35
; NumVGPRsForWavesPerEU: 30
; Occupancy: 8
; WaveLimiterHint : 0
; COMPUTE_PGM_RSRC2:SCRATCH_EN: 0
; COMPUTE_PGM_RSRC2:USER_SGPR: 6
; COMPUTE_PGM_RSRC2:TRAP_HANDLER: 0
; COMPUTE_PGM_RSRC2:TGID_X_EN: 1
; COMPUTE_PGM_RSRC2:TGID_Y_EN: 0
; COMPUTE_PGM_RSRC2:TGID_Z_EN: 0
; COMPUTE_PGM_RSRC2:TIDIG_COMP_CNT: 0
	.section	.text._ZN9rocsparseL19gtsv_LBM_rhs_kernelILj256ELj64ELj8EfEEviiiPKT2_S3_S3_PS1_S3_PKi,"axG",@progbits,_ZN9rocsparseL19gtsv_LBM_rhs_kernelILj256ELj64ELj8EfEEviiiPKT2_S3_S3_PS1_S3_PKi,comdat
	.globl	_ZN9rocsparseL19gtsv_LBM_rhs_kernelILj256ELj64ELj8EfEEviiiPKT2_S3_S3_PS1_S3_PKi ; -- Begin function _ZN9rocsparseL19gtsv_LBM_rhs_kernelILj256ELj64ELj8EfEEviiiPKT2_S3_S3_PS1_S3_PKi
	.p2align	8
	.type	_ZN9rocsparseL19gtsv_LBM_rhs_kernelILj256ELj64ELj8EfEEviiiPKT2_S3_S3_PS1_S3_PKi,@function
_ZN9rocsparseL19gtsv_LBM_rhs_kernelILj256ELj64ELj8EfEEviiiPKT2_S3_S3_PS1_S3_PKi: ; @_ZN9rocsparseL19gtsv_LBM_rhs_kernelILj256ELj64ELj8EfEEviiiPKT2_S3_S3_PS1_S3_PKi
; %bb.0:
	s_load_dword s23, s[4:5], 0x0
	v_lshl_or_b32 v0, s6, 8, v0
	s_waitcnt lgkmcnt(0)
	s_lshr_b32 s22, s23, 6
	v_cmp_gt_i32_e32 vcc, s22, v0
	s_and_saveexec_b64 s[0:1], vcc
	s_cbranch_execz .LBB61_29
; %bb.1:
	s_load_dwordx4 s[8:11], s[4:5], 0x28
	s_load_dwordx2 s[16:17], s[4:5], 0x38
	s_cmp_lt_i32 s23, 1
	v_add_u32_e32 v19, s22, v0
	s_mul_i32 s24, s7, s23
	s_cbranch_scc1 .LBB61_21
; %bb.2:
	s_load_dwordx4 s[12:15], s[4:5], 0x10
	s_load_dwordx2 s[6:7], s[4:5], 0x20
	v_ashrrev_i32_e32 v1, 31, v0
	v_lshlrev_b64 v[1:2], 2, v[0:1]
	s_lshl_b32 s28, s24, 3
	s_waitcnt lgkmcnt(0)
	v_mov_b32_e32 v3, s15
	v_add_co_u32_e32 v1, vcc, s14, v1
	v_addc_co_u32_e32 v2, vcc, v3, v2, vcc
	global_load_dword v24, v[1:2], off
	s_add_i32 s29, s28, s23
	s_add_i32 s30, s29, s23
	;; [unrolled: 1-line block ×6, first 2 shown]
	s_mul_i32 s25, s22, 63
	s_mul_i32 s26, s22, 62
	s_lshl_b32 s27, s22, 1
	v_add_u32_e32 v20, s22, v19
	s_add_i32 s36, s35, s23
	v_mov_b32_e32 v2, 0
	s_mov_b64 s[18:19], 0
	v_mov_b32_e32 v22, s7
	v_mov_b32_e32 v21, 0
	s_branch .LBB61_5
.LBB61_3:                               ;   in Loop: Header=BB61_5 Depth=1
	s_or_b64 exec, exec, s[4:5]
	v_fma_f32 v24, -v24, v29, v25
	v_mov_b32_e32 v1, s22
.LBB61_4:                               ;   in Loop: Header=BB61_5 Depth=1
	s_or_b64 exec, exec, s[2:3]
	v_add_u32_e32 v21, v1, v21
	v_cmp_le_i32_e32 vcc, s23, v21
	s_or_b64 s[18:19], vcc, s[18:19]
	s_andn2_b64 exec, exec, s[18:19]
	s_cbranch_execz .LBB61_20
.LBB61_5:                               ; =>This Inner Loop Header: Depth=1
	v_add_u32_e32 v15, v21, v0
	v_ashrrev_i32_e32 v16, 31, v15
	v_lshlrev_b64 v[3:4], 2, v[15:16]
	v_cmp_gt_u32_e64 s[0:1], s25, v21
	v_add_co_u32_e32 v5, vcc, s6, v3
	v_addc_co_u32_e32 v6, vcc, v22, v4, vcc
	global_load_dword v27, v[5:6], off
	v_mov_b32_e32 v23, 0
	s_and_saveexec_b64 s[2:3], s[0:1]
	s_cbranch_execz .LBB61_7
; %bb.6:                                ;   in Loop: Header=BB61_5 Depth=1
	v_add_u32_e32 v5, v19, v21
	v_ashrrev_i32_e32 v6, 31, v5
	v_lshlrev_b64 v[5:6], 2, v[5:6]
	v_mov_b32_e32 v1, s13
	v_add_co_u32_e32 v5, vcc, s12, v5
	v_addc_co_u32_e32 v6, vcc, v1, v6, vcc
	global_load_dword v23, v[5:6], off
.LBB61_7:                               ;   in Loop: Header=BB61_5 Depth=1
	s_or_b64 exec, exec, s[2:3]
	v_mov_b32_e32 v26, 0
	v_mov_b32_e32 v25, 0
	s_and_saveexec_b64 s[2:3], s[0:1]
	s_cbranch_execz .LBB61_9
; %bb.8:                                ;   in Loop: Header=BB61_5 Depth=1
	v_add_u32_e32 v5, v19, v21
	v_ashrrev_i32_e32 v6, 31, v5
	v_lshlrev_b64 v[5:6], 2, v[5:6]
	v_mov_b32_e32 v1, s15
	v_add_co_u32_e32 v5, vcc, s14, v5
	v_addc_co_u32_e32 v6, vcc, v1, v6, vcc
	global_load_dword v25, v[5:6], off
.LBB61_9:                               ;   in Loop: Header=BB61_5 Depth=1
	s_or_b64 exec, exec, s[2:3]
	s_and_saveexec_b64 s[2:3], s[0:1]
	s_cbranch_execz .LBB61_11
; %bb.10:                               ;   in Loop: Header=BB61_5 Depth=1
	v_add_u32_e32 v5, v19, v21
	v_ashrrev_i32_e32 v6, 31, v5
	v_lshlrev_b64 v[5:6], 2, v[5:6]
	v_mov_b32_e32 v1, s7
	v_add_co_u32_e32 v5, vcc, s6, v5
	v_addc_co_u32_e32 v6, vcc, v1, v6, vcc
	global_load_dword v26, v[5:6], off
.LBB61_11:                              ;   in Loop: Header=BB61_5 Depth=1
	s_or_b64 exec, exec, s[2:3]
	v_cmp_gt_u32_e64 s[2:3], s26, v21
	v_mov_b32_e32 v28, 0
	s_and_saveexec_b64 s[4:5], s[2:3]
	s_cbranch_execz .LBB61_13
; %bb.12:                               ;   in Loop: Header=BB61_5 Depth=1
	v_add_u32_e32 v5, v20, v21
	v_ashrrev_i32_e32 v6, 31, v5
	v_lshlrev_b64 v[5:6], 2, v[5:6]
	v_mov_b32_e32 v1, s13
	v_add_co_u32_e32 v5, vcc, s12, v5
	v_addc_co_u32_e32 v6, vcc, v1, v6, vcc
	global_load_dword v28, v[5:6], off
.LBB61_13:                              ;   in Loop: Header=BB61_5 Depth=1
	s_or_b64 exec, exec, s[4:5]
	v_mov_b32_e32 v1, s17
	v_add_co_u32_e32 v3, vcc, s16, v3
	v_addc_co_u32_e32 v4, vcc, v1, v4, vcc
	v_add_u32_e32 v1, s28, v15
	global_load_dword v29, v[3:4], off
	v_lshlrev_b64 v[3:4], 2, v[1:2]
	s_waitcnt vmcnt(2)
	v_mov_b32_e32 v30, s9
	v_add_co_u32_e32 v17, vcc, s8, v3
	v_add_u32_e32 v1, s29, v15
	v_addc_co_u32_e32 v18, vcc, v30, v4, vcc
	v_lshlrev_b64 v[3:4], 2, v[1:2]
	v_add_u32_e32 v1, s30, v15
	v_add_co_u32_e32 v7, vcc, s8, v3
	v_addc_co_u32_e32 v8, vcc, v30, v4, vcc
	v_lshlrev_b64 v[3:4], 2, v[1:2]
	v_add_u32_e32 v1, s31, v15
	v_add_co_u32_e32 v11, vcc, s8, v3
	;; [unrolled: 4-line block ×3, first 2 shown]
	v_lshlrev_b64 v[5:6], 2, v[1:2]
	v_addc_co_u32_e32 v4, vcc, v30, v4, vcc
	v_add_u32_e32 v1, s34, v15
	v_add_co_u32_e32 v5, vcc, s8, v5
	v_lshlrev_b64 v[9:10], 2, v[1:2]
	v_addc_co_u32_e32 v6, vcc, v30, v6, vcc
	v_add_u32_e32 v1, s35, v15
	v_add_co_u32_e32 v9, vcc, s8, v9
	;; [unrolled: 4-line block ×3, first 2 shown]
	v_lshlrev_b64 v[15:16], 2, v[1:2]
	v_addc_co_u32_e32 v14, vcc, v30, v14, vcc
	v_add_co_u32_e32 v15, vcc, s8, v15
	v_addc_co_u32_e32 v16, vcc, v30, v16, vcc
	global_load_dword v37, v[17:18], off
	global_load_dword v36, v[7:8], off
	;; [unrolled: 1-line block ×8, first 2 shown]
	v_cmp_ne_u32_e64 s[4:5], s25, v21
	s_waitcnt vmcnt(8)
	v_cmp_ne_u32_e32 vcc, 1, v29
	s_and_b64 s[4:5], s[4:5], vcc
	v_mul_f32_e32 v29, v27, v23
	s_and_saveexec_b64 s[20:21], s[4:5]
	s_xor_b64 s[4:5], exec, s[20:21]
	s_cbranch_execz .LBB61_17
; %bb.14:                               ;   in Loop: Header=BB61_5 Depth=1
	v_add_u32_e32 v54, v19, v21
	v_add_u32_e32 v1, s28, v54
	v_lshlrev_b64 v[38:39], 2, v[1:2]
	v_mov_b32_e32 v55, s9
	v_add_co_u32_e32 v40, vcc, s8, v38
	v_add_u32_e32 v1, s29, v54
	v_addc_co_u32_e32 v41, vcc, v55, v39, vcc
	v_lshlrev_b64 v[38:39], 2, v[1:2]
	v_add_u32_e32 v1, s30, v54
	v_add_co_u32_e32 v42, vcc, s8, v38
	v_addc_co_u32_e32 v43, vcc, v55, v39, vcc
	v_lshlrev_b64 v[38:39], 2, v[1:2]
	v_add_u32_e32 v1, s31, v54
	v_add_co_u32_e32 v44, vcc, s8, v38
	;; [unrolled: 4-line block ×6, first 2 shown]
	v_addc_co_u32_e32 v53, vcc, v55, v39, vcc
	v_lshlrev_b64 v[38:39], 2, v[1:2]
	v_fma_f32 v1, v24, v25, -v29
	v_div_scale_f32 v29, s[20:21], v1, v1, 1.0
	v_add_co_u32_e32 v54, vcc, s8, v38
	v_addc_co_u32_e32 v55, vcc, v55, v39, vcc
	v_rcp_f32_e32 v38, v29
	v_fma_f32 v39, -v29, v38, 1.0
	v_fmac_f32_e32 v38, v39, v38
	v_div_scale_f32 v39, vcc, 1.0, v1, 1.0
	v_mul_f32_e32 v56, v39, v38
	v_fma_f32 v57, -v29, v56, v39
	v_fmac_f32_e32 v56, v57, v38
	v_fma_f32 v29, -v29, v56, v39
	v_div_fmas_f32 v29, v29, v38, v56
	v_div_fixup_f32 v29, v29, v1, 1.0
	global_load_dword v1, v[40:41], off
	global_load_dword v39, v[42:43], off
	;; [unrolled: 1-line block ×8, first 2 shown]
	s_waitcnt vmcnt(15)
	v_mul_f32_e32 v37, v29, v37
	s_waitcnt vmcnt(13)
	v_mul_f32_e32 v35, v29, v35
	;; [unrolled: 2-line block ×3, first 2 shown]
	v_mul_f32_e32 v1, v27, v38
	v_fma_f32 v1, v25, v37, -v1
	global_store_dword v[17:18], v1, off
	v_mul_f32_e32 v18, v29, v36
	s_waitcnt vmcnt(7)
	v_mul_f32_e32 v36, v29, v39
	v_mul_f32_e32 v1, v27, v36
	v_fma_f32 v1, v25, v18, -v1
	s_waitcnt vmcnt(6)
	v_mul_f32_e32 v39, v29, v56
	global_store_dword v[7:8], v1, off
	v_mul_f32_e32 v1, v27, v39
	v_fma_f32 v1, v25, v35, -v1
	global_store_dword v[11:12], v1, off
	s_waitcnt vmcnt(7)
	v_mul_f32_e32 v12, v29, v57
	v_mul_f32_e32 v7, v29, v34
	;; [unrolled: 1-line block ×3, first 2 shown]
	v_fma_f32 v1, v25, v7, -v1
	v_mul_f32_e32 v17, v29, v33
	s_waitcnt vmcnt(6)
	v_mul_f32_e32 v33, v29, v58
	global_store_dword v[3:4], v1, off
	v_mul_f32_e32 v1, v27, v33
	v_fma_f32 v1, v25, v17, -v1
	s_waitcnt vmcnt(6)
	v_mul_f32_e32 v11, v29, v59
	global_store_dword v[5:6], v1, off
	v_mul_f32_e32 v8, v29, v32
	v_mul_f32_e32 v1, v27, v11
	v_fma_f32 v1, v25, v8, -v1
	s_waitcnt vmcnt(6)
	v_mul_f32_e32 v6, v29, v60
	global_store_dword v[9:10], v1, off
	v_mul_f32_e32 v5, v29, v31
	;; [unrolled: 6-line block ×3, first 2 shown]
	v_mul_f32_e32 v1, v27, v4
	v_fma_f32 v1, v25, v3, -v1
	global_store_dword v[15:16], v1, off
	v_mul_f32_e32 v1, v23, v37
	v_fma_f32 v1, v24, v38, -v1
	global_store_dword v[40:41], v1, off
	;; [unrolled: 3-line block ×9, first 2 shown]
	v_mov_b32_e32 v1, 0
	s_and_saveexec_b64 s[20:21], s[2:3]
	s_cbranch_execz .LBB61_16
; %bb.15:                               ;   in Loop: Header=BB61_5 Depth=1
	v_add_u32_e32 v9, v20, v21
	v_add_u32_e32 v1, s28, v9
	v_lshlrev_b64 v[13:14], 2, v[1:2]
	v_mov_b32_e32 v25, s9
	v_add_co_u32_e32 v13, vcc, s8, v13
	v_addc_co_u32_e32 v14, vcc, v25, v14, vcc
	global_load_dword v10, v[13:14], off
	v_mul_f32_e32 v31, v24, v28
	v_mul_f32_e32 v30, v23, v28
	;; [unrolled: 1-line block ×3, first 2 shown]
	v_fma_f32 v27, v30, v37, -v1
	v_add_u32_e32 v1, s29, v9
	v_lshlrev_b64 v[15:16], 2, v[1:2]
	v_add_u32_e32 v1, s30, v9
	v_lshlrev_b64 v[23:24], 2, v[1:2]
	v_add_co_u32_e32 v15, vcc, s8, v15
	v_addc_co_u32_e32 v16, vcc, v25, v16, vcc
	global_load_dword v32, v[15:16], off
	v_add_co_u32_e32 v23, vcc, s8, v23
	v_addc_co_u32_e32 v24, vcc, v25, v24, vcc
	v_mul_f32_e32 v4, v31, v4
	v_fma_f32 v3, v30, v3, -v4
	s_waitcnt vmcnt(1)
	v_add_f32_e32 v1, v27, v10
	global_store_dword v[13:14], v1, off
	global_load_dword v10, v[23:24], off
	v_mul_f32_e32 v1, v31, v36
	v_mul_f32_e32 v13, v31, v39
	v_fma_f32 v18, v30, v18, -v1
	v_add_u32_e32 v1, s31, v9
	v_fma_f32 v34, v30, v35, -v13
	v_lshlrev_b64 v[13:14], 2, v[1:2]
	v_add_u32_e32 v1, s33, v9
	v_lshlrev_b64 v[27:28], 2, v[1:2]
	v_add_co_u32_e32 v13, vcc, s8, v13
	s_waitcnt vmcnt(2)
	v_add_f32_e32 v1, v18, v32
	v_addc_co_u32_e32 v14, vcc, v25, v14, vcc
	global_store_dword v[15:16], v1, off
	v_add_co_u32_e32 v27, vcc, s8, v27
	global_load_dword v18, v[13:14], off
	v_addc_co_u32_e32 v28, vcc, v25, v28, vcc
	s_waitcnt vmcnt(2)
	v_add_f32_e32 v1, v34, v10
	global_store_dword v[23:24], v1, off
	global_load_dword v10, v[27:28], off
	v_mul_f32_e32 v1, v31, v12
	v_fma_f32 v7, v30, v7, -v1
	v_add_u32_e32 v1, s34, v9
	v_mul_f32_e32 v12, v31, v33
	v_lshlrev_b64 v[15:16], 2, v[1:2]
	v_fma_f32 v12, v30, v17, -v12
	v_add_co_u32_e32 v15, vcc, s8, v15
	v_addc_co_u32_e32 v16, vcc, v25, v16, vcc
	s_waitcnt vmcnt(2)
	v_add_f32_e32 v1, v7, v18
	global_store_dword v[13:14], v1, off
	s_waitcnt vmcnt(1)
	v_add_f32_e32 v1, v12, v10
	global_store_dword v[27:28], v1, off
	global_load_dword v10, v[15:16], off
	v_mul_f32_e32 v1, v31, v11
	v_fma_f32 v11, v30, v8, -v1
	v_add_u32_e32 v1, s35, v9
	v_lshlrev_b64 v[7:8], 2, v[1:2]
	v_mov_b32_e32 v12, s15
	v_add_co_u32_e32 v7, vcc, s8, v7
	v_addc_co_u32_e32 v8, vcc, v25, v8, vcc
	s_waitcnt vmcnt(0)
	v_add_f32_e32 v1, v11, v10
	global_store_dword v[15:16], v1, off
	global_load_dword v11, v[7:8], off
	v_mul_f32_e32 v1, v31, v6
	v_ashrrev_i32_e32 v10, 31, v9
	v_fma_f32 v13, v30, v5, -v1
	v_add_u32_e32 v1, s36, v9
	v_lshlrev_b64 v[5:6], 2, v[9:10]
	v_lshlrev_b64 v[9:10], 2, v[1:2]
	v_add_co_u32_e32 v9, vcc, s8, v9
	v_addc_co_u32_e32 v10, vcc, v25, v10, vcc
	v_add_co_u32_e32 v5, vcc, s14, v5
	v_addc_co_u32_e32 v6, vcc, v12, v6, vcc
	global_load_dword v5, v[5:6], off
	v_mul_f32_e32 v6, v26, v31
	s_waitcnt vmcnt(1)
	v_add_f32_e32 v1, v13, v11
	global_store_dword v[7:8], v1, off
	global_load_dword v1, v[9:10], off
	s_waitcnt vmcnt(0)
	v_add_f32_e32 v1, v3, v1
	global_store_dword v[9:10], v1, off
	v_fma_f32 v1, -v29, v6, v5
.LBB61_16:                              ;   in Loop: Header=BB61_5 Depth=1
	s_or_b64 exec, exec, s[20:21]
	v_mov_b32_e32 v24, v1
                                        ; implicit-def: $vgpr23
                                        ; implicit-def: $vgpr25
                                        ; implicit-def: $vgpr29
                                        ; implicit-def: $vgpr17_vgpr18
                                        ; implicit-def: $vgpr37
                                        ; implicit-def: $vgpr7_vgpr8
                                        ; implicit-def: $vgpr36
                                        ; implicit-def: $vgpr11_vgpr12
                                        ; implicit-def: $vgpr35
                                        ; implicit-def: $vgpr3_vgpr4
                                        ; implicit-def: $vgpr34
                                        ; implicit-def: $vgpr5_vgpr6
                                        ; implicit-def: $vgpr33
                                        ; implicit-def: $vgpr9_vgpr10
                                        ; implicit-def: $vgpr32
                                        ; implicit-def: $vgpr13_vgpr14
                                        ; implicit-def: $vgpr31
                                        ; implicit-def: $vgpr15_vgpr16
                                        ; implicit-def: $vgpr30
.LBB61_17:                              ;   in Loop: Header=BB61_5 Depth=1
	s_or_saveexec_b64 s[2:3], s[4:5]
	v_mov_b32_e32 v1, s27
	s_xor_b64 exec, exec, s[2:3]
	s_cbranch_execz .LBB61_4
; %bb.18:                               ;   in Loop: Header=BB61_5 Depth=1
	v_div_scale_f32 v1, s[4:5], v24, v24, 1.0
	v_div_scale_f32 v26, vcc, 1.0, v24, 1.0
	v_rcp_f32_e32 v27, v1
	v_fma_f32 v28, -v1, v27, 1.0
	v_fmac_f32_e32 v27, v28, v27
	v_mul_f32_e32 v28, v26, v27
	v_fma_f32 v38, -v1, v28, v26
	v_fmac_f32_e32 v28, v38, v27
	v_fma_f32 v1, -v1, v28, v26
	v_div_fmas_f32 v1, v1, v27, v28
	v_div_fixup_f32 v24, v1, v24, 1.0
	s_waitcnt vmcnt(7)
	v_mul_f32_e32 v37, v24, v37
	s_waitcnt vmcnt(6)
	v_mul_f32_e32 v36, v24, v36
	;; [unrolled: 2-line block ×8, first 2 shown]
	global_store_dword v[17:18], v37, off
	global_store_dword v[7:8], v36, off
	;; [unrolled: 1-line block ×8, first 2 shown]
	s_and_saveexec_b64 s[4:5], s[0:1]
	s_cbranch_execz .LBB61_3
; %bb.19:                               ;   in Loop: Header=BB61_5 Depth=1
	v_add_u32_e32 v11, v19, v21
	v_add_u32_e32 v1, s28, v11
	v_lshlrev_b64 v[3:4], 2, v[1:2]
	v_mov_b32_e32 v12, s9
	v_add_co_u32_e32 v3, vcc, s8, v3
	v_addc_co_u32_e32 v4, vcc, v12, v4, vcc
	global_load_dword v9, v[3:4], off
	v_add_u32_e32 v1, s29, v11
	v_lshlrev_b64 v[5:6], 2, v[1:2]
	v_add_u32_e32 v1, s30, v11
	v_lshlrev_b64 v[7:8], 2, v[1:2]
	v_add_co_u32_e32 v5, vcc, s8, v5
	v_addc_co_u32_e32 v6, vcc, v12, v6, vcc
	global_load_dword v13, v[5:6], off
	v_add_co_u32_e32 v7, vcc, s8, v7
	v_addc_co_u32_e32 v8, vcc, v12, v8, vcc
	s_waitcnt vmcnt(1)
	v_fma_f32 v1, -v23, v37, v9
	global_store_dword v[3:4], v1, off
	global_load_dword v14, v[7:8], off
	v_add_u32_e32 v1, s31, v11
	v_lshlrev_b64 v[3:4], 2, v[1:2]
	v_add_u32_e32 v1, s33, v11
	v_lshlrev_b64 v[9:10], 2, v[1:2]
	v_add_co_u32_e32 v3, vcc, s8, v3
	s_waitcnt vmcnt(2)
	v_fma_f32 v1, -v23, v36, v13
	v_addc_co_u32_e32 v4, vcc, v12, v4, vcc
	global_store_dword v[5:6], v1, off
	v_add_co_u32_e32 v9, vcc, s8, v9
	global_load_dword v13, v[3:4], off
	v_addc_co_u32_e32 v10, vcc, v12, v10, vcc
	s_waitcnt vmcnt(2)
	v_fma_f32 v1, -v23, v35, v14
	global_store_dword v[7:8], v1, off
	global_load_dword v7, v[9:10], off
	v_add_u32_e32 v1, s34, v11
	v_lshlrev_b64 v[5:6], 2, v[1:2]
	v_add_co_u32_e32 v5, vcc, s8, v5
	v_addc_co_u32_e32 v6, vcc, v12, v6, vcc
	s_waitcnt vmcnt(2)
	v_fma_f32 v1, -v23, v34, v13
	global_store_dword v[3:4], v1, off
	s_waitcnt vmcnt(1)
	v_fma_f32 v1, -v23, v33, v7
	global_store_dword v[9:10], v1, off
	global_load_dword v7, v[5:6], off
	v_add_u32_e32 v1, s35, v11
	v_lshlrev_b64 v[3:4], 2, v[1:2]
	v_add_co_u32_e32 v3, vcc, s8, v3
	v_addc_co_u32_e32 v4, vcc, v12, v4, vcc
	s_waitcnt vmcnt(0)
	v_fma_f32 v1, -v23, v28, v7
	global_store_dword v[5:6], v1, off
	global_load_dword v7, v[3:4], off
	v_add_u32_e32 v1, s36, v11
	v_lshlrev_b64 v[5:6], 2, v[1:2]
	s_waitcnt vmcnt(0)
	v_fma_f32 v1, -v23, v27, v7
	global_store_dword v[3:4], v1, off
	v_add_co_u32_e32 v3, vcc, s8, v5
	v_addc_co_u32_e32 v4, vcc, v12, v6, vcc
	global_load_dword v1, v[3:4], off
	s_waitcnt vmcnt(0)
	v_fma_f32 v1, -v23, v26, v1
	global_store_dword v[3:4], v1, off
	s_branch .LBB61_3
.LBB61_20:
	s_or_b64 exec, exec, s[18:19]
	s_branch .LBB61_22
.LBB61_21:
	v_mov_b32_e32 v21, 0
.LBB61_22:
	v_subrev_u32_e32 v3, s22, v21
	v_add_u32_e32 v1, v3, v0
	v_ashrrev_i32_e32 v2, 31, v1
	v_lshlrev_b64 v[1:2], 2, v[1:2]
	s_waitcnt lgkmcnt(0)
	v_mov_b32_e32 v4, s17
	v_add_co_u32_e32 v1, vcc, s16, v1
	v_addc_co_u32_e32 v2, vcc, v4, v2, vcc
	s_waitcnt vmcnt(0)
	buffer_wbinvl1_vol
	global_load_dword v1, v[1:2], off
	s_waitcnt vmcnt(0)
	v_mul_lo_u32 v1, v1, s22
	v_sub_u32_e32 v5, v3, v1
	v_cmp_lt_i32_e32 vcc, -1, v5
	s_and_b64 exec, exec, vcc
	s_cbranch_execz .LBB61_29
; %bb.23:
	s_lshl_b32 s4, s24, 3
	s_add_i32 s5, s4, s23
	s_add_i32 s6, s5, s23
	;; [unrolled: 1-line block ×7, first 2 shown]
	s_lshl_b32 s18, s22, 1
	s_mov_b64 s[0:1], 0
	v_mov_b32_e32 v6, s17
	v_mov_b32_e32 v7, s11
	;; [unrolled: 1-line block ×3, first 2 shown]
	s_branch .LBB61_25
.LBB61_24:                              ;   in Loop: Header=BB61_25 Depth=1
	s_or_b64 exec, exec, s[2:3]
	v_sub_u32_e32 v5, v5, v1
	v_cmp_gt_i32_e32 vcc, 0, v5
	s_or_b64 s[0:1], vcc, s[0:1]
	s_andn2_b64 exec, exec, s[0:1]
	s_cbranch_execz .LBB61_29
.LBB61_25:                              ; =>This Inner Loop Header: Depth=1
	v_add_u32_e32 v3, v5, v0
	s_waitcnt vmcnt(0)
	v_ashrrev_i32_e32 v4, 31, v3
	v_lshlrev_b64 v[8:9], 2, v[3:4]
	v_add_co_u32_e32 v10, vcc, s16, v8
	v_addc_co_u32_e32 v11, vcc, v6, v9, vcc
	v_add_co_u32_e32 v8, vcc, s10, v8
	global_load_dword v1, v[10:11], off
	v_addc_co_u32_e32 v9, vcc, v7, v9, vcc
	global_load_dword v4, v[8:9], off
	s_waitcnt vmcnt(1)
	v_cmp_ne_u32_e32 vcc, 1, v1
	s_and_saveexec_b64 s[2:3], vcc
	s_xor_b64 s[2:3], exec, s[2:3]
	s_cbranch_execz .LBB61_27
; %bb.26:                               ;   in Loop: Header=BB61_25 Depth=1
	v_add_u32_e32 v18, v19, v5
	v_add_u32_e32 v1, s4, v18
	v_lshlrev_b64 v[8:9], 2, v[1:2]
	v_mov_b32_e32 v1, s9
	v_add_co_u32_e32 v8, vcc, s8, v8
	v_addc_co_u32_e32 v9, vcc, v1, v9, vcc
	v_add_u32_e32 v1, s5, v18
	global_load_dword v28, v[8:9], off
	v_lshlrev_b64 v[8:9], 2, v[1:2]
	v_add_u32_e32 v1, s6, v18
	v_lshlrev_b64 v[10:11], 2, v[1:2]
	v_add_u32_e32 v1, s7, v18
	;; [unrolled: 2-line block ×7, first 2 shown]
	v_lshlrev_b64 v[24:25], 2, v[1:2]
	v_mov_b32_e32 v1, s9
	v_add_co_u32_e32 v24, vcc, s8, v24
	v_addc_co_u32_e32 v25, vcc, v1, v25, vcc
	global_load_dword v18, v[24:25], off
	v_add_co_u32_e32 v8, vcc, s8, v8
	v_addc_co_u32_e32 v9, vcc, v1, v9, vcc
	v_mov_b32_e32 v26, s9
	v_add_co_u32_e32 v10, vcc, s8, v10
	v_addc_co_u32_e32 v11, vcc, v26, v11, vcc
	v_mov_b32_e32 v27, s9
	;; [unrolled: 3-line block ×5, first 2 shown]
	v_add_co_u32_e32 v20, vcc, s8, v20
	v_addc_co_u32_e32 v21, vcc, v31, v21, vcc
	v_add_u32_e32 v1, s5, v3
	v_mov_b32_e32 v32, s9
	v_add_co_u32_e32 v22, vcc, s8, v22
	v_lshlrev_b64 v[26:27], 2, v[1:2]
	v_addc_co_u32_e32 v23, vcc, v32, v23, vcc
	v_mov_b32_e32 v33, s9
	global_load_dword v29, v[8:9], off
	global_load_dword v30, v[10:11], off
	;; [unrolled: 1-line block ×7, first 2 shown]
	v_add_co_u32_e32 v8, vcc, s8, v26
	v_addc_co_u32_e32 v9, vcc, v33, v27, vcc
	v_mov_b32_e32 v13, s9
	s_waitcnt vmcnt(7)
	v_fma_f32 v1, -v4, v28, v18
	global_store_dword v[24:25], v1, off
	global_load_dword v12, v[8:9], off
	v_add_u32_e32 v1, s6, v3
	v_lshlrev_b64 v[10:11], 2, v[1:2]
	v_add_co_u32_e32 v10, vcc, s8, v10
	v_addc_co_u32_e32 v11, vcc, v13, v11, vcc
	s_waitcnt vmcnt(0)
	v_fma_f32 v1, -v4, v29, v12
	global_store_dword v[8:9], v1, off
	global_load_dword v12, v[10:11], off
	v_add_u32_e32 v1, s7, v3
	v_lshlrev_b64 v[8:9], 2, v[1:2]
	v_add_co_u32_e32 v8, vcc, s8, v8
	v_addc_co_u32_e32 v9, vcc, v13, v9, vcc
	;; [unrolled: 8-line block ×6, first 2 shown]
	s_waitcnt vmcnt(0)
	v_fma_f32 v1, -v4, v35, v12
	global_store_dword v[10:11], v1, off
	global_load_dword v3, v[8:9], off
	v_subrev_u32_e32 v1, s22, v5
	v_add_u32_e32 v10, v1, v0
	v_ashrrev_i32_e32 v11, 31, v10
	v_lshlrev_b64 v[11:12], 2, v[10:11]
	v_add_u32_e32 v1, s4, v10
	v_add_co_u32_e32 v11, vcc, s10, v11
	v_addc_co_u32_e32 v12, vcc, v7, v12, vcc
	global_load_dword v14, v[11:12], off
	v_lshlrev_b64 v[11:12], 2, v[1:2]
	v_add_co_u32_e32 v11, vcc, s8, v11
	v_addc_co_u32_e32 v12, vcc, v13, v12, vcc
	s_waitcnt vmcnt(1)
	v_fma_f32 v1, -v4, v36, v3
	global_store_dword v[8:9], v1, off
	global_load_dword v8, v[11:12], off
	v_add_u32_e32 v1, s5, v10
	v_lshlrev_b64 v[3:4], 2, v[1:2]
	v_mov_b32_e32 v9, s9
	v_add_co_u32_e32 v3, vcc, s8, v3
	v_addc_co_u32_e32 v4, vcc, v9, v4, vcc
	s_waitcnt vmcnt(0)
	v_fma_f32 v1, -v14, v28, v8
	global_store_dword v[11:12], v1, off
	global_load_dword v11, v[3:4], off
	v_add_u32_e32 v1, s6, v10
	v_lshlrev_b64 v[8:9], 2, v[1:2]
	v_mov_b32_e32 v12, s9
	v_add_co_u32_e32 v8, vcc, s8, v8
	v_addc_co_u32_e32 v9, vcc, v12, v9, vcc
	s_waitcnt vmcnt(0)
	v_fma_f32 v1, -v14, v29, v11
	global_store_dword v[3:4], v1, off
	global_load_dword v11, v[8:9], off
	v_add_u32_e32 v1, s7, v10
	v_lshlrev_b64 v[3:4], 2, v[1:2]
	v_add_co_u32_e32 v3, vcc, s8, v3
	v_addc_co_u32_e32 v4, vcc, v12, v4, vcc
	s_waitcnt vmcnt(0)
	v_fma_f32 v1, -v14, v30, v11
	global_store_dword v[8:9], v1, off
	global_load_dword v11, v[3:4], off
	v_add_u32_e32 v1, s12, v10
	v_lshlrev_b64 v[8:9], 2, v[1:2]
	;; [unrolled: 8-line block ×5, first 2 shown]
	v_add_co_u32_e32 v3, vcc, s8, v3
	v_addc_co_u32_e32 v4, vcc, v12, v4, vcc
	s_waitcnt vmcnt(0)
	v_fma_f32 v1, -v14, v35, v11
	global_store_dword v[8:9], v1, off
	global_load_dword v1, v[3:4], off
	s_waitcnt vmcnt(0)
	v_fma_f32 v1, -v14, v36, v1
	global_store_dword v[3:4], v1, off
                                        ; implicit-def: $vgpr3
                                        ; implicit-def: $vgpr4
.LBB61_27:                              ;   in Loop: Header=BB61_25 Depth=1
	s_or_saveexec_b64 s[2:3], s[2:3]
	v_mov_b32_e32 v1, s18
	s_xor_b64 exec, exec, s[2:3]
	s_cbranch_execz .LBB61_24
; %bb.28:                               ;   in Loop: Header=BB61_25 Depth=1
	v_add_u32_e32 v14, v19, v5
	v_add_u32_e32 v1, s4, v14
	v_lshlrev_b64 v[8:9], 2, v[1:2]
	v_mov_b32_e32 v1, s9
	v_add_co_u32_e32 v8, vcc, s8, v8
	v_addc_co_u32_e32 v9, vcc, v1, v9, vcc
	v_add_u32_e32 v1, s4, v3
	v_lshlrev_b64 v[10:11], 2, v[1:2]
	v_mov_b32_e32 v1, s9
	v_add_co_u32_e32 v10, vcc, s8, v10
	v_addc_co_u32_e32 v11, vcc, v1, v11, vcc
	global_load_dword v15, v[8:9], off
	global_load_dword v16, v[10:11], off
	v_add_u32_e32 v1, s5, v14
	v_lshlrev_b64 v[8:9], 2, v[1:2]
	v_add_u32_e32 v1, s5, v3
	v_mov_b32_e32 v17, s9
	v_lshlrev_b64 v[12:13], 2, v[1:2]
	v_add_co_u32_e32 v8, vcc, s8, v8
	v_addc_co_u32_e32 v9, vcc, v17, v9, vcc
	v_mov_b32_e32 v18, s9
	v_add_co_u32_e32 v12, vcc, s8, v12
	v_addc_co_u32_e32 v13, vcc, v18, v13, vcc
	s_waitcnt vmcnt(0)
	v_fma_f32 v1, -v4, v15, v16
	global_store_dword v[10:11], v1, off
	global_load_dword v15, v[8:9], off
	global_load_dword v16, v[12:13], off
	v_add_u32_e32 v1, s6, v14
	v_lshlrev_b64 v[8:9], 2, v[1:2]
	v_add_u32_e32 v1, s6, v3
	v_lshlrev_b64 v[10:11], 2, v[1:2]
	v_add_co_u32_e32 v8, vcc, s8, v8
	v_addc_co_u32_e32 v9, vcc, v17, v9, vcc
	v_add_co_u32_e32 v10, vcc, s8, v10
	v_addc_co_u32_e32 v11, vcc, v18, v11, vcc
	s_waitcnt vmcnt(0)
	v_fma_f32 v1, -v4, v15, v16
	global_store_dword v[12:13], v1, off
	global_load_dword v15, v[8:9], off
	global_load_dword v16, v[10:11], off
	v_add_u32_e32 v1, s7, v14
	v_lshlrev_b64 v[8:9], 2, v[1:2]
	v_add_u32_e32 v1, s7, v3
	v_lshlrev_b64 v[12:13], 2, v[1:2]
	v_add_co_u32_e32 v8, vcc, s8, v8
	v_addc_co_u32_e32 v9, vcc, v17, v9, vcc
	;; [unrolled: 13-line block ×6, first 2 shown]
	v_add_co_u32_e32 v12, vcc, s8, v12
	v_addc_co_u32_e32 v13, vcc, v18, v13, vcc
	s_waitcnt vmcnt(0)
	v_fma_f32 v1, -v4, v15, v16
	global_store_dword v[10:11], v1, off
	global_load_dword v1, v[8:9], off
	s_nop 0
	global_load_dword v3, v[12:13], off
	s_waitcnt vmcnt(0)
	v_fma_f32 v1, -v4, v1, v3
	global_store_dword v[12:13], v1, off
	v_mov_b32_e32 v1, s22
	s_branch .LBB61_24
.LBB61_29:
	s_endpgm
	.section	.rodata,"a",@progbits
	.p2align	6, 0x0
	.amdhsa_kernel _ZN9rocsparseL19gtsv_LBM_rhs_kernelILj256ELj64ELj8EfEEviiiPKT2_S3_S3_PS1_S3_PKi
		.amdhsa_group_segment_fixed_size 0
		.amdhsa_private_segment_fixed_size 0
		.amdhsa_kernarg_size 64
		.amdhsa_user_sgpr_count 6
		.amdhsa_user_sgpr_private_segment_buffer 1
		.amdhsa_user_sgpr_dispatch_ptr 0
		.amdhsa_user_sgpr_queue_ptr 0
		.amdhsa_user_sgpr_kernarg_segment_ptr 1
		.amdhsa_user_sgpr_dispatch_id 0
		.amdhsa_user_sgpr_flat_scratch_init 0
		.amdhsa_user_sgpr_private_segment_size 0
		.amdhsa_uses_dynamic_stack 0
		.amdhsa_system_sgpr_private_segment_wavefront_offset 0
		.amdhsa_system_sgpr_workgroup_id_x 1
		.amdhsa_system_sgpr_workgroup_id_y 1
		.amdhsa_system_sgpr_workgroup_id_z 0
		.amdhsa_system_sgpr_workgroup_info 0
		.amdhsa_system_vgpr_workitem_id 0
		.amdhsa_next_free_vgpr 62
		.amdhsa_next_free_sgpr 37
		.amdhsa_reserve_vcc 1
		.amdhsa_reserve_flat_scratch 0
		.amdhsa_float_round_mode_32 0
		.amdhsa_float_round_mode_16_64 0
		.amdhsa_float_denorm_mode_32 3
		.amdhsa_float_denorm_mode_16_64 3
		.amdhsa_dx10_clamp 1
		.amdhsa_ieee_mode 1
		.amdhsa_fp16_overflow 0
		.amdhsa_exception_fp_ieee_invalid_op 0
		.amdhsa_exception_fp_denorm_src 0
		.amdhsa_exception_fp_ieee_div_zero 0
		.amdhsa_exception_fp_ieee_overflow 0
		.amdhsa_exception_fp_ieee_underflow 0
		.amdhsa_exception_fp_ieee_inexact 0
		.amdhsa_exception_int_div_zero 0
	.end_amdhsa_kernel
	.section	.text._ZN9rocsparseL19gtsv_LBM_rhs_kernelILj256ELj64ELj8EfEEviiiPKT2_S3_S3_PS1_S3_PKi,"axG",@progbits,_ZN9rocsparseL19gtsv_LBM_rhs_kernelILj256ELj64ELj8EfEEviiiPKT2_S3_S3_PS1_S3_PKi,comdat
.Lfunc_end61:
	.size	_ZN9rocsparseL19gtsv_LBM_rhs_kernelILj256ELj64ELj8EfEEviiiPKT2_S3_S3_PS1_S3_PKi, .Lfunc_end61-_ZN9rocsparseL19gtsv_LBM_rhs_kernelILj256ELj64ELj8EfEEviiiPKT2_S3_S3_PS1_S3_PKi
                                        ; -- End function
	.set _ZN9rocsparseL19gtsv_LBM_rhs_kernelILj256ELj64ELj8EfEEviiiPKT2_S3_S3_PS1_S3_PKi.num_vgpr, 62
	.set _ZN9rocsparseL19gtsv_LBM_rhs_kernelILj256ELj64ELj8EfEEviiiPKT2_S3_S3_PS1_S3_PKi.num_agpr, 0
	.set _ZN9rocsparseL19gtsv_LBM_rhs_kernelILj256ELj64ELj8EfEEviiiPKT2_S3_S3_PS1_S3_PKi.numbered_sgpr, 37
	.set _ZN9rocsparseL19gtsv_LBM_rhs_kernelILj256ELj64ELj8EfEEviiiPKT2_S3_S3_PS1_S3_PKi.num_named_barrier, 0
	.set _ZN9rocsparseL19gtsv_LBM_rhs_kernelILj256ELj64ELj8EfEEviiiPKT2_S3_S3_PS1_S3_PKi.private_seg_size, 0
	.set _ZN9rocsparseL19gtsv_LBM_rhs_kernelILj256ELj64ELj8EfEEviiiPKT2_S3_S3_PS1_S3_PKi.uses_vcc, 1
	.set _ZN9rocsparseL19gtsv_LBM_rhs_kernelILj256ELj64ELj8EfEEviiiPKT2_S3_S3_PS1_S3_PKi.uses_flat_scratch, 0
	.set _ZN9rocsparseL19gtsv_LBM_rhs_kernelILj256ELj64ELj8EfEEviiiPKT2_S3_S3_PS1_S3_PKi.has_dyn_sized_stack, 0
	.set _ZN9rocsparseL19gtsv_LBM_rhs_kernelILj256ELj64ELj8EfEEviiiPKT2_S3_S3_PS1_S3_PKi.has_recursion, 0
	.set _ZN9rocsparseL19gtsv_LBM_rhs_kernelILj256ELj64ELj8EfEEviiiPKT2_S3_S3_PS1_S3_PKi.has_indirect_call, 0
	.section	.AMDGPU.csdata,"",@progbits
; Kernel info:
; codeLenInByte = 4644
; TotalNumSgprs: 41
; NumVgprs: 62
; ScratchSize: 0
; MemoryBound: 0
; FloatMode: 240
; IeeeMode: 1
; LDSByteSize: 0 bytes/workgroup (compile time only)
; SGPRBlocks: 5
; VGPRBlocks: 15
; NumSGPRsForWavesPerEU: 41
; NumVGPRsForWavesPerEU: 62
; Occupancy: 4
; WaveLimiterHint : 0
; COMPUTE_PGM_RSRC2:SCRATCH_EN: 0
; COMPUTE_PGM_RSRC2:USER_SGPR: 6
; COMPUTE_PGM_RSRC2:TRAP_HANDLER: 0
; COMPUTE_PGM_RSRC2:TGID_X_EN: 1
; COMPUTE_PGM_RSRC2:TGID_Y_EN: 1
; COMPUTE_PGM_RSRC2:TGID_Z_EN: 0
; COMPUTE_PGM_RSRC2:TIDIG_COMP_CNT: 0
	.section	.text._ZN9rocsparseL19gtsv_LBM_rhs_kernelILj256ELj64ELj4EfEEviiiPKT2_S3_S3_PS1_S3_PKi,"axG",@progbits,_ZN9rocsparseL19gtsv_LBM_rhs_kernelILj256ELj64ELj4EfEEviiiPKT2_S3_S3_PS1_S3_PKi,comdat
	.globl	_ZN9rocsparseL19gtsv_LBM_rhs_kernelILj256ELj64ELj4EfEEviiiPKT2_S3_S3_PS1_S3_PKi ; -- Begin function _ZN9rocsparseL19gtsv_LBM_rhs_kernelILj256ELj64ELj4EfEEviiiPKT2_S3_S3_PS1_S3_PKi
	.p2align	8
	.type	_ZN9rocsparseL19gtsv_LBM_rhs_kernelILj256ELj64ELj4EfEEviiiPKT2_S3_S3_PS1_S3_PKi,@function
_ZN9rocsparseL19gtsv_LBM_rhs_kernelILj256ELj64ELj4EfEEviiiPKT2_S3_S3_PS1_S3_PKi: ; @_ZN9rocsparseL19gtsv_LBM_rhs_kernelILj256ELj64ELj4EfEEviiiPKT2_S3_S3_PS1_S3_PKi
; %bb.0:
	s_load_dword s23, s[4:5], 0x0
	v_lshl_or_b32 v0, s6, 8, v0
	s_waitcnt lgkmcnt(0)
	s_lshr_b32 s22, s23, 6
	v_cmp_gt_i32_e32 vcc, s22, v0
	s_and_saveexec_b64 s[0:1], vcc
	s_cbranch_execz .LBB62_29
; %bb.1:
	s_load_dwordx4 s[8:11], s[4:5], 0x28
	s_load_dwordx2 s[16:17], s[4:5], 0x38
	s_cmp_lt_i32 s23, 1
	v_add_u32_e32 v11, s22, v0
	s_mul_i32 s24, s7, s23
	s_cbranch_scc1 .LBB62_21
; %bb.2:
	s_load_dwordx4 s[12:15], s[4:5], 0x10
	s_load_dwordx2 s[6:7], s[4:5], 0x20
	v_ashrrev_i32_e32 v1, 31, v0
	v_lshlrev_b64 v[1:2], 2, v[0:1]
	s_lshl_b32 s28, s24, 2
	s_waitcnt lgkmcnt(0)
	v_mov_b32_e32 v3, s15
	v_add_co_u32_e32 v1, vcc, s14, v1
	v_addc_co_u32_e32 v2, vcc, v3, v2, vcc
	global_load_dword v16, v[1:2], off
	s_add_i32 s29, s28, s23
	s_add_i32 s30, s29, s23
	s_mul_i32 s25, s22, 63
	s_mul_i32 s26, s22, 62
	s_lshl_b32 s27, s22, 1
	v_add_u32_e32 v13, s22, v11
	s_add_i32 s31, s30, s23
	v_mov_b32_e32 v2, 0
	s_mov_b64 s[18:19], 0
	v_mov_b32_e32 v14, s7
	v_mov_b32_e32 v12, 0
	s_branch .LBB62_5
.LBB62_3:                               ;   in Loop: Header=BB62_5 Depth=1
	s_or_b64 exec, exec, s[4:5]
	v_fma_f32 v16, -v16, v22, v18
	v_mov_b32_e32 v1, s22
.LBB62_4:                               ;   in Loop: Header=BB62_5 Depth=1
	s_or_b64 exec, exec, s[2:3]
	v_add_u32_e32 v12, v1, v12
	v_cmp_le_i32_e32 vcc, s23, v12
	s_or_b64 s[18:19], vcc, s[18:19]
	s_andn2_b64 exec, exec, s[18:19]
	s_cbranch_execz .LBB62_20
.LBB62_5:                               ; =>This Inner Loop Header: Depth=1
	v_add_u32_e32 v9, v12, v0
	v_ashrrev_i32_e32 v10, 31, v9
	v_lshlrev_b64 v[3:4], 2, v[9:10]
	v_cmp_gt_u32_e64 s[0:1], s25, v12
	v_add_co_u32_e32 v5, vcc, s6, v3
	v_addc_co_u32_e32 v6, vcc, v14, v4, vcc
	global_load_dword v19, v[5:6], off
	v_mov_b32_e32 v15, 0
	s_and_saveexec_b64 s[2:3], s[0:1]
	s_cbranch_execz .LBB62_7
; %bb.6:                                ;   in Loop: Header=BB62_5 Depth=1
	v_add_u32_e32 v5, v11, v12
	v_ashrrev_i32_e32 v6, 31, v5
	v_lshlrev_b64 v[5:6], 2, v[5:6]
	v_mov_b32_e32 v1, s13
	v_add_co_u32_e32 v5, vcc, s12, v5
	v_addc_co_u32_e32 v6, vcc, v1, v6, vcc
	global_load_dword v15, v[5:6], off
.LBB62_7:                               ;   in Loop: Header=BB62_5 Depth=1
	s_or_b64 exec, exec, s[2:3]
	v_mov_b32_e32 v17, 0
	v_mov_b32_e32 v18, 0
	s_and_saveexec_b64 s[2:3], s[0:1]
	s_cbranch_execz .LBB62_9
; %bb.8:                                ;   in Loop: Header=BB62_5 Depth=1
	v_add_u32_e32 v5, v11, v12
	v_ashrrev_i32_e32 v6, 31, v5
	v_lshlrev_b64 v[5:6], 2, v[5:6]
	v_mov_b32_e32 v1, s15
	v_add_co_u32_e32 v5, vcc, s14, v5
	v_addc_co_u32_e32 v6, vcc, v1, v6, vcc
	global_load_dword v18, v[5:6], off
.LBB62_9:                               ;   in Loop: Header=BB62_5 Depth=1
	s_or_b64 exec, exec, s[2:3]
	s_and_saveexec_b64 s[2:3], s[0:1]
	s_cbranch_execz .LBB62_11
; %bb.10:                               ;   in Loop: Header=BB62_5 Depth=1
	v_add_u32_e32 v5, v11, v12
	v_ashrrev_i32_e32 v6, 31, v5
	v_lshlrev_b64 v[5:6], 2, v[5:6]
	v_mov_b32_e32 v1, s7
	v_add_co_u32_e32 v5, vcc, s6, v5
	v_addc_co_u32_e32 v6, vcc, v1, v6, vcc
	global_load_dword v17, v[5:6], off
.LBB62_11:                              ;   in Loop: Header=BB62_5 Depth=1
	s_or_b64 exec, exec, s[2:3]
	v_cmp_gt_u32_e64 s[2:3], s26, v12
	v_mov_b32_e32 v20, 0
	s_and_saveexec_b64 s[4:5], s[2:3]
	s_cbranch_execz .LBB62_13
; %bb.12:                               ;   in Loop: Header=BB62_5 Depth=1
	v_add_u32_e32 v5, v13, v12
	v_ashrrev_i32_e32 v6, 31, v5
	v_lshlrev_b64 v[5:6], 2, v[5:6]
	v_mov_b32_e32 v1, s13
	v_add_co_u32_e32 v5, vcc, s12, v5
	v_addc_co_u32_e32 v6, vcc, v1, v6, vcc
	global_load_dword v20, v[5:6], off
.LBB62_13:                              ;   in Loop: Header=BB62_5 Depth=1
	s_or_b64 exec, exec, s[4:5]
	v_mov_b32_e32 v1, s17
	v_add_co_u32_e32 v3, vcc, s16, v3
	v_addc_co_u32_e32 v4, vcc, v1, v4, vcc
	v_add_u32_e32 v1, s28, v9
	global_load_dword v22, v[3:4], off
	v_lshlrev_b64 v[3:4], 2, v[1:2]
	v_add_u32_e32 v1, s29, v9
	s_waitcnt vmcnt(2)
	v_mov_b32_e32 v21, s9
	v_add_co_u32_e32 v3, vcc, s8, v3
	v_lshlrev_b64 v[5:6], 2, v[1:2]
	v_addc_co_u32_e32 v4, vcc, v21, v4, vcc
	v_add_u32_e32 v1, s30, v9
	v_add_co_u32_e32 v5, vcc, s8, v5
	v_lshlrev_b64 v[7:8], 2, v[1:2]
	v_addc_co_u32_e32 v6, vcc, v21, v6, vcc
	v_add_u32_e32 v1, s31, v9
	v_add_co_u32_e32 v7, vcc, s8, v7
	v_lshlrev_b64 v[9:10], 2, v[1:2]
	v_addc_co_u32_e32 v8, vcc, v21, v8, vcc
	v_add_co_u32_e32 v9, vcc, s8, v9
	v_addc_co_u32_e32 v10, vcc, v21, v10, vcc
	global_load_dword v25, v[3:4], off
	global_load_dword v24, v[5:6], off
	;; [unrolled: 1-line block ×4, first 2 shown]
	v_cmp_ne_u32_e64 s[4:5], s25, v12
	s_waitcnt vmcnt(4)
	v_cmp_ne_u32_e32 vcc, 1, v22
	s_and_b64 s[4:5], s[4:5], vcc
	v_mul_f32_e32 v22, v19, v15
	s_and_saveexec_b64 s[20:21], s[4:5]
	s_xor_b64 s[4:5], exec, s[20:21]
	s_cbranch_execz .LBB62_17
; %bb.14:                               ;   in Loop: Header=BB62_5 Depth=1
	v_add_u32_e32 v34, v11, v12
	v_add_u32_e32 v1, s28, v34
	v_lshlrev_b64 v[26:27], 2, v[1:2]
	v_mov_b32_e32 v35, s9
	v_add_co_u32_e32 v28, vcc, s8, v26
	v_add_u32_e32 v1, s29, v34
	v_addc_co_u32_e32 v29, vcc, v35, v27, vcc
	v_lshlrev_b64 v[26:27], 2, v[1:2]
	v_add_u32_e32 v1, s30, v34
	v_add_co_u32_e32 v30, vcc, s8, v26
	v_addc_co_u32_e32 v31, vcc, v35, v27, vcc
	v_lshlrev_b64 v[26:27], 2, v[1:2]
	v_add_u32_e32 v1, s31, v34
	v_add_co_u32_e32 v32, vcc, s8, v26
	v_addc_co_u32_e32 v33, vcc, v35, v27, vcc
	v_lshlrev_b64 v[26:27], 2, v[1:2]
	v_fma_f32 v1, v16, v18, -v22
	v_div_scale_f32 v22, s[20:21], v1, v1, 1.0
	v_add_co_u32_e32 v34, vcc, s8, v26
	v_addc_co_u32_e32 v35, vcc, v35, v27, vcc
	v_rcp_f32_e32 v26, v22
	v_fma_f32 v27, -v22, v26, 1.0
	v_fmac_f32_e32 v26, v27, v26
	v_div_scale_f32 v27, vcc, 1.0, v1, 1.0
	v_mul_f32_e32 v36, v27, v26
	v_fma_f32 v37, -v22, v36, v27
	v_fmac_f32_e32 v36, v37, v26
	v_fma_f32 v22, -v22, v36, v27
	v_div_fmas_f32 v22, v22, v26, v36
	v_div_fixup_f32 v22, v22, v1, 1.0
	global_load_dword v1, v[28:29], off
	global_load_dword v27, v[30:31], off
	;; [unrolled: 1-line block ×4, first 2 shown]
	s_waitcnt vmcnt(7)
	v_mul_f32_e32 v25, v22, v25
	s_waitcnt vmcnt(6)
	v_mul_f32_e32 v24, v22, v24
	;; [unrolled: 2-line block ×3, first 2 shown]
	v_mul_f32_e32 v26, v22, v1
	v_mul_f32_e32 v1, v19, v26
	v_fma_f32 v1, v18, v25, -v1
	global_store_dword v[3:4], v1, off
	v_mul_f32_e32 v1, v19, v27
	v_fma_f32 v1, v18, v24, -v1
	s_waitcnt vmcnt(2)
	v_mul_f32_e32 v4, v22, v36
	global_store_dword v[5:6], v1, off
	v_mul_f32_e32 v3, v22, v23
	v_mul_f32_e32 v1, v19, v4
	v_fma_f32 v1, v18, v3, -v1
	s_waitcnt vmcnt(2)
	v_mul_f32_e32 v6, v22, v37
	global_store_dword v[7:8], v1, off
	v_mul_f32_e32 v5, v22, v21
	v_mul_f32_e32 v1, v19, v6
	v_fma_f32 v1, v18, v5, -v1
	global_store_dword v[9:10], v1, off
	v_mul_f32_e32 v1, v15, v25
	v_fma_f32 v1, v16, v26, -v1
	v_mul_f32_e32 v7, v15, v24
	global_store_dword v[28:29], v1, off
	v_mul_f32_e32 v1, v15, v3
	v_mul_f32_e32 v8, v15, v5
	v_fma_f32 v7, v16, v27, -v7
	v_fma_f32 v1, v16, v4, -v1
	;; [unrolled: 1-line block ×3, first 2 shown]
	global_store_dword v[30:31], v7, off
	global_store_dword v[32:33], v1, off
	;; [unrolled: 1-line block ×3, first 2 shown]
	v_mov_b32_e32 v1, 0
	s_and_saveexec_b64 s[20:21], s[2:3]
	s_cbranch_execz .LBB62_16
; %bb.15:                               ;   in Loop: Header=BB62_5 Depth=1
	v_add_u32_e32 v7, v13, v12
	v_add_u32_e32 v1, s28, v7
	v_lshlrev_b64 v[8:9], 2, v[1:2]
	v_mov_b32_e32 v10, s9
	v_add_co_u32_e32 v18, vcc, s8, v8
	v_add_u32_e32 v1, s29, v7
	v_addc_co_u32_e32 v19, vcc, v10, v9, vcc
	v_lshlrev_b64 v[8:9], 2, v[1:2]
	global_load_dword v23, v[18:19], off
	v_add_co_u32_e32 v28, vcc, s8, v8
	v_addc_co_u32_e32 v29, vcc, v10, v9, vcc
	global_load_dword v30, v[28:29], off
	v_mul_f32_e32 v32, v16, v20
	v_mul_f32_e32 v31, v15, v20
	;; [unrolled: 1-line block ×3, first 2 shown]
	v_fma_f32 v25, v31, v25, -v1
	v_add_u32_e32 v1, s30, v7
	v_lshlrev_b64 v[15:16], 2, v[1:2]
	v_add_u32_e32 v1, s31, v7
	v_lshlrev_b64 v[20:21], 2, v[1:2]
	v_add_co_u32_e32 v15, vcc, s8, v15
	v_mul_f32_e32 v9, v32, v27
	v_ashrrev_i32_e32 v8, 31, v7
	v_addc_co_u32_e32 v16, vcc, v10, v16, vcc
	v_fma_f32 v24, v31, v24, -v9
	v_lshlrev_b64 v[8:9], 2, v[7:8]
	v_add_co_u32_e32 v20, vcc, s8, v20
	v_addc_co_u32_e32 v21, vcc, v10, v21, vcc
	v_mov_b32_e32 v33, s15
	v_add_co_u32_e32 v7, vcc, s14, v8
	v_addc_co_u32_e32 v8, vcc, v33, v9, vcc
	v_mul_f32_e32 v4, v32, v4
	v_mul_f32_e32 v6, v32, v6
	v_fma_f32 v3, v31, v3, -v4
	v_fma_f32 v4, v31, v5, -v6
	s_waitcnt vmcnt(1)
	v_add_f32_e32 v1, v25, v23
	global_store_dword v[18:19], v1, off
	s_waitcnt vmcnt(1)
	v_add_f32_e32 v1, v24, v30
	global_store_dword v[28:29], v1, off
	global_load_dword v1, v[15:16], off
	s_nop 0
	global_load_dword v10, v[20:21], off
	s_waitcnt vmcnt(1)
	v_add_f32_e32 v1, v3, v1
	global_load_dword v7, v[7:8], off
	v_mul_f32_e32 v8, v17, v32
	global_store_dword v[15:16], v1, off
	s_waitcnt vmcnt(2)
	v_add_f32_e32 v1, v4, v10
	global_store_dword v[20:21], v1, off
	s_waitcnt vmcnt(2)
	v_fma_f32 v1, -v22, v8, v7
.LBB62_16:                              ;   in Loop: Header=BB62_5 Depth=1
	s_or_b64 exec, exec, s[20:21]
	v_mov_b32_e32 v16, v1
                                        ; implicit-def: $vgpr15
                                        ; implicit-def: $vgpr18
                                        ; implicit-def: $vgpr22
                                        ; implicit-def: $vgpr3_vgpr4
                                        ; implicit-def: $vgpr25
                                        ; implicit-def: $vgpr5_vgpr6
                                        ; implicit-def: $vgpr24
                                        ; implicit-def: $vgpr7_vgpr8
                                        ; implicit-def: $vgpr23
                                        ; implicit-def: $vgpr9_vgpr10
                                        ; implicit-def: $vgpr21
.LBB62_17:                              ;   in Loop: Header=BB62_5 Depth=1
	s_or_saveexec_b64 s[2:3], s[4:5]
	v_mov_b32_e32 v1, s27
	s_xor_b64 exec, exec, s[2:3]
	s_cbranch_execz .LBB62_4
; %bb.18:                               ;   in Loop: Header=BB62_5 Depth=1
	v_div_scale_f32 v1, s[4:5], v16, v16, 1.0
	v_div_scale_f32 v17, vcc, 1.0, v16, 1.0
	v_rcp_f32_e32 v19, v1
	v_fma_f32 v20, -v1, v19, 1.0
	v_fmac_f32_e32 v19, v20, v19
	v_mul_f32_e32 v20, v17, v19
	v_fma_f32 v26, -v1, v20, v17
	v_fmac_f32_e32 v20, v26, v19
	v_fma_f32 v1, -v1, v20, v17
	v_div_fmas_f32 v1, v1, v19, v20
	v_div_fixup_f32 v16, v1, v16, 1.0
	s_waitcnt vmcnt(3)
	v_mul_f32_e32 v25, v16, v25
	s_waitcnt vmcnt(2)
	v_mul_f32_e32 v20, v16, v24
	;; [unrolled: 2-line block ×4, first 2 shown]
	global_store_dword v[3:4], v25, off
	global_store_dword v[5:6], v20, off
	;; [unrolled: 1-line block ×4, first 2 shown]
	s_and_saveexec_b64 s[4:5], s[0:1]
	s_cbranch_execz .LBB62_3
; %bb.19:                               ;   in Loop: Header=BB62_5 Depth=1
	v_add_u32_e32 v9, v11, v12
	v_add_u32_e32 v1, s28, v9
	v_lshlrev_b64 v[3:4], 2, v[1:2]
	v_add_u32_e32 v1, s29, v9
	v_mov_b32_e32 v21, s9
	v_add_co_u32_e32 v3, vcc, s8, v3
	v_lshlrev_b64 v[5:6], 2, v[1:2]
	v_addc_co_u32_e32 v4, vcc, v21, v4, vcc
	v_add_co_u32_e32 v5, vcc, s8, v5
	global_load_dword v23, v[3:4], off
	v_addc_co_u32_e32 v6, vcc, v21, v6, vcc
	global_load_dword v24, v[5:6], off
	v_add_u32_e32 v1, s30, v9
	v_lshlrev_b64 v[7:8], 2, v[1:2]
	v_add_u32_e32 v1, s31, v9
	v_lshlrev_b64 v[9:10], 2, v[1:2]
	v_add_co_u32_e32 v7, vcc, s8, v7
	v_addc_co_u32_e32 v8, vcc, v21, v8, vcc
	v_add_co_u32_e32 v9, vcc, s8, v9
	v_addc_co_u32_e32 v10, vcc, v21, v10, vcc
	s_waitcnt vmcnt(1)
	v_fma_f32 v1, -v15, v25, v23
	global_store_dword v[3:4], v1, off
	global_load_dword v3, v[7:8], off
	s_waitcnt vmcnt(2)
	v_fma_f32 v1, -v15, v20, v24
	global_store_dword v[5:6], v1, off
	global_load_dword v1, v[9:10], off
	s_waitcnt vmcnt(2)
	v_fma_f32 v3, -v15, v19, v3
	global_store_dword v[7:8], v3, off
	s_waitcnt vmcnt(1)
	v_fma_f32 v1, -v15, v17, v1
	global_store_dword v[9:10], v1, off
	s_branch .LBB62_3
.LBB62_20:
	s_or_b64 exec, exec, s[18:19]
	s_branch .LBB62_22
.LBB62_21:
	v_mov_b32_e32 v12, 0
.LBB62_22:
	v_subrev_u32_e32 v3, s22, v12
	v_add_u32_e32 v1, v3, v0
	v_ashrrev_i32_e32 v2, 31, v1
	v_lshlrev_b64 v[1:2], 2, v[1:2]
	s_waitcnt lgkmcnt(0)
	v_mov_b32_e32 v4, s17
	v_add_co_u32_e32 v1, vcc, s16, v1
	v_addc_co_u32_e32 v2, vcc, v4, v2, vcc
	s_waitcnt vmcnt(0)
	buffer_wbinvl1_vol
	global_load_dword v1, v[1:2], off
	s_waitcnt vmcnt(0)
	v_mul_lo_u32 v1, v1, s22
	v_sub_u32_e32 v5, v3, v1
	v_cmp_lt_i32_e32 vcc, -1, v5
	s_and_b64 exec, exec, vcc
	s_cbranch_execz .LBB62_29
; %bb.23:
	s_lshl_b32 s4, s24, 2
	s_add_i32 s5, s4, s23
	s_add_i32 s6, s5, s23
	;; [unrolled: 1-line block ×3, first 2 shown]
	s_lshl_b32 s12, s22, 1
	s_mov_b64 s[0:1], 0
	v_mov_b32_e32 v6, s17
	v_mov_b32_e32 v7, s11
	;; [unrolled: 1-line block ×3, first 2 shown]
	s_branch .LBB62_25
.LBB62_24:                              ;   in Loop: Header=BB62_25 Depth=1
	s_or_b64 exec, exec, s[2:3]
	v_sub_u32_e32 v5, v5, v1
	v_cmp_gt_i32_e32 vcc, 0, v5
	s_or_b64 s[0:1], vcc, s[0:1]
	s_andn2_b64 exec, exec, s[0:1]
	s_cbranch_execz .LBB62_29
.LBB62_25:                              ; =>This Inner Loop Header: Depth=1
	v_add_u32_e32 v3, v5, v0
	s_waitcnt vmcnt(0)
	v_ashrrev_i32_e32 v4, 31, v3
	v_lshlrev_b64 v[8:9], 2, v[3:4]
	v_add_co_u32_e32 v12, vcc, s16, v8
	v_addc_co_u32_e32 v13, vcc, v6, v9, vcc
	v_add_co_u32_e32 v8, vcc, s10, v8
	global_load_dword v1, v[12:13], off
	v_addc_co_u32_e32 v9, vcc, v7, v9, vcc
	global_load_dword v4, v[8:9], off
	s_waitcnt vmcnt(1)
	v_cmp_ne_u32_e32 vcc, 1, v1
	s_and_saveexec_b64 s[2:3], vcc
	s_xor_b64 s[2:3], exec, s[2:3]
	s_cbranch_execz .LBB62_27
; %bb.26:                               ;   in Loop: Header=BB62_25 Depth=1
	v_add_u32_e32 v10, v11, v5
	v_add_u32_e32 v1, s4, v10
	v_lshlrev_b64 v[8:9], 2, v[1:2]
	v_mov_b32_e32 v1, s9
	v_add_co_u32_e32 v8, vcc, s8, v8
	v_addc_co_u32_e32 v9, vcc, v1, v9, vcc
	v_add_u32_e32 v1, s5, v10
	v_lshlrev_b64 v[12:13], 2, v[1:2]
	v_add_u32_e32 v1, s6, v10
	v_lshlrev_b64 v[14:15], 2, v[1:2]
	v_add_u32_e32 v1, s7, v10
	v_lshlrev_b64 v[16:17], 2, v[1:2]
	v_add_u32_e32 v1, s4, v3
	v_lshlrev_b64 v[18:19], 2, v[1:2]
	v_mov_b32_e32 v1, s9
	v_add_co_u32_e32 v18, vcc, s8, v18
	v_addc_co_u32_e32 v19, vcc, v1, v19, vcc
	global_load_dword v10, v[8:9], off
	global_load_dword v20, v[18:19], off
	v_add_co_u32_e32 v8, vcc, s8, v12
	v_addc_co_u32_e32 v9, vcc, v1, v13, vcc
	v_mov_b32_e32 v21, s9
	v_add_co_u32_e32 v12, vcc, s8, v14
	v_addc_co_u32_e32 v13, vcc, v21, v15, vcc
	v_mov_b32_e32 v22, s9
	v_add_co_u32_e32 v14, vcc, s8, v16
	v_add_u32_e32 v1, s5, v3
	v_addc_co_u32_e32 v15, vcc, v22, v17, vcc
	global_load_dword v16, v[8:9], off
	global_load_dword v17, v[12:13], off
	;; [unrolled: 1-line block ×3, first 2 shown]
	v_lshlrev_b64 v[8:9], 2, v[1:2]
	v_mov_b32_e32 v12, s9
	v_add_co_u32_e32 v8, vcc, s8, v8
	v_addc_co_u32_e32 v9, vcc, v12, v9, vcc
	v_mov_b32_e32 v15, s9
	s_waitcnt vmcnt(3)
	v_fma_f32 v1, -v4, v10, v20
	global_store_dword v[18:19], v1, off
	global_load_dword v14, v[8:9], off
	v_add_u32_e32 v1, s6, v3
	v_lshlrev_b64 v[12:13], 2, v[1:2]
	v_add_co_u32_e32 v12, vcc, s8, v12
	v_addc_co_u32_e32 v13, vcc, v15, v13, vcc
	s_waitcnt vmcnt(0)
	v_fma_f32 v1, -v4, v16, v14
	global_store_dword v[8:9], v1, off
	global_load_dword v14, v[12:13], off
	v_add_u32_e32 v1, s7, v3
	v_lshlrev_b64 v[8:9], 2, v[1:2]
	v_add_co_u32_e32 v8, vcc, s8, v8
	v_addc_co_u32_e32 v9, vcc, v15, v9, vcc
	s_waitcnt vmcnt(0)
	v_fma_f32 v1, -v4, v17, v14
	global_store_dword v[12:13], v1, off
	global_load_dword v3, v[8:9], off
	v_subrev_u32_e32 v1, s22, v5
	v_add_u32_e32 v12, v1, v0
	v_ashrrev_i32_e32 v13, 31, v12
	v_lshlrev_b64 v[13:14], 2, v[12:13]
	v_add_u32_e32 v1, s4, v12
	v_add_co_u32_e32 v13, vcc, s10, v13
	v_addc_co_u32_e32 v14, vcc, v7, v14, vcc
	global_load_dword v18, v[13:14], off
	v_lshlrev_b64 v[13:14], 2, v[1:2]
	v_add_co_u32_e32 v13, vcc, s8, v13
	v_addc_co_u32_e32 v14, vcc, v15, v14, vcc
	s_waitcnt vmcnt(1)
	v_fma_f32 v1, -v4, v21, v3
	global_store_dword v[8:9], v1, off
	global_load_dword v8, v[13:14], off
	v_add_u32_e32 v1, s5, v12
	v_lshlrev_b64 v[3:4], 2, v[1:2]
	v_mov_b32_e32 v9, s9
	v_add_co_u32_e32 v3, vcc, s8, v3
	v_addc_co_u32_e32 v4, vcc, v9, v4, vcc
	s_waitcnt vmcnt(0)
	v_fma_f32 v1, -v18, v10, v8
	global_store_dword v[13:14], v1, off
	global_load_dword v10, v[3:4], off
	v_add_u32_e32 v1, s6, v12
	v_lshlrev_b64 v[8:9], 2, v[1:2]
	v_mov_b32_e32 v13, s9
	v_add_co_u32_e32 v8, vcc, s8, v8
	v_addc_co_u32_e32 v9, vcc, v13, v9, vcc
	s_waitcnt vmcnt(0)
	v_fma_f32 v1, -v18, v16, v10
	global_store_dword v[3:4], v1, off
	global_load_dword v10, v[8:9], off
	v_add_u32_e32 v1, s7, v12
	v_lshlrev_b64 v[3:4], 2, v[1:2]
	v_add_co_u32_e32 v3, vcc, s8, v3
	v_addc_co_u32_e32 v4, vcc, v13, v4, vcc
	s_waitcnt vmcnt(0)
	v_fma_f32 v1, -v18, v17, v10
	global_store_dword v[8:9], v1, off
	global_load_dword v1, v[3:4], off
	s_waitcnt vmcnt(0)
	v_fma_f32 v1, -v18, v21, v1
	global_store_dword v[3:4], v1, off
                                        ; implicit-def: $vgpr3
                                        ; implicit-def: $vgpr4
.LBB62_27:                              ;   in Loop: Header=BB62_25 Depth=1
	s_or_saveexec_b64 s[2:3], s[2:3]
	v_mov_b32_e32 v1, s12
	s_xor_b64 exec, exec, s[2:3]
	s_cbranch_execz .LBB62_24
; %bb.28:                               ;   in Loop: Header=BB62_25 Depth=1
	v_add_u32_e32 v10, v11, v5
	v_add_u32_e32 v1, s4, v10
	v_lshlrev_b64 v[8:9], 2, v[1:2]
	v_mov_b32_e32 v1, s9
	v_add_co_u32_e32 v8, vcc, s8, v8
	v_addc_co_u32_e32 v9, vcc, v1, v9, vcc
	v_add_u32_e32 v1, s4, v3
	v_lshlrev_b64 v[12:13], 2, v[1:2]
	v_mov_b32_e32 v1, s9
	v_add_co_u32_e32 v12, vcc, s8, v12
	v_addc_co_u32_e32 v13, vcc, v1, v13, vcc
	global_load_dword v16, v[8:9], off
	global_load_dword v17, v[12:13], off
	v_add_u32_e32 v1, s5, v10
	v_lshlrev_b64 v[8:9], 2, v[1:2]
	v_add_u32_e32 v1, s5, v3
	v_mov_b32_e32 v18, s9
	v_lshlrev_b64 v[14:15], 2, v[1:2]
	v_add_co_u32_e32 v8, vcc, s8, v8
	v_addc_co_u32_e32 v9, vcc, v18, v9, vcc
	v_mov_b32_e32 v19, s9
	v_add_co_u32_e32 v14, vcc, s8, v14
	v_addc_co_u32_e32 v15, vcc, v19, v15, vcc
	s_waitcnt vmcnt(0)
	v_fma_f32 v1, -v4, v16, v17
	global_store_dword v[12:13], v1, off
	global_load_dword v16, v[8:9], off
	global_load_dword v17, v[14:15], off
	v_add_u32_e32 v1, s6, v10
	v_lshlrev_b64 v[8:9], 2, v[1:2]
	v_add_u32_e32 v1, s6, v3
	v_lshlrev_b64 v[12:13], 2, v[1:2]
	v_add_co_u32_e32 v8, vcc, s8, v8
	v_addc_co_u32_e32 v9, vcc, v18, v9, vcc
	v_add_co_u32_e32 v12, vcc, s8, v12
	v_addc_co_u32_e32 v13, vcc, v19, v13, vcc
	s_waitcnt vmcnt(0)
	v_fma_f32 v1, -v4, v16, v17
	global_store_dword v[14:15], v1, off
	global_load_dword v16, v[8:9], off
	global_load_dword v17, v[12:13], off
	v_add_u32_e32 v1, s7, v10
	v_lshlrev_b64 v[8:9], 2, v[1:2]
	v_add_u32_e32 v1, s7, v3
	v_lshlrev_b64 v[14:15], 2, v[1:2]
	v_add_co_u32_e32 v8, vcc, s8, v8
	v_addc_co_u32_e32 v9, vcc, v18, v9, vcc
	v_add_co_u32_e32 v14, vcc, s8, v14
	v_addc_co_u32_e32 v15, vcc, v19, v15, vcc
	s_waitcnt vmcnt(0)
	v_fma_f32 v1, -v4, v16, v17
	global_store_dword v[12:13], v1, off
	global_load_dword v1, v[8:9], off
	s_nop 0
	global_load_dword v3, v[14:15], off
	s_waitcnt vmcnt(0)
	v_fma_f32 v1, -v4, v1, v3
	global_store_dword v[14:15], v1, off
	v_mov_b32_e32 v1, s22
	s_branch .LBB62_24
.LBB62_29:
	s_endpgm
	.section	.rodata,"a",@progbits
	.p2align	6, 0x0
	.amdhsa_kernel _ZN9rocsparseL19gtsv_LBM_rhs_kernelILj256ELj64ELj4EfEEviiiPKT2_S3_S3_PS1_S3_PKi
		.amdhsa_group_segment_fixed_size 0
		.amdhsa_private_segment_fixed_size 0
		.amdhsa_kernarg_size 64
		.amdhsa_user_sgpr_count 6
		.amdhsa_user_sgpr_private_segment_buffer 1
		.amdhsa_user_sgpr_dispatch_ptr 0
		.amdhsa_user_sgpr_queue_ptr 0
		.amdhsa_user_sgpr_kernarg_segment_ptr 1
		.amdhsa_user_sgpr_dispatch_id 0
		.amdhsa_user_sgpr_flat_scratch_init 0
		.amdhsa_user_sgpr_private_segment_size 0
		.amdhsa_uses_dynamic_stack 0
		.amdhsa_system_sgpr_private_segment_wavefront_offset 0
		.amdhsa_system_sgpr_workgroup_id_x 1
		.amdhsa_system_sgpr_workgroup_id_y 1
		.amdhsa_system_sgpr_workgroup_id_z 0
		.amdhsa_system_sgpr_workgroup_info 0
		.amdhsa_system_vgpr_workitem_id 0
		.amdhsa_next_free_vgpr 38
		.amdhsa_next_free_sgpr 32
		.amdhsa_reserve_vcc 1
		.amdhsa_reserve_flat_scratch 0
		.amdhsa_float_round_mode_32 0
		.amdhsa_float_round_mode_16_64 0
		.amdhsa_float_denorm_mode_32 3
		.amdhsa_float_denorm_mode_16_64 3
		.amdhsa_dx10_clamp 1
		.amdhsa_ieee_mode 1
		.amdhsa_fp16_overflow 0
		.amdhsa_exception_fp_ieee_invalid_op 0
		.amdhsa_exception_fp_denorm_src 0
		.amdhsa_exception_fp_ieee_div_zero 0
		.amdhsa_exception_fp_ieee_overflow 0
		.amdhsa_exception_fp_ieee_underflow 0
		.amdhsa_exception_fp_ieee_inexact 0
		.amdhsa_exception_int_div_zero 0
	.end_amdhsa_kernel
	.section	.text._ZN9rocsparseL19gtsv_LBM_rhs_kernelILj256ELj64ELj4EfEEviiiPKT2_S3_S3_PS1_S3_PKi,"axG",@progbits,_ZN9rocsparseL19gtsv_LBM_rhs_kernelILj256ELj64ELj4EfEEviiiPKT2_S3_S3_PS1_S3_PKi,comdat
.Lfunc_end62:
	.size	_ZN9rocsparseL19gtsv_LBM_rhs_kernelILj256ELj64ELj4EfEEviiiPKT2_S3_S3_PS1_S3_PKi, .Lfunc_end62-_ZN9rocsparseL19gtsv_LBM_rhs_kernelILj256ELj64ELj4EfEEviiiPKT2_S3_S3_PS1_S3_PKi
                                        ; -- End function
	.set _ZN9rocsparseL19gtsv_LBM_rhs_kernelILj256ELj64ELj4EfEEviiiPKT2_S3_S3_PS1_S3_PKi.num_vgpr, 38
	.set _ZN9rocsparseL19gtsv_LBM_rhs_kernelILj256ELj64ELj4EfEEviiiPKT2_S3_S3_PS1_S3_PKi.num_agpr, 0
	.set _ZN9rocsparseL19gtsv_LBM_rhs_kernelILj256ELj64ELj4EfEEviiiPKT2_S3_S3_PS1_S3_PKi.numbered_sgpr, 32
	.set _ZN9rocsparseL19gtsv_LBM_rhs_kernelILj256ELj64ELj4EfEEviiiPKT2_S3_S3_PS1_S3_PKi.num_named_barrier, 0
	.set _ZN9rocsparseL19gtsv_LBM_rhs_kernelILj256ELj64ELj4EfEEviiiPKT2_S3_S3_PS1_S3_PKi.private_seg_size, 0
	.set _ZN9rocsparseL19gtsv_LBM_rhs_kernelILj256ELj64ELj4EfEEviiiPKT2_S3_S3_PS1_S3_PKi.uses_vcc, 1
	.set _ZN9rocsparseL19gtsv_LBM_rhs_kernelILj256ELj64ELj4EfEEviiiPKT2_S3_S3_PS1_S3_PKi.uses_flat_scratch, 0
	.set _ZN9rocsparseL19gtsv_LBM_rhs_kernelILj256ELj64ELj4EfEEviiiPKT2_S3_S3_PS1_S3_PKi.has_dyn_sized_stack, 0
	.set _ZN9rocsparseL19gtsv_LBM_rhs_kernelILj256ELj64ELj4EfEEviiiPKT2_S3_S3_PS1_S3_PKi.has_recursion, 0
	.set _ZN9rocsparseL19gtsv_LBM_rhs_kernelILj256ELj64ELj4EfEEviiiPKT2_S3_S3_PS1_S3_PKi.has_indirect_call, 0
	.section	.AMDGPU.csdata,"",@progbits
; Kernel info:
; codeLenInByte = 2888
; TotalNumSgprs: 36
; NumVgprs: 38
; ScratchSize: 0
; MemoryBound: 0
; FloatMode: 240
; IeeeMode: 1
; LDSByteSize: 0 bytes/workgroup (compile time only)
; SGPRBlocks: 4
; VGPRBlocks: 9
; NumSGPRsForWavesPerEU: 36
; NumVGPRsForWavesPerEU: 38
; Occupancy: 6
; WaveLimiterHint : 0
; COMPUTE_PGM_RSRC2:SCRATCH_EN: 0
; COMPUTE_PGM_RSRC2:USER_SGPR: 6
; COMPUTE_PGM_RSRC2:TRAP_HANDLER: 0
; COMPUTE_PGM_RSRC2:TGID_X_EN: 1
; COMPUTE_PGM_RSRC2:TGID_Y_EN: 1
; COMPUTE_PGM_RSRC2:TGID_Z_EN: 0
; COMPUTE_PGM_RSRC2:TIDIG_COMP_CNT: 0
	.section	.text._ZN9rocsparseL19gtsv_LBM_rhs_kernelILj256ELj64ELj2EfEEviiiPKT2_S3_S3_PS1_S3_PKi,"axG",@progbits,_ZN9rocsparseL19gtsv_LBM_rhs_kernelILj256ELj64ELj2EfEEviiiPKT2_S3_S3_PS1_S3_PKi,comdat
	.globl	_ZN9rocsparseL19gtsv_LBM_rhs_kernelILj256ELj64ELj2EfEEviiiPKT2_S3_S3_PS1_S3_PKi ; -- Begin function _ZN9rocsparseL19gtsv_LBM_rhs_kernelILj256ELj64ELj2EfEEviiiPKT2_S3_S3_PS1_S3_PKi
	.p2align	8
	.type	_ZN9rocsparseL19gtsv_LBM_rhs_kernelILj256ELj64ELj2EfEEviiiPKT2_S3_S3_PS1_S3_PKi,@function
_ZN9rocsparseL19gtsv_LBM_rhs_kernelILj256ELj64ELj2EfEEviiiPKT2_S3_S3_PS1_S3_PKi: ; @_ZN9rocsparseL19gtsv_LBM_rhs_kernelILj256ELj64ELj2EfEEviiiPKT2_S3_S3_PS1_S3_PKi
; %bb.0:
	s_load_dword s23, s[4:5], 0x0
	v_lshl_or_b32 v0, s6, 8, v0
	s_waitcnt lgkmcnt(0)
	s_lshr_b32 s22, s23, 6
	v_cmp_gt_i32_e32 vcc, s22, v0
	s_and_saveexec_b64 s[0:1], vcc
	s_cbranch_execz .LBB63_29
; %bb.1:
	s_load_dwordx4 s[8:11], s[4:5], 0x28
	s_load_dwordx2 s[16:17], s[4:5], 0x38
	s_cmp_lt_i32 s23, 1
	v_add_u32_e32 v7, s22, v0
	s_mul_i32 s24, s7, s23
	s_cbranch_scc1 .LBB63_21
; %bb.2:
	s_load_dwordx4 s[12:15], s[4:5], 0x10
	s_load_dwordx2 s[6:7], s[4:5], 0x20
	v_ashrrev_i32_e32 v1, 31, v0
	v_lshlrev_b64 v[1:2], 2, v[0:1]
	s_lshl_b32 s28, s24, 1
	s_waitcnt lgkmcnt(0)
	v_mov_b32_e32 v3, s15
	v_add_co_u32_e32 v1, vcc, s14, v1
	v_addc_co_u32_e32 v2, vcc, v3, v2, vcc
	global_load_dword v11, v[1:2], off
	s_mul_i32 s25, s22, 63
	s_mul_i32 s26, s22, 62
	s_lshl_b32 s27, s22, 1
	v_add_u32_e32 v9, s22, v7
	s_add_i32 s29, s28, s23
	v_mov_b32_e32 v2, 0
	s_mov_b64 s[18:19], 0
	v_mov_b32_e32 v10, s7
	v_mov_b32_e32 v8, 0
	s_branch .LBB63_5
.LBB63_3:                               ;   in Loop: Header=BB63_5 Depth=1
	s_or_b64 exec, exec, s[4:5]
	v_fma_f32 v11, -v11, v18, v14
	v_mov_b32_e32 v1, s22
.LBB63_4:                               ;   in Loop: Header=BB63_5 Depth=1
	s_or_b64 exec, exec, s[2:3]
	v_add_u32_e32 v8, v1, v8
	v_cmp_le_i32_e32 vcc, s23, v8
	s_or_b64 s[18:19], vcc, s[18:19]
	s_andn2_b64 exec, exec, s[18:19]
	s_cbranch_execz .LBB63_20
.LBB63_5:                               ; =>This Inner Loop Header: Depth=1
	v_add_u32_e32 v3, v8, v0
	v_ashrrev_i32_e32 v4, 31, v3
	v_lshlrev_b64 v[4:5], 2, v[3:4]
	v_cmp_gt_u32_e64 s[0:1], s25, v8
	v_add_co_u32_e32 v12, vcc, s6, v4
	v_addc_co_u32_e32 v13, vcc, v10, v5, vcc
	global_load_dword v16, v[12:13], off
	v_mov_b32_e32 v12, 0
	s_and_saveexec_b64 s[2:3], s[0:1]
	s_cbranch_execz .LBB63_7
; %bb.6:                                ;   in Loop: Header=BB63_5 Depth=1
	v_add_u32_e32 v12, v7, v8
	v_ashrrev_i32_e32 v13, 31, v12
	v_lshlrev_b64 v[12:13], 2, v[12:13]
	v_mov_b32_e32 v1, s13
	v_add_co_u32_e32 v12, vcc, s12, v12
	v_addc_co_u32_e32 v13, vcc, v1, v13, vcc
	global_load_dword v12, v[12:13], off
.LBB63_7:                               ;   in Loop: Header=BB63_5 Depth=1
	s_or_b64 exec, exec, s[2:3]
	v_mov_b32_e32 v13, 0
	v_mov_b32_e32 v14, 0
	s_and_saveexec_b64 s[2:3], s[0:1]
	s_cbranch_execz .LBB63_9
; %bb.8:                                ;   in Loop: Header=BB63_5 Depth=1
	v_add_u32_e32 v14, v7, v8
	v_ashrrev_i32_e32 v15, 31, v14
	v_lshlrev_b64 v[14:15], 2, v[14:15]
	v_mov_b32_e32 v1, s15
	v_add_co_u32_e32 v14, vcc, s14, v14
	v_addc_co_u32_e32 v15, vcc, v1, v15, vcc
	global_load_dword v14, v[14:15], off
.LBB63_9:                               ;   in Loop: Header=BB63_5 Depth=1
	s_or_b64 exec, exec, s[2:3]
	s_and_saveexec_b64 s[2:3], s[0:1]
	s_cbranch_execz .LBB63_11
; %bb.10:                               ;   in Loop: Header=BB63_5 Depth=1
	s_waitcnt vmcnt(1)
	v_add_u32_e32 v17, v7, v8
	v_ashrrev_i32_e32 v18, 31, v17
	v_lshlrev_b64 v[17:18], 2, v[17:18]
	v_mov_b32_e32 v1, s7
	v_add_co_u32_e32 v17, vcc, s6, v17
	v_addc_co_u32_e32 v18, vcc, v1, v18, vcc
	global_load_dword v13, v[17:18], off
.LBB63_11:                              ;   in Loop: Header=BB63_5 Depth=1
	s_or_b64 exec, exec, s[2:3]
	v_cmp_gt_u32_e64 s[2:3], s26, v8
	v_mov_b32_e32 v15, 0
	s_and_saveexec_b64 s[4:5], s[2:3]
	s_cbranch_execz .LBB63_13
; %bb.12:                               ;   in Loop: Header=BB63_5 Depth=1
	s_waitcnt vmcnt(1)
	v_add_u32_e32 v17, v9, v8
	v_ashrrev_i32_e32 v18, 31, v17
	v_lshlrev_b64 v[17:18], 2, v[17:18]
	v_mov_b32_e32 v1, s13
	v_add_co_u32_e32 v17, vcc, s12, v17
	v_addc_co_u32_e32 v18, vcc, v1, v18, vcc
	global_load_dword v15, v[17:18], off
.LBB63_13:                              ;   in Loop: Header=BB63_5 Depth=1
	s_or_b64 exec, exec, s[4:5]
	v_mov_b32_e32 v1, s17
	v_add_co_u32_e32 v4, vcc, s16, v4
	v_addc_co_u32_e32 v5, vcc, v1, v5, vcc
	v_add_u32_e32 v1, s28, v3
	global_load_dword v18, v[4:5], off
	v_lshlrev_b64 v[5:6], 2, v[1:2]
	v_add_u32_e32 v1, s29, v3
	s_waitcnt vmcnt(2)
	v_mov_b32_e32 v17, s9
	v_add_co_u32_e32 v5, vcc, s8, v5
	v_lshlrev_b64 v[3:4], 2, v[1:2]
	v_addc_co_u32_e32 v6, vcc, v17, v6, vcc
	v_add_co_u32_e32 v3, vcc, s8, v3
	v_addc_co_u32_e32 v4, vcc, v17, v4, vcc
	global_load_dword v19, v[5:6], off
	global_load_dword v17, v[3:4], off
	v_cmp_ne_u32_e64 s[4:5], s25, v8
	s_waitcnt vmcnt(2)
	v_cmp_ne_u32_e32 vcc, 1, v18
	s_and_b64 s[4:5], s[4:5], vcc
	v_mul_f32_e32 v18, v16, v12
	s_and_saveexec_b64 s[20:21], s[4:5]
	s_xor_b64 s[4:5], exec, s[20:21]
	s_cbranch_execz .LBB63_17
; %bb.14:                               ;   in Loop: Header=BB63_5 Depth=1
	v_add_u32_e32 v24, v7, v8
	v_add_u32_e32 v1, s28, v24
	v_lshlrev_b64 v[20:21], 2, v[1:2]
	v_mov_b32_e32 v25, s9
	v_add_co_u32_e32 v22, vcc, s8, v20
	v_add_u32_e32 v1, s29, v24
	v_addc_co_u32_e32 v23, vcc, v25, v21, vcc
	v_lshlrev_b64 v[20:21], 2, v[1:2]
	v_fma_f32 v1, v11, v14, -v18
	v_div_scale_f32 v18, s[20:21], v1, v1, 1.0
	v_add_co_u32_e32 v24, vcc, s8, v20
	v_addc_co_u32_e32 v25, vcc, v25, v21, vcc
	v_rcp_f32_e32 v20, v18
	v_fma_f32 v21, -v18, v20, 1.0
	v_fmac_f32_e32 v20, v21, v20
	v_div_scale_f32 v21, vcc, 1.0, v1, 1.0
	v_mul_f32_e32 v26, v21, v20
	v_fma_f32 v27, -v18, v26, v21
	v_fmac_f32_e32 v26, v27, v20
	v_fma_f32 v18, -v18, v26, v21
	v_div_fmas_f32 v18, v18, v20, v26
	global_load_dword v21, v[24:25], off
	v_div_fixup_f32 v18, v18, v1, 1.0
	global_load_dword v1, v[22:23], off
	s_waitcnt vmcnt(3)
	v_mul_f32_e32 v19, v18, v19
	s_waitcnt vmcnt(0)
	v_mul_f32_e32 v20, v18, v1
	v_mul_f32_e32 v1, v16, v20
	v_fma_f32 v1, v14, v19, -v1
	global_store_dword v[5:6], v1, off
	v_mul_f32_e32 v6, v18, v21
	v_mul_f32_e32 v5, v18, v17
	;; [unrolled: 1-line block ×3, first 2 shown]
	v_fma_f32 v1, v14, v5, -v1
	global_store_dword v[3:4], v1, off
	v_mul_f32_e32 v1, v12, v19
	v_fma_f32 v1, v11, v20, -v1
	global_store_dword v[22:23], v1, off
	v_mul_f32_e32 v1, v12, v5
	v_fma_f32 v1, v11, v6, -v1
	global_store_dword v[24:25], v1, off
	v_mov_b32_e32 v1, 0
	s_and_saveexec_b64 s[20:21], s[2:3]
	s_cbranch_execz .LBB63_16
; %bb.15:                               ;   in Loop: Header=BB63_5 Depth=1
	v_add_u32_e32 v3, v9, v8
	v_add_u32_e32 v1, s28, v3
	v_lshlrev_b64 v[16:17], 2, v[1:2]
	v_add_u32_e32 v1, s29, v3
	v_mov_b32_e32 v4, s9
	v_add_co_u32_e32 v16, vcc, s8, v16
	v_lshlrev_b64 v[21:22], 2, v[1:2]
	v_addc_co_u32_e32 v17, vcc, v4, v17, vcc
	v_add_co_u32_e32 v21, vcc, s8, v21
	v_addc_co_u32_e32 v22, vcc, v4, v22, vcc
	v_ashrrev_i32_e32 v4, 31, v3
	v_lshlrev_b64 v[3:4], 2, v[3:4]
	v_mov_b32_e32 v23, s15
	v_add_co_u32_e32 v3, vcc, s14, v3
	global_load_dword v1, v[16:17], off
	global_load_dword v14, v[21:22], off
	v_addc_co_u32_e32 v4, vcc, v23, v4, vcc
	global_load_dword v3, v[3:4], off
	v_mul_f32_e32 v11, v11, v15
	v_mul_f32_e32 v4, v12, v15
	;; [unrolled: 1-line block ×4, first 2 shown]
	v_fma_f32 v12, v4, v19, -v12
	v_fma_f32 v4, v4, v5, -v6
	v_mul_f32_e32 v11, v13, v11
	s_waitcnt vmcnt(2)
	v_add_f32_e32 v1, v12, v1
	global_store_dword v[16:17], v1, off
	s_waitcnt vmcnt(2)
	v_add_f32_e32 v1, v4, v14
	global_store_dword v[21:22], v1, off
	s_waitcnt vmcnt(2)
	v_fma_f32 v1, -v18, v11, v3
.LBB63_16:                              ;   in Loop: Header=BB63_5 Depth=1
	s_or_b64 exec, exec, s[20:21]
	v_mov_b32_e32 v11, v1
                                        ; implicit-def: $vgpr18
                                        ; implicit-def: $vgpr14
                                        ; implicit-def: $vgpr19
                                        ; implicit-def: $vgpr17
                                        ; implicit-def: $vgpr5_vgpr6
                                        ; implicit-def: $vgpr3_vgpr4
                                        ; implicit-def: $vgpr12
.LBB63_17:                              ;   in Loop: Header=BB63_5 Depth=1
	s_or_saveexec_b64 s[2:3], s[4:5]
	v_mov_b32_e32 v1, s27
	s_xor_b64 exec, exec, s[2:3]
	s_cbranch_execz .LBB63_4
; %bb.18:                               ;   in Loop: Header=BB63_5 Depth=1
	v_div_scale_f32 v1, s[4:5], v11, v11, 1.0
	v_div_scale_f32 v13, vcc, 1.0, v11, 1.0
	v_rcp_f32_e32 v15, v1
	v_fma_f32 v16, -v1, v15, 1.0
	v_fmac_f32_e32 v15, v16, v15
	v_mul_f32_e32 v16, v13, v15
	v_fma_f32 v20, -v1, v16, v13
	v_fmac_f32_e32 v16, v20, v15
	v_fma_f32 v1, -v1, v16, v13
	v_div_fmas_f32 v1, v1, v15, v16
	v_div_fixup_f32 v11, v1, v11, 1.0
	s_waitcnt vmcnt(1)
	v_mul_f32_e32 v15, v11, v19
	s_waitcnt vmcnt(0)
	v_mul_f32_e32 v13, v11, v17
	global_store_dword v[5:6], v15, off
	global_store_dword v[3:4], v13, off
	s_and_saveexec_b64 s[4:5], s[0:1]
	s_cbranch_execz .LBB63_3
; %bb.19:                               ;   in Loop: Header=BB63_5 Depth=1
	v_add_u32_e32 v5, v7, v8
	v_add_u32_e32 v1, s28, v5
	v_lshlrev_b64 v[3:4], 2, v[1:2]
	v_add_u32_e32 v1, s29, v5
	v_mov_b32_e32 v16, s9
	v_add_co_u32_e32 v3, vcc, s8, v3
	v_lshlrev_b64 v[5:6], 2, v[1:2]
	v_addc_co_u32_e32 v4, vcc, v16, v4, vcc
	v_add_co_u32_e32 v5, vcc, s8, v5
	v_addc_co_u32_e32 v6, vcc, v16, v6, vcc
	global_load_dword v17, v[3:4], off
	global_load_dword v1, v[5:6], off
	s_waitcnt vmcnt(1)
	v_fma_f32 v15, -v12, v15, v17
	s_waitcnt vmcnt(0)
	v_fma_f32 v1, -v12, v13, v1
	global_store_dword v[3:4], v15, off
	global_store_dword v[5:6], v1, off
	s_branch .LBB63_3
.LBB63_20:
	s_or_b64 exec, exec, s[18:19]
	s_branch .LBB63_22
.LBB63_21:
	v_mov_b32_e32 v8, 0
.LBB63_22:
	v_subrev_u32_e32 v3, s22, v8
	v_add_u32_e32 v1, v3, v0
	v_ashrrev_i32_e32 v2, 31, v1
	v_lshlrev_b64 v[1:2], 2, v[1:2]
	s_waitcnt lgkmcnt(0)
	v_mov_b32_e32 v4, s17
	v_add_co_u32_e32 v1, vcc, s16, v1
	v_addc_co_u32_e32 v2, vcc, v4, v2, vcc
	s_waitcnt vmcnt(0)
	buffer_wbinvl1_vol
	global_load_dword v1, v[1:2], off
	s_waitcnt vmcnt(0)
	v_mul_lo_u32 v1, v1, s22
	v_sub_u32_e32 v5, v3, v1
	v_cmp_lt_i32_e32 vcc, -1, v5
	s_and_b64 exec, exec, vcc
	s_cbranch_execz .LBB63_29
; %bb.23:
	s_lshl_b32 s4, s24, 1
	s_add_i32 s5, s4, s23
	s_lshl_b32 s6, s22, 1
	s_mov_b64 s[0:1], 0
	v_mov_b32_e32 v6, s17
	v_mov_b32_e32 v8, s11
	;; [unrolled: 1-line block ×3, first 2 shown]
	s_branch .LBB63_25
.LBB63_24:                              ;   in Loop: Header=BB63_25 Depth=1
	s_or_b64 exec, exec, s[2:3]
	v_sub_u32_e32 v5, v5, v1
	v_cmp_gt_i32_e32 vcc, 0, v5
	s_or_b64 s[0:1], vcc, s[0:1]
	s_andn2_b64 exec, exec, s[0:1]
	s_cbranch_execz .LBB63_29
.LBB63_25:                              ; =>This Inner Loop Header: Depth=1
	v_add_u32_e32 v3, v5, v0
	s_waitcnt vmcnt(0)
	v_ashrrev_i32_e32 v4, 31, v3
	v_lshlrev_b64 v[9:10], 2, v[3:4]
	v_add_co_u32_e32 v11, vcc, s16, v9
	v_addc_co_u32_e32 v12, vcc, v6, v10, vcc
	v_add_co_u32_e32 v9, vcc, s10, v9
	global_load_dword v1, v[11:12], off
	v_addc_co_u32_e32 v10, vcc, v8, v10, vcc
	global_load_dword v4, v[9:10], off
	s_waitcnt vmcnt(1)
	v_cmp_ne_u32_e32 vcc, 1, v1
	s_and_saveexec_b64 s[2:3], vcc
	s_xor_b64 s[2:3], exec, s[2:3]
	s_cbranch_execz .LBB63_27
; %bb.26:                               ;   in Loop: Header=BB63_25 Depth=1
	v_add_u32_e32 v11, v7, v5
	v_add_u32_e32 v1, s4, v11
	v_lshlrev_b64 v[9:10], 2, v[1:2]
	v_mov_b32_e32 v1, s9
	v_add_co_u32_e32 v9, vcc, s8, v9
	v_addc_co_u32_e32 v10, vcc, v1, v10, vcc
	v_add_u32_e32 v1, s5, v11
	v_lshlrev_b64 v[11:12], 2, v[1:2]
	v_add_u32_e32 v1, s4, v3
	v_lshlrev_b64 v[13:14], 2, v[1:2]
	v_mov_b32_e32 v1, s9
	v_add_co_u32_e32 v13, vcc, s8, v13
	v_addc_co_u32_e32 v14, vcc, v1, v14, vcc
	global_load_dword v15, v[9:10], off
	global_load_dword v16, v[13:14], off
	v_add_co_u32_e32 v9, vcc, s8, v11
	v_addc_co_u32_e32 v10, vcc, v1, v12, vcc
	v_add_u32_e32 v1, s5, v3
	global_load_dword v17, v[9:10], off
	v_lshlrev_b64 v[9:10], 2, v[1:2]
	v_mov_b32_e32 v11, s9
	v_add_co_u32_e32 v9, vcc, s8, v9
	v_addc_co_u32_e32 v10, vcc, v11, v10, vcc
	s_waitcnt vmcnt(1)
	v_fma_f32 v1, -v4, v15, v16
	global_store_dword v[13:14], v1, off
	global_load_dword v3, v[9:10], off
	v_subrev_u32_e32 v1, s22, v5
	v_add_u32_e32 v11, v1, v0
	v_ashrrev_i32_e32 v12, 31, v11
	v_lshlrev_b64 v[12:13], 2, v[11:12]
	v_add_u32_e32 v1, s4, v11
	v_add_co_u32_e32 v12, vcc, s10, v12
	v_addc_co_u32_e32 v13, vcc, v8, v13, vcc
	global_load_dword v16, v[12:13], off
	v_lshlrev_b64 v[12:13], 2, v[1:2]
	v_mov_b32_e32 v14, s9
	v_add_co_u32_e32 v12, vcc, s8, v12
	v_addc_co_u32_e32 v13, vcc, v14, v13, vcc
	s_waitcnt vmcnt(1)
	v_fma_f32 v1, -v4, v17, v3
	global_store_dword v[9:10], v1, off
	global_load_dword v9, v[12:13], off
	v_add_u32_e32 v1, s5, v11
	v_lshlrev_b64 v[3:4], 2, v[1:2]
	v_mov_b32_e32 v10, s9
	v_add_co_u32_e32 v3, vcc, s8, v3
	v_addc_co_u32_e32 v4, vcc, v10, v4, vcc
	s_waitcnt vmcnt(0)
	v_fma_f32 v1, -v16, v15, v9
	global_store_dword v[12:13], v1, off
	global_load_dword v1, v[3:4], off
	s_waitcnt vmcnt(0)
	v_fma_f32 v1, -v16, v17, v1
	global_store_dword v[3:4], v1, off
                                        ; implicit-def: $vgpr3
                                        ; implicit-def: $vgpr4
.LBB63_27:                              ;   in Loop: Header=BB63_25 Depth=1
	s_or_saveexec_b64 s[2:3], s[2:3]
	v_mov_b32_e32 v1, s6
	s_xor_b64 exec, exec, s[2:3]
	s_cbranch_execz .LBB63_24
; %bb.28:                               ;   in Loop: Header=BB63_25 Depth=1
	v_add_u32_e32 v13, v7, v5
	v_add_u32_e32 v1, s4, v13
	v_lshlrev_b64 v[9:10], 2, v[1:2]
	v_mov_b32_e32 v1, s9
	v_add_co_u32_e32 v9, vcc, s8, v9
	v_addc_co_u32_e32 v10, vcc, v1, v10, vcc
	v_add_u32_e32 v1, s4, v3
	v_lshlrev_b64 v[11:12], 2, v[1:2]
	v_mov_b32_e32 v1, s9
	v_add_co_u32_e32 v11, vcc, s8, v11
	v_addc_co_u32_e32 v12, vcc, v1, v12, vcc
	global_load_dword v15, v[9:10], off
	global_load_dword v16, v[11:12], off
	v_add_u32_e32 v1, s5, v13
	v_lshlrev_b64 v[9:10], 2, v[1:2]
	v_add_u32_e32 v1, s5, v3
	v_mov_b32_e32 v17, s9
	v_lshlrev_b64 v[13:14], 2, v[1:2]
	v_add_co_u32_e32 v9, vcc, s8, v9
	v_addc_co_u32_e32 v10, vcc, v17, v10, vcc
	v_mov_b32_e32 v18, s9
	v_add_co_u32_e32 v13, vcc, s8, v13
	v_addc_co_u32_e32 v14, vcc, v18, v14, vcc
	s_waitcnt vmcnt(0)
	v_fma_f32 v1, -v4, v15, v16
	global_store_dword v[11:12], v1, off
	global_load_dword v1, v[9:10], off
	s_nop 0
	global_load_dword v3, v[13:14], off
	s_waitcnt vmcnt(0)
	v_fma_f32 v1, -v4, v1, v3
	global_store_dword v[13:14], v1, off
	v_mov_b32_e32 v1, s22
	s_branch .LBB63_24
.LBB63_29:
	s_endpgm
	.section	.rodata,"a",@progbits
	.p2align	6, 0x0
	.amdhsa_kernel _ZN9rocsparseL19gtsv_LBM_rhs_kernelILj256ELj64ELj2EfEEviiiPKT2_S3_S3_PS1_S3_PKi
		.amdhsa_group_segment_fixed_size 0
		.amdhsa_private_segment_fixed_size 0
		.amdhsa_kernarg_size 64
		.amdhsa_user_sgpr_count 6
		.amdhsa_user_sgpr_private_segment_buffer 1
		.amdhsa_user_sgpr_dispatch_ptr 0
		.amdhsa_user_sgpr_queue_ptr 0
		.amdhsa_user_sgpr_kernarg_segment_ptr 1
		.amdhsa_user_sgpr_dispatch_id 0
		.amdhsa_user_sgpr_flat_scratch_init 0
		.amdhsa_user_sgpr_private_segment_size 0
		.amdhsa_uses_dynamic_stack 0
		.amdhsa_system_sgpr_private_segment_wavefront_offset 0
		.amdhsa_system_sgpr_workgroup_id_x 1
		.amdhsa_system_sgpr_workgroup_id_y 1
		.amdhsa_system_sgpr_workgroup_id_z 0
		.amdhsa_system_sgpr_workgroup_info 0
		.amdhsa_system_vgpr_workitem_id 0
		.amdhsa_next_free_vgpr 28
		.amdhsa_next_free_sgpr 30
		.amdhsa_reserve_vcc 1
		.amdhsa_reserve_flat_scratch 0
		.amdhsa_float_round_mode_32 0
		.amdhsa_float_round_mode_16_64 0
		.amdhsa_float_denorm_mode_32 3
		.amdhsa_float_denorm_mode_16_64 3
		.amdhsa_dx10_clamp 1
		.amdhsa_ieee_mode 1
		.amdhsa_fp16_overflow 0
		.amdhsa_exception_fp_ieee_invalid_op 0
		.amdhsa_exception_fp_denorm_src 0
		.amdhsa_exception_fp_ieee_div_zero 0
		.amdhsa_exception_fp_ieee_overflow 0
		.amdhsa_exception_fp_ieee_underflow 0
		.amdhsa_exception_fp_ieee_inexact 0
		.amdhsa_exception_int_div_zero 0
	.end_amdhsa_kernel
	.section	.text._ZN9rocsparseL19gtsv_LBM_rhs_kernelILj256ELj64ELj2EfEEviiiPKT2_S3_S3_PS1_S3_PKi,"axG",@progbits,_ZN9rocsparseL19gtsv_LBM_rhs_kernelILj256ELj64ELj2EfEEviiiPKT2_S3_S3_PS1_S3_PKi,comdat
.Lfunc_end63:
	.size	_ZN9rocsparseL19gtsv_LBM_rhs_kernelILj256ELj64ELj2EfEEviiiPKT2_S3_S3_PS1_S3_PKi, .Lfunc_end63-_ZN9rocsparseL19gtsv_LBM_rhs_kernelILj256ELj64ELj2EfEEviiiPKT2_S3_S3_PS1_S3_PKi
                                        ; -- End function
	.set _ZN9rocsparseL19gtsv_LBM_rhs_kernelILj256ELj64ELj2EfEEviiiPKT2_S3_S3_PS1_S3_PKi.num_vgpr, 28
	.set _ZN9rocsparseL19gtsv_LBM_rhs_kernelILj256ELj64ELj2EfEEviiiPKT2_S3_S3_PS1_S3_PKi.num_agpr, 0
	.set _ZN9rocsparseL19gtsv_LBM_rhs_kernelILj256ELj64ELj2EfEEviiiPKT2_S3_S3_PS1_S3_PKi.numbered_sgpr, 30
	.set _ZN9rocsparseL19gtsv_LBM_rhs_kernelILj256ELj64ELj2EfEEviiiPKT2_S3_S3_PS1_S3_PKi.num_named_barrier, 0
	.set _ZN9rocsparseL19gtsv_LBM_rhs_kernelILj256ELj64ELj2EfEEviiiPKT2_S3_S3_PS1_S3_PKi.private_seg_size, 0
	.set _ZN9rocsparseL19gtsv_LBM_rhs_kernelILj256ELj64ELj2EfEEviiiPKT2_S3_S3_PS1_S3_PKi.uses_vcc, 1
	.set _ZN9rocsparseL19gtsv_LBM_rhs_kernelILj256ELj64ELj2EfEEviiiPKT2_S3_S3_PS1_S3_PKi.uses_flat_scratch, 0
	.set _ZN9rocsparseL19gtsv_LBM_rhs_kernelILj256ELj64ELj2EfEEviiiPKT2_S3_S3_PS1_S3_PKi.has_dyn_sized_stack, 0
	.set _ZN9rocsparseL19gtsv_LBM_rhs_kernelILj256ELj64ELj2EfEEviiiPKT2_S3_S3_PS1_S3_PKi.has_recursion, 0
	.set _ZN9rocsparseL19gtsv_LBM_rhs_kernelILj256ELj64ELj2EfEEviiiPKT2_S3_S3_PS1_S3_PKi.has_indirect_call, 0
	.section	.AMDGPU.csdata,"",@progbits
; Kernel info:
; codeLenInByte = 2004
; TotalNumSgprs: 34
; NumVgprs: 28
; ScratchSize: 0
; MemoryBound: 0
; FloatMode: 240
; IeeeMode: 1
; LDSByteSize: 0 bytes/workgroup (compile time only)
; SGPRBlocks: 4
; VGPRBlocks: 6
; NumSGPRsForWavesPerEU: 34
; NumVGPRsForWavesPerEU: 28
; Occupancy: 9
; WaveLimiterHint : 0
; COMPUTE_PGM_RSRC2:SCRATCH_EN: 0
; COMPUTE_PGM_RSRC2:USER_SGPR: 6
; COMPUTE_PGM_RSRC2:TRAP_HANDLER: 0
; COMPUTE_PGM_RSRC2:TGID_X_EN: 1
; COMPUTE_PGM_RSRC2:TGID_Y_EN: 1
; COMPUTE_PGM_RSRC2:TGID_Z_EN: 0
; COMPUTE_PGM_RSRC2:TIDIG_COMP_CNT: 0
	.section	.text._ZN9rocsparseL19gtsv_LBM_rhs_kernelILj256ELj64ELj1EfEEviiiPKT2_S3_S3_PS1_S3_PKi,"axG",@progbits,_ZN9rocsparseL19gtsv_LBM_rhs_kernelILj256ELj64ELj1EfEEviiiPKT2_S3_S3_PS1_S3_PKi,comdat
	.globl	_ZN9rocsparseL19gtsv_LBM_rhs_kernelILj256ELj64ELj1EfEEviiiPKT2_S3_S3_PS1_S3_PKi ; -- Begin function _ZN9rocsparseL19gtsv_LBM_rhs_kernelILj256ELj64ELj1EfEEviiiPKT2_S3_S3_PS1_S3_PKi
	.p2align	8
	.type	_ZN9rocsparseL19gtsv_LBM_rhs_kernelILj256ELj64ELj1EfEEviiiPKT2_S3_S3_PS1_S3_PKi,@function
_ZN9rocsparseL19gtsv_LBM_rhs_kernelILj256ELj64ELj1EfEEviiiPKT2_S3_S3_PS1_S3_PKi: ; @_ZN9rocsparseL19gtsv_LBM_rhs_kernelILj256ELj64ELj1EfEEviiiPKT2_S3_S3_PS1_S3_PKi
; %bb.0:
	s_load_dword s24, s[4:5], 0x0
	v_lshl_or_b32 v0, s6, 8, v0
	s_waitcnt lgkmcnt(0)
	s_lshr_b32 s22, s24, 6
	v_cmp_gt_i32_e32 vcc, s22, v0
	s_and_saveexec_b64 s[0:1], vcc
	s_cbranch_execz .LBB64_29
; %bb.1:
	s_load_dwordx4 s[8:11], s[4:5], 0x28
	s_load_dwordx2 s[16:17], s[4:5], 0x38
	s_cmp_lt_i32 s24, 1
	s_mul_i32 s23, s24, s7
	s_cbranch_scc1 .LBB64_21
; %bb.2:
	s_load_dwordx4 s[12:15], s[4:5], 0x10
	s_load_dwordx2 s[6:7], s[4:5], 0x20
	v_ashrrev_i32_e32 v1, 31, v0
	v_lshlrev_b64 v[1:2], 2, v[0:1]
	v_add_u32_e32 v9, s22, v0
	s_waitcnt lgkmcnt(0)
	v_mov_b32_e32 v3, s15
	v_add_co_u32_e32 v1, vcc, s14, v1
	v_addc_co_u32_e32 v2, vcc, v3, v2, vcc
	global_load_dword v13, v[1:2], off
	s_mul_i32 s25, s22, 63
	s_mul_i32 s26, s22, 62
	s_lshl_b32 s27, s22, 1
	v_add_u32_e32 v10, s22, v9
	v_add_u32_e32 v11, s23, v9
	v_mov_b32_e32 v2, 0
	s_mov_b64 s[18:19], 0
	v_mov_b32_e32 v12, s7
	v_mov_b32_e32 v8, 0
	s_branch .LBB64_5
.LBB64_3:                               ;   in Loop: Header=BB64_5 Depth=1
	s_or_b64 exec, exec, s[4:5]
	v_fma_f32 v13, -v6, v5, v16
	v_mov_b32_e32 v6, s22
.LBB64_4:                               ;   in Loop: Header=BB64_5 Depth=1
	s_or_b64 exec, exec, s[2:3]
	v_add_u32_e32 v8, v6, v8
	v_cmp_le_i32_e32 vcc, s24, v8
	s_or_b64 s[18:19], vcc, s[18:19]
	s_andn2_b64 exec, exec, s[18:19]
	s_cbranch_execz .LBB64_20
.LBB64_5:                               ; =>This Inner Loop Header: Depth=1
	v_add_u32_e32 v3, v8, v0
	v_ashrrev_i32_e32 v4, 31, v3
	v_lshlrev_b64 v[4:5], 2, v[3:4]
	v_cmp_gt_u32_e64 s[0:1], s25, v8
	v_add_co_u32_e32 v6, vcc, s6, v4
	v_addc_co_u32_e32 v7, vcc, v12, v5, vcc
	global_load_dword v17, v[6:7], off
	v_add_u32_e32 v6, v9, v8
	v_mov_b32_e32 v14, 0
	s_and_saveexec_b64 s[2:3], s[0:1]
	s_cbranch_execz .LBB64_7
; %bb.6:                                ;   in Loop: Header=BB64_5 Depth=1
	v_ashrrev_i32_e32 v7, 31, v6
	v_lshlrev_b64 v[14:15], 2, v[6:7]
	s_waitcnt vmcnt(1)
	v_mov_b32_e32 v1, s13
	v_add_co_u32_e32 v14, vcc, s12, v14
	v_addc_co_u32_e32 v15, vcc, v1, v15, vcc
	global_load_dword v14, v[14:15], off
.LBB64_7:                               ;   in Loop: Header=BB64_5 Depth=1
	s_or_b64 exec, exec, s[2:3]
	v_mov_b32_e32 v15, 0
	v_mov_b32_e32 v16, 0
	s_and_saveexec_b64 s[2:3], s[0:1]
	s_cbranch_execz .LBB64_9
; %bb.8:                                ;   in Loop: Header=BB64_5 Depth=1
	v_ashrrev_i32_e32 v7, 31, v6
	v_lshlrev_b64 v[18:19], 2, v[6:7]
	s_waitcnt vmcnt(1)
	v_mov_b32_e32 v1, s15
	v_add_co_u32_e32 v18, vcc, s14, v18
	v_addc_co_u32_e32 v19, vcc, v1, v19, vcc
	global_load_dword v16, v[18:19], off
.LBB64_9:                               ;   in Loop: Header=BB64_5 Depth=1
	s_or_b64 exec, exec, s[2:3]
	s_and_saveexec_b64 s[2:3], s[0:1]
	s_cbranch_execz .LBB64_11
; %bb.10:                               ;   in Loop: Header=BB64_5 Depth=1
	v_ashrrev_i32_e32 v7, 31, v6
	v_lshlrev_b64 v[6:7], 2, v[6:7]
	s_waitcnt vmcnt(1)
	v_mov_b32_e32 v1, s7
	v_add_co_u32_e32 v6, vcc, s6, v6
	v_addc_co_u32_e32 v7, vcc, v1, v7, vcc
	global_load_dword v15, v[6:7], off
.LBB64_11:                              ;   in Loop: Header=BB64_5 Depth=1
	s_or_b64 exec, exec, s[2:3]
	v_cmp_gt_u32_e64 s[2:3], s26, v8
	v_mov_b32_e32 v6, 0
	s_and_saveexec_b64 s[4:5], s[2:3]
	s_cbranch_execz .LBB64_13
; %bb.12:                               ;   in Loop: Header=BB64_5 Depth=1
	v_add_u32_e32 v6, v10, v8
	v_ashrrev_i32_e32 v7, 31, v6
	v_lshlrev_b64 v[6:7], 2, v[6:7]
	s_waitcnt vmcnt(1)
	v_mov_b32_e32 v1, s13
	v_add_co_u32_e32 v6, vcc, s12, v6
	v_addc_co_u32_e32 v7, vcc, v1, v7, vcc
	global_load_dword v6, v[6:7], off
.LBB64_13:                              ;   in Loop: Header=BB64_5 Depth=1
	s_or_b64 exec, exec, s[4:5]
	s_waitcnt vmcnt(1)
	v_mov_b32_e32 v1, s17
	v_add_co_u32_e32 v4, vcc, s16, v4
	v_addc_co_u32_e32 v5, vcc, v1, v5, vcc
	v_add_u32_e32 v1, s23, v3
	global_load_dword v5, v[4:5], off
	v_lshlrev_b64 v[3:4], 2, v[1:2]
	v_mov_b32_e32 v1, s9
	v_add_co_u32_e32 v3, vcc, s8, v3
	v_addc_co_u32_e32 v4, vcc, v1, v4, vcc
	global_load_dword v1, v[3:4], off
	v_cmp_ne_u32_e32 vcc, s25, v8
	s_waitcnt vmcnt(1)
	v_cmp_ne_u32_e64 s[4:5], 1, v5
	s_and_b64 s[4:5], vcc, s[4:5]
	v_mul_f32_e32 v5, v17, v14
	s_and_saveexec_b64 s[20:21], s[4:5]
	s_xor_b64 s[4:5], exec, s[20:21]
	s_cbranch_execz .LBB64_17
; %bb.14:                               ;   in Loop: Header=BB64_5 Depth=1
	v_fma_f32 v5, v13, v16, -v5
	v_div_scale_f32 v7, s[20:21], v5, v5, 1.0
	v_rcp_f32_e32 v18, v7
	v_fma_f32 v19, -v7, v18, 1.0
	v_fmac_f32_e32 v18, v19, v18
	v_div_scale_f32 v19, vcc, 1.0, v5, 1.0
	v_mul_f32_e32 v20, v19, v18
	v_fma_f32 v21, -v7, v20, v19
	v_fmac_f32_e32 v20, v21, v18
	v_fma_f32 v7, -v7, v20, v19
	v_div_fmas_f32 v7, v7, v18, v20
	v_div_fixup_f32 v5, v7, v5, 1.0
	s_waitcnt vmcnt(0)
	v_mul_f32_e32 v7, v5, v1
	v_add_u32_e32 v1, v11, v8
	v_lshlrev_b64 v[18:19], 2, v[1:2]
	v_mov_b32_e32 v1, s9
	v_add_co_u32_e32 v20, vcc, s8, v18
	v_addc_co_u32_e32 v21, vcc, v1, v19, vcc
	global_load_dword v1, v[20:21], off
	s_waitcnt vmcnt(0)
	v_mul_f32_e32 v18, v5, v1
	v_mul_f32_e32 v1, v17, v18
	v_fma_f32 v1, v16, v7, -v1
	global_store_dword v[3:4], v1, off
	v_mul_f32_e32 v1, v14, v7
	v_fma_f32 v1, v13, v18, -v1
	global_store_dword v[20:21], v1, off
	v_mov_b32_e32 v1, 0
	s_and_saveexec_b64 s[20:21], s[2:3]
	s_cbranch_execz .LBB64_16
; %bb.15:                               ;   in Loop: Header=BB64_5 Depth=1
	v_add_u32_e32 v3, v10, v8
	v_add_u32_e32 v1, s23, v3
	v_lshlrev_b64 v[16:17], 2, v[1:2]
	v_ashrrev_i32_e32 v4, 31, v3
	v_mov_b32_e32 v1, s9
	v_add_co_u32_e32 v16, vcc, s8, v16
	v_lshlrev_b64 v[3:4], 2, v[3:4]
	v_addc_co_u32_e32 v17, vcc, v1, v17, vcc
	v_mov_b32_e32 v19, s15
	v_add_co_u32_e32 v3, vcc, s14, v3
	global_load_dword v1, v[16:17], off
	v_addc_co_u32_e32 v4, vcc, v19, v4, vcc
	global_load_dword v3, v[3:4], off
	v_mul_f32_e32 v4, v14, v6
	v_mul_f32_e32 v6, v13, v6
	;; [unrolled: 1-line block ×3, first 2 shown]
	v_fma_f32 v4, v4, v7, -v13
	v_mul_f32_e32 v6, v15, v6
	s_waitcnt vmcnt(1)
	v_add_f32_e32 v1, v4, v1
	global_store_dword v[16:17], v1, off
	s_waitcnt vmcnt(1)
	v_fma_f32 v1, -v5, v6, v3
.LBB64_16:                              ;   in Loop: Header=BB64_5 Depth=1
	s_or_b64 exec, exec, s[20:21]
	v_mov_b32_e32 v13, v1
                                        ; implicit-def: $vgpr5
                                        ; implicit-def: $vgpr16
                                        ; implicit-def: $vgpr1
                                        ; implicit-def: $vgpr3_vgpr4
                                        ; implicit-def: $vgpr14
.LBB64_17:                              ;   in Loop: Header=BB64_5 Depth=1
	s_or_saveexec_b64 s[2:3], s[4:5]
	v_mov_b32_e32 v6, s27
	s_xor_b64 exec, exec, s[2:3]
	s_cbranch_execz .LBB64_4
; %bb.18:                               ;   in Loop: Header=BB64_5 Depth=1
	v_div_scale_f32 v6, s[4:5], v13, v13, 1.0
	v_div_scale_f32 v7, vcc, 1.0, v13, 1.0
	v_rcp_f32_e32 v15, v6
	v_fma_f32 v17, -v6, v15, 1.0
	v_fmac_f32_e32 v15, v17, v15
	v_mul_f32_e32 v17, v7, v15
	v_fma_f32 v18, -v6, v17, v7
	v_fmac_f32_e32 v17, v18, v15
	v_fma_f32 v6, -v6, v17, v7
	v_div_fmas_f32 v6, v6, v15, v17
	v_div_fixup_f32 v6, v6, v13, 1.0
	s_waitcnt vmcnt(0)
	v_mul_f32_e32 v7, v6, v1
	global_store_dword v[3:4], v7, off
	s_and_saveexec_b64 s[4:5], s[0:1]
	s_cbranch_execz .LBB64_3
; %bb.19:                               ;   in Loop: Header=BB64_5 Depth=1
	v_add_u32_e32 v1, v11, v8
	v_lshlrev_b64 v[3:4], 2, v[1:2]
	v_mov_b32_e32 v1, s9
	v_add_co_u32_e32 v3, vcc, s8, v3
	v_addc_co_u32_e32 v4, vcc, v1, v4, vcc
	global_load_dword v1, v[3:4], off
	s_waitcnt vmcnt(0)
	v_fma_f32 v1, -v14, v7, v1
	global_store_dword v[3:4], v1, off
	s_branch .LBB64_3
.LBB64_20:
	s_or_b64 exec, exec, s[18:19]
	s_branch .LBB64_22
.LBB64_21:
	v_mov_b32_e32 v8, 0
.LBB64_22:
	v_subrev_u32_e32 v3, s22, v8
	s_waitcnt vmcnt(0)
	v_add_u32_e32 v1, v3, v0
	v_ashrrev_i32_e32 v2, 31, v1
	v_lshlrev_b64 v[1:2], 2, v[1:2]
	s_waitcnt lgkmcnt(0)
	v_mov_b32_e32 v4, s17
	v_add_co_u32_e32 v1, vcc, s16, v1
	v_addc_co_u32_e32 v2, vcc, v4, v2, vcc
	buffer_wbinvl1_vol
	global_load_dword v1, v[1:2], off
	s_waitcnt vmcnt(0)
	v_mul_lo_u32 v1, v1, s22
	v_sub_u32_e32 v5, v3, v1
	v_cmp_lt_i32_e32 vcc, -1, v5
	s_and_b64 exec, exec, vcc
	s_cbranch_execz .LBB64_29
; %bb.23:
	s_add_i32 s0, s23, s22
	v_add_u32_e32 v6, s0, v0
	s_lshl_b32 s4, s22, 1
	s_mov_b64 s[0:1], 0
	v_mov_b32_e32 v7, s17
	v_mov_b32_e32 v8, s11
	;; [unrolled: 1-line block ×3, first 2 shown]
	s_branch .LBB64_25
.LBB64_24:                              ;   in Loop: Header=BB64_25 Depth=1
	s_or_b64 exec, exec, s[2:3]
	v_sub_u32_e32 v5, v5, v1
	v_cmp_gt_i32_e32 vcc, 0, v5
	s_or_b64 s[0:1], vcc, s[0:1]
	s_andn2_b64 exec, exec, s[0:1]
	s_cbranch_execz .LBB64_29
.LBB64_25:                              ; =>This Inner Loop Header: Depth=1
	v_add_u32_e32 v3, v5, v0
	s_waitcnt vmcnt(0)
	v_ashrrev_i32_e32 v4, 31, v3
	v_lshlrev_b64 v[9:10], 2, v[3:4]
	v_add_co_u32_e32 v11, vcc, s16, v9
	v_addc_co_u32_e32 v12, vcc, v7, v10, vcc
	v_add_co_u32_e32 v9, vcc, s10, v9
	global_load_dword v1, v[11:12], off
	v_addc_co_u32_e32 v10, vcc, v8, v10, vcc
	global_load_dword v4, v[9:10], off
	s_waitcnt vmcnt(1)
	v_cmp_ne_u32_e32 vcc, 1, v1
	s_and_saveexec_b64 s[2:3], vcc
	s_xor_b64 s[2:3], exec, s[2:3]
	s_cbranch_execz .LBB64_27
; %bb.26:                               ;   in Loop: Header=BB64_25 Depth=1
	v_add_u32_e32 v1, v6, v5
	v_lshlrev_b64 v[9:10], 2, v[1:2]
	v_mov_b32_e32 v1, s9
	v_add_co_u32_e32 v9, vcc, s8, v9
	v_addc_co_u32_e32 v10, vcc, v1, v10, vcc
	v_add_u32_e32 v1, s23, v3
	v_lshlrev_b64 v[11:12], 2, v[1:2]
	v_mov_b32_e32 v1, s9
	v_add_co_u32_e32 v11, vcc, s8, v11
	v_addc_co_u32_e32 v12, vcc, v1, v12, vcc
	global_load_dword v15, v[9:10], off
	global_load_dword v3, v[11:12], off
	v_subrev_u32_e32 v1, s22, v5
	v_add_u32_e32 v9, v1, v0
	v_ashrrev_i32_e32 v10, 31, v9
	v_add_u32_e32 v1, s23, v9
	v_lshlrev_b64 v[9:10], 2, v[9:10]
	v_lshlrev_b64 v[13:14], 2, v[1:2]
	v_add_co_u32_e32 v9, vcc, s10, v9
	v_addc_co_u32_e32 v10, vcc, v8, v10, vcc
	v_mov_b32_e32 v16, s9
	global_load_dword v1, v[9:10], off
	s_waitcnt vmcnt(1)
	v_fma_f32 v3, -v4, v15, v3
	global_store_dword v[11:12], v3, off
	v_add_co_u32_e32 v3, vcc, s8, v13
	v_addc_co_u32_e32 v4, vcc, v16, v14, vcc
	global_load_dword v9, v[3:4], off
	s_waitcnt vmcnt(0)
	v_fma_f32 v1, -v1, v15, v9
	global_store_dword v[3:4], v1, off
                                        ; implicit-def: $vgpr3
                                        ; implicit-def: $vgpr4
.LBB64_27:                              ;   in Loop: Header=BB64_25 Depth=1
	s_or_saveexec_b64 s[2:3], s[2:3]
	v_mov_b32_e32 v1, s4
	s_xor_b64 exec, exec, s[2:3]
	s_cbranch_execz .LBB64_24
; %bb.28:                               ;   in Loop: Header=BB64_25 Depth=1
	v_add_u32_e32 v1, v6, v5
	v_lshlrev_b64 v[9:10], 2, v[1:2]
	v_mov_b32_e32 v1, s9
	v_add_co_u32_e32 v9, vcc, s8, v9
	v_addc_co_u32_e32 v10, vcc, v1, v10, vcc
	v_add_u32_e32 v1, s23, v3
	v_lshlrev_b64 v[11:12], 2, v[1:2]
	v_mov_b32_e32 v1, s9
	v_add_co_u32_e32 v11, vcc, s8, v11
	v_addc_co_u32_e32 v12, vcc, v1, v12, vcc
	global_load_dword v1, v[9:10], off
	global_load_dword v3, v[11:12], off
	s_waitcnt vmcnt(0)
	v_fma_f32 v1, -v4, v1, v3
	global_store_dword v[11:12], v1, off
	v_mov_b32_e32 v1, s22
	s_branch .LBB64_24
.LBB64_29:
	s_endpgm
	.section	.rodata,"a",@progbits
	.p2align	6, 0x0
	.amdhsa_kernel _ZN9rocsparseL19gtsv_LBM_rhs_kernelILj256ELj64ELj1EfEEviiiPKT2_S3_S3_PS1_S3_PKi
		.amdhsa_group_segment_fixed_size 0
		.amdhsa_private_segment_fixed_size 0
		.amdhsa_kernarg_size 64
		.amdhsa_user_sgpr_count 6
		.amdhsa_user_sgpr_private_segment_buffer 1
		.amdhsa_user_sgpr_dispatch_ptr 0
		.amdhsa_user_sgpr_queue_ptr 0
		.amdhsa_user_sgpr_kernarg_segment_ptr 1
		.amdhsa_user_sgpr_dispatch_id 0
		.amdhsa_user_sgpr_flat_scratch_init 0
		.amdhsa_user_sgpr_private_segment_size 0
		.amdhsa_uses_dynamic_stack 0
		.amdhsa_system_sgpr_private_segment_wavefront_offset 0
		.amdhsa_system_sgpr_workgroup_id_x 1
		.amdhsa_system_sgpr_workgroup_id_y 1
		.amdhsa_system_sgpr_workgroup_id_z 0
		.amdhsa_system_sgpr_workgroup_info 0
		.amdhsa_system_vgpr_workitem_id 0
		.amdhsa_next_free_vgpr 22
		.amdhsa_next_free_sgpr 28
		.amdhsa_reserve_vcc 1
		.amdhsa_reserve_flat_scratch 0
		.amdhsa_float_round_mode_32 0
		.amdhsa_float_round_mode_16_64 0
		.amdhsa_float_denorm_mode_32 3
		.amdhsa_float_denorm_mode_16_64 3
		.amdhsa_dx10_clamp 1
		.amdhsa_ieee_mode 1
		.amdhsa_fp16_overflow 0
		.amdhsa_exception_fp_ieee_invalid_op 0
		.amdhsa_exception_fp_denorm_src 0
		.amdhsa_exception_fp_ieee_div_zero 0
		.amdhsa_exception_fp_ieee_overflow 0
		.amdhsa_exception_fp_ieee_underflow 0
		.amdhsa_exception_fp_ieee_inexact 0
		.amdhsa_exception_int_div_zero 0
	.end_amdhsa_kernel
	.section	.text._ZN9rocsparseL19gtsv_LBM_rhs_kernelILj256ELj64ELj1EfEEviiiPKT2_S3_S3_PS1_S3_PKi,"axG",@progbits,_ZN9rocsparseL19gtsv_LBM_rhs_kernelILj256ELj64ELj1EfEEviiiPKT2_S3_S3_PS1_S3_PKi,comdat
.Lfunc_end64:
	.size	_ZN9rocsparseL19gtsv_LBM_rhs_kernelILj256ELj64ELj1EfEEviiiPKT2_S3_S3_PS1_S3_PKi, .Lfunc_end64-_ZN9rocsparseL19gtsv_LBM_rhs_kernelILj256ELj64ELj1EfEEviiiPKT2_S3_S3_PS1_S3_PKi
                                        ; -- End function
	.set _ZN9rocsparseL19gtsv_LBM_rhs_kernelILj256ELj64ELj1EfEEviiiPKT2_S3_S3_PS1_S3_PKi.num_vgpr, 22
	.set _ZN9rocsparseL19gtsv_LBM_rhs_kernelILj256ELj64ELj1EfEEviiiPKT2_S3_S3_PS1_S3_PKi.num_agpr, 0
	.set _ZN9rocsparseL19gtsv_LBM_rhs_kernelILj256ELj64ELj1EfEEviiiPKT2_S3_S3_PS1_S3_PKi.numbered_sgpr, 28
	.set _ZN9rocsparseL19gtsv_LBM_rhs_kernelILj256ELj64ELj1EfEEviiiPKT2_S3_S3_PS1_S3_PKi.num_named_barrier, 0
	.set _ZN9rocsparseL19gtsv_LBM_rhs_kernelILj256ELj64ELj1EfEEviiiPKT2_S3_S3_PS1_S3_PKi.private_seg_size, 0
	.set _ZN9rocsparseL19gtsv_LBM_rhs_kernelILj256ELj64ELj1EfEEviiiPKT2_S3_S3_PS1_S3_PKi.uses_vcc, 1
	.set _ZN9rocsparseL19gtsv_LBM_rhs_kernelILj256ELj64ELj1EfEEviiiPKT2_S3_S3_PS1_S3_PKi.uses_flat_scratch, 0
	.set _ZN9rocsparseL19gtsv_LBM_rhs_kernelILj256ELj64ELj1EfEEviiiPKT2_S3_S3_PS1_S3_PKi.has_dyn_sized_stack, 0
	.set _ZN9rocsparseL19gtsv_LBM_rhs_kernelILj256ELj64ELj1EfEEviiiPKT2_S3_S3_PS1_S3_PKi.has_recursion, 0
	.set _ZN9rocsparseL19gtsv_LBM_rhs_kernelILj256ELj64ELj1EfEEviiiPKT2_S3_S3_PS1_S3_PKi.has_indirect_call, 0
	.section	.AMDGPU.csdata,"",@progbits
; Kernel info:
; codeLenInByte = 1540
; TotalNumSgprs: 32
; NumVgprs: 22
; ScratchSize: 0
; MemoryBound: 0
; FloatMode: 240
; IeeeMode: 1
; LDSByteSize: 0 bytes/workgroup (compile time only)
; SGPRBlocks: 3
; VGPRBlocks: 5
; NumSGPRsForWavesPerEU: 32
; NumVGPRsForWavesPerEU: 22
; Occupancy: 10
; WaveLimiterHint : 0
; COMPUTE_PGM_RSRC2:SCRATCH_EN: 0
; COMPUTE_PGM_RSRC2:USER_SGPR: 6
; COMPUTE_PGM_RSRC2:TRAP_HANDLER: 0
; COMPUTE_PGM_RSRC2:TGID_X_EN: 1
; COMPUTE_PGM_RSRC2:TGID_Y_EN: 1
; COMPUTE_PGM_RSRC2:TGID_Z_EN: 0
; COMPUTE_PGM_RSRC2:TIDIG_COMP_CNT: 0
	.section	.text._ZN9rocsparseL29gtsv_spike_block_level_kernelILj256ELj64EfEEviiiPT1_PKS1_S4_S2_S2_S2_S2_S2_,"axG",@progbits,_ZN9rocsparseL29gtsv_spike_block_level_kernelILj256ELj64EfEEviiiPT1_PKS1_S4_S2_S2_S2_S2_S2_,comdat
	.globl	_ZN9rocsparseL29gtsv_spike_block_level_kernelILj256ELj64EfEEviiiPT1_PKS1_S4_S2_S2_S2_S2_S2_ ; -- Begin function _ZN9rocsparseL29gtsv_spike_block_level_kernelILj256ELj64EfEEviiiPT1_PKS1_S4_S2_S2_S2_S2_S2_
	.p2align	8
	.type	_ZN9rocsparseL29gtsv_spike_block_level_kernelILj256ELj64EfEEviiiPT1_PKS1_S4_S2_S2_S2_S2_S2_,@function
_ZN9rocsparseL29gtsv_spike_block_level_kernelILj256ELj64EfEEviiiPT1_PKS1_S4_S2_S2_S2_S2_S2_: ; @_ZN9rocsparseL29gtsv_spike_block_level_kernelILj256ELj64EfEEviiiPT1_PKS1_S4_S2_S2_S2_S2_S2_
; %bb.0:
	s_load_dword s14, s[4:5], 0x0
	s_load_dwordx2 s[8:9], s[4:5], 0x18
	v_lshl_or_b32 v1, s6, 8, v0
	v_mov_b32_e32 v3, 0
	v_mov_b32_e32 v2, 0
	s_waitcnt lgkmcnt(0)
	s_lshr_b32 s18, s14, 6
	v_cmp_gt_i32_e64 s[0:1], s18, v1
	s_and_saveexec_b64 s[2:3], s[0:1]
	s_cbranch_execz .LBB65_2
; %bb.1:
	v_ashrrev_i32_e32 v2, 31, v1
	v_lshlrev_b64 v[4:5], 2, v[1:2]
	v_mov_b32_e32 v2, s9
	v_add_co_u32_e32 v4, vcc, s8, v4
	v_addc_co_u32_e32 v5, vcc, v2, v5, vcc
	global_load_dword v2, v[4:5], off
.LBB65_2:
	s_or_b64 exec, exec, s[2:3]
	s_load_dwordx2 s[2:3], s[4:5], 0x20
	v_lshlrev_b32_e32 v5, 2, v0
	v_or_b32_e32 v6, 0x800, v5
	s_waitcnt vmcnt(0)
	ds_write_b32 v5, v2 offset:2048
	s_and_saveexec_b64 s[10:11], s[0:1]
	s_cbranch_execz .LBB65_4
; %bb.3:
	v_mad_u64_u32 v[2:3], s[12:13], s18, 63, v[1:2]
	v_mov_b32_e32 v3, 0
	v_mov_b32_e32 v4, s9
	v_lshlrev_b64 v[2:3], 2, v[2:3]
	v_add_co_u32_e32 v2, vcc, s8, v2
	v_addc_co_u32_e32 v3, vcc, v4, v3, vcc
	global_load_dword v3, v[2:3], off
.LBB65_4:
	s_or_b64 exec, exec, s[10:11]
	s_waitcnt vmcnt(0)
	ds_write_b32 v6, v3 offset:1024
	v_mov_b32_e32 v3, 0
	v_mov_b32_e32 v2, 0
	s_and_saveexec_b64 s[8:9], s[0:1]
	s_cbranch_execz .LBB65_6
; %bb.5:
	v_ashrrev_i32_e32 v2, 31, v1
	v_lshlrev_b64 v[7:8], 2, v[1:2]
	s_waitcnt lgkmcnt(0)
	v_mov_b32_e32 v2, s3
	v_add_co_u32_e32 v7, vcc, s2, v7
	v_addc_co_u32_e32 v8, vcc, v2, v8, vcc
	global_load_dword v2, v[7:8], off
.LBB65_6:
	s_or_b64 exec, exec, s[8:9]
	s_load_dwordx2 s[12:13], s[4:5], 0x10
	s_waitcnt vmcnt(0)
	ds_write_b32 v5, v2
	s_and_saveexec_b64 s[8:9], s[0:1]
	s_cbranch_execz .LBB65_8
; %bb.7:
	v_mad_u64_u32 v[2:3], s[10:11], s18, 63, v[1:2]
	v_mov_b32_e32 v3, 0
	s_waitcnt lgkmcnt(0)
	v_mov_b32_e32 v4, s3
	v_lshlrev_b64 v[2:3], 2, v[2:3]
	v_add_co_u32_e32 v2, vcc, s2, v2
	v_addc_co_u32_e32 v3, vcc, v4, v3, vcc
	global_load_dword v3, v[2:3], off
.LBB65_8:
	s_or_b64 exec, exec, s[8:9]
	s_mul_i32 s14, s14, s7
	s_waitcnt vmcnt(0)
	ds_write_b32 v5, v3 offset:1024
	v_mov_b32_e32 v2, 0
	v_add_u32_e32 v3, s14, v1
	v_mov_b32_e32 v7, 0
	s_waitcnt lgkmcnt(0)
	s_and_saveexec_b64 s[2:3], s[0:1]
	s_cbranch_execz .LBB65_10
; %bb.9:
	v_ashrrev_i32_e32 v4, 31, v3
	v_lshlrev_b64 v[7:8], 2, v[3:4]
	v_mov_b32_e32 v4, s13
	v_add_co_u32_e32 v7, vcc, s12, v7
	v_addc_co_u32_e32 v8, vcc, v4, v8, vcc
	global_load_dword v7, v[7:8], off
.LBB65_10:
	s_or_b64 exec, exec, s[2:3]
	v_or_b32_e32 v4, 0x1000, v5
	s_mul_i32 s19, s18, 63
	s_waitcnt vmcnt(0)
	ds_write_b32 v5, v7 offset:4096
	s_and_saveexec_b64 s[2:3], s[0:1]
	s_cbranch_execz .LBB65_12
; %bb.11:
	s_mul_i32 s8, s18, 63
	s_add_i32 s8, s8, s14
	v_add_u32_e32 v7, s8, v1
	v_mov_b32_e32 v8, 0
	v_lshlrev_b64 v[7:8], 2, v[7:8]
	v_mov_b32_e32 v2, s13
	v_add_co_u32_e32 v7, vcc, s12, v7
	v_addc_co_u32_e32 v8, vcc, v2, v8, vcc
	global_load_dword v2, v[7:8], off
.LBB65_12:
	s_or_b64 exec, exec, s[2:3]
	s_movk_i32 s2, 0x80
	v_cmp_gt_u32_e32 vcc, s2, v0
	s_waitcnt vmcnt(0)
	ds_write_b32 v4, v2 offset:1024
	s_waitcnt lgkmcnt(0)
	s_barrier
	s_and_saveexec_b64 s[2:3], vcc
	s_cbranch_execz .LBB65_14
; %bb.13:
	v_add_u32_e32 v2, v6, v5
	v_add_u32_e32 v21, v5, v5
	ds_read2st64_b64 v[7:10], v2 offset1:2
	ds_read2st64_b64 v[11:14], v21 offset1:2
	v_add_u32_e32 v22, v4, v5
	s_waitcnt lgkmcnt(0)
	v_fma_f32 v19, -v8, v13, 1.0
	v_div_scale_f32 v15, s[8:9], v19, v19, 1.0
	v_div_scale_f32 v16, vcc, 1.0, v19, 1.0
	v_rcp_f32_e32 v17, v15
	v_fma_f32 v18, -v15, v17, 1.0
	v_fmac_f32_e32 v17, v18, v17
	v_mul_f32_e32 v18, v16, v17
	v_fma_f32 v20, -v15, v18, v16
	v_fmac_f32_e32 v18, v20, v17
	v_fma_f32 v15, -v15, v18, v16
	v_div_fmas_f32 v20, v15, v17, v18
	ds_read2st64_b64 v[15:18], v22 offset1:2
	v_div_fixup_f32 v23, v20, v19, 1.0
	s_waitcnt lgkmcnt(0)
	v_fma_f32 v19, -v8, v17, v16
	v_mul_f32_e32 v20, v19, v23
	v_fma_f32 v19, -v20, v11, v15
	v_fma_f32 v15, -v13, v16, v17
	v_mul_f32_e32 v15, v23, v15
	v_mul_f32_e32 v8, v8, v9
	v_fma_f32 v16, -v10, v15, v18
	v_mul_f32_e64 v8, v8, -v23
	v_mul_f32_e32 v18, v23, v12
	v_fma_f32 v7, -v8, v11, v7
	v_mul_f32_e64 v17, v18, -v11
	v_mul_f32_e32 v11, v13, v12
	v_mul_f32_e64 v11, v11, -v23
	v_mul_f32_e32 v9, v23, v9
	v_fma_f32 v12, -v11, v10, v14
	v_mul_f32_e64 v10, v9, -v10
	ds_write2st64_b64 v22, v[19:20], v[15:16] offset1:2
	ds_write2st64_b64 v21, v[17:18], v[11:12] offset1:2
	;; [unrolled: 1-line block ×3, first 2 shown]
.LBB65_14:
	s_or_b64 exec, exec, s[2:3]
	v_cmp_gt_u32_e32 vcc, 64, v0
	s_waitcnt lgkmcnt(0)
	s_barrier
	s_and_saveexec_b64 s[2:3], vcc
	s_cbranch_execz .LBB65_16
; %bb.15:
	v_lshlrev_b32_e32 v2, 4, v0
	v_add_u32_e32 v18, 0x800, v2
	v_add_u32_e32 v19, 0x400, v2
	ds_read2_b32 v[7:8], v18 offset1:2
	ds_read2_b32 v[9:10], v19 offset0:1 offset1:3
	s_waitcnt lgkmcnt(0)
	v_fma_f32 v11, -v8, v9, 1.0
	v_div_scale_f32 v12, s[8:9], v11, v11, 1.0
	v_rcp_f32_e32 v13, v12
	v_fma_f32 v14, -v12, v13, 1.0
	v_fmac_f32_e32 v13, v14, v13
	v_div_scale_f32 v14, vcc, 1.0, v11, 1.0
	v_mul_f32_e32 v15, v14, v13
	v_fma_f32 v16, -v12, v15, v14
	v_fmac_f32_e32 v15, v16, v13
	v_fma_f32 v12, -v12, v15, v14
	v_div_fmas_f32 v12, v12, v13, v15
	v_mad_u32_u24 v16, v0, 12, v4
	v_add_u32_e32 v21, 0x400, v16
	v_div_fixup_f32 v20, v12, v11, 1.0
	ds_read2_b32 v[11:12], v21 offset0:1 offset1:3
	ds_read2_b32 v[13:14], v16 offset1:2
	s_waitcnt lgkmcnt(0)
	v_fma_f32 v15, -v9, v14, v11
	v_mul_f32_e32 v22, v20, v15
	v_fma_f32 v11, -v8, v11, v14
	ds_read2_b32 v[14:15], v2 offset1:2
	v_mul_f32_e32 v11, v11, v20
	s_waitcnt lgkmcnt(0)
	v_fma_f32 v13, -v11, v14, v13
	ds_write2_b32 v16, v13, v11 offset1:2
	v_add_u32_e32 v11, 0xc00, v2
	ds_read2_b32 v[16:17], v11 offset0:1 offset1:3
	v_mul_f32_e32 v9, v9, v15
	v_mul_f32_e64 v9, v9, -v20
	s_waitcnt lgkmcnt(0)
	v_mul_f32_e32 v8, v8, v16
	v_fma_f32 v12, -v17, v22, v12
	v_mul_f32_e64 v8, v8, -v20
	ds_write2_b32 v21, v22, v12 offset0:1 offset1:3
	v_mul_f32_e32 v12, v20, v15
	v_fma_f32 v7, -v8, v14, v7
	ds_write2_b32 v18, v7, v8 offset1:2
	v_mul_f32_e64 v7, v12, -v14
	v_mul_f32_e32 v13, v20, v16
	ds_write2_b32 v2, v7, v12 offset1:2
	v_fma_f32 v2, -v9, v17, v10
	ds_write2_b32 v19, v9, v2 offset0:1 offset1:3
	v_mul_f32_e64 v2, v13, -v17
	ds_write2_b32 v11, v13, v2 offset0:1 offset1:3
.LBB65_16:
	s_or_b64 exec, exec, s[2:3]
	v_cmp_gt_u32_e32 vcc, 32, v0
	s_waitcnt lgkmcnt(0)
	s_barrier
	s_and_saveexec_b64 s[2:3], vcc
	s_cbranch_execz .LBB65_18
; %bb.17:
	v_lshlrev_b32_e32 v2, 5, v0
	v_add_u32_e32 v18, 0x800, v2
	v_add_u32_e32 v19, 0x400, v2
	ds_read2_b32 v[7:8], v18 offset1:4
	ds_read2_b32 v[9:10], v19 offset0:3 offset1:7
	v_add_u32_e32 v21, 0x1400, v2
	s_waitcnt lgkmcnt(0)
	v_fma_f32 v11, -v8, v9, 1.0
	v_div_scale_f32 v12, s[8:9], v11, v11, 1.0
	v_rcp_f32_e32 v13, v12
	v_fma_f32 v14, -v12, v13, 1.0
	v_fmac_f32_e32 v13, v14, v13
	v_div_scale_f32 v14, vcc, 1.0, v11, 1.0
	v_mul_f32_e32 v15, v14, v13
	v_fma_f32 v16, -v12, v15, v14
	v_fmac_f32_e32 v15, v16, v13
	v_fma_f32 v12, -v12, v15, v14
	v_div_fmas_f32 v12, v12, v13, v15
	v_add_u32_e32 v16, 0x1000, v2
	ds_read2_b32 v[13:14], v16 offset1:4
	v_div_fixup_f32 v20, v12, v11, 1.0
	ds_read2_b32 v[11:12], v21 offset0:3 offset1:7
	s_waitcnt lgkmcnt(0)
	v_fma_f32 v15, -v9, v14, v11
	v_mul_f32_e32 v22, v20, v15
	v_fma_f32 v11, -v8, v11, v14
	ds_read2_b32 v[14:15], v2 offset1:4
	v_mul_f32_e32 v11, v11, v20
	s_waitcnt lgkmcnt(0)
	v_fma_f32 v13, -v11, v14, v13
	ds_write2_b32 v16, v13, v11 offset1:4
	v_add_u32_e32 v11, 0xc00, v2
	ds_read2_b32 v[16:17], v11 offset0:3 offset1:7
	v_mul_f32_e32 v9, v9, v15
	v_mul_f32_e64 v9, v9, -v20
	s_waitcnt lgkmcnt(0)
	v_mul_f32_e32 v8, v8, v16
	v_fma_f32 v12, -v17, v22, v12
	v_mul_f32_e64 v8, v8, -v20
	ds_write2_b32 v21, v22, v12 offset0:3 offset1:7
	v_mul_f32_e32 v12, v20, v15
	v_fma_f32 v7, -v8, v14, v7
	ds_write2_b32 v18, v7, v8 offset1:4
	v_mul_f32_e64 v7, v12, -v14
	v_mul_f32_e32 v13, v20, v16
	ds_write2_b32 v2, v7, v12 offset1:4
	v_fma_f32 v2, -v9, v17, v10
	ds_write2_b32 v19, v9, v2 offset0:3 offset1:7
	v_mul_f32_e64 v2, v13, -v17
	ds_write2_b32 v11, v13, v2 offset0:3 offset1:7
.LBB65_18:
	s_or_b64 exec, exec, s[2:3]
	v_cmp_gt_u32_e32 vcc, 16, v0
	s_waitcnt lgkmcnt(0)
	s_barrier
	s_and_saveexec_b64 s[2:3], vcc
	s_cbranch_execz .LBB65_20
; %bb.19:
	v_lshlrev_b32_e32 v2, 6, v0
	v_add_u32_e32 v18, 0x800, v2
	v_add_u32_e32 v19, 0x400, v2
	ds_read2_b32 v[7:8], v18 offset1:8
	ds_read2_b32 v[9:10], v19 offset0:7 offset1:15
	v_add_u32_e32 v21, 0x1400, v2
	s_waitcnt lgkmcnt(0)
	v_fma_f32 v11, -v8, v9, 1.0
	v_div_scale_f32 v12, s[8:9], v11, v11, 1.0
	v_rcp_f32_e32 v13, v12
	v_fma_f32 v14, -v12, v13, 1.0
	v_fmac_f32_e32 v13, v14, v13
	v_div_scale_f32 v14, vcc, 1.0, v11, 1.0
	v_mul_f32_e32 v15, v14, v13
	v_fma_f32 v16, -v12, v15, v14
	v_fmac_f32_e32 v15, v16, v13
	v_fma_f32 v12, -v12, v15, v14
	v_div_fmas_f32 v12, v12, v13, v15
	v_add_u32_e32 v16, 0x1000, v2
	ds_read2_b32 v[13:14], v16 offset1:8
	v_div_fixup_f32 v20, v12, v11, 1.0
	ds_read2_b32 v[11:12], v21 offset0:7 offset1:15
	s_waitcnt lgkmcnt(0)
	v_fma_f32 v15, -v9, v14, v11
	v_mul_f32_e32 v22, v20, v15
	v_fma_f32 v11, -v8, v11, v14
	ds_read2_b32 v[14:15], v2 offset1:8
	v_mul_f32_e32 v11, v11, v20
	s_waitcnt lgkmcnt(0)
	v_fma_f32 v13, -v11, v14, v13
	ds_write2_b32 v16, v13, v11 offset1:8
	v_add_u32_e32 v11, 0xc00, v2
	ds_read2_b32 v[16:17], v11 offset0:7 offset1:15
	v_mul_f32_e32 v9, v9, v15
	v_mul_f32_e64 v9, v9, -v20
	s_waitcnt lgkmcnt(0)
	v_mul_f32_e32 v8, v8, v16
	v_fma_f32 v12, -v17, v22, v12
	v_mul_f32_e64 v8, v8, -v20
	ds_write2_b32 v21, v22, v12 offset0:7 offset1:15
	v_mul_f32_e32 v12, v20, v15
	v_fma_f32 v7, -v8, v14, v7
	ds_write2_b32 v18, v7, v8 offset1:8
	v_mul_f32_e64 v7, v12, -v14
	v_mul_f32_e32 v13, v20, v16
	ds_write2_b32 v2, v7, v12 offset1:8
	v_fma_f32 v2, -v9, v17, v10
	ds_write2_b32 v19, v9, v2 offset0:7 offset1:15
	v_mul_f32_e64 v2, v13, -v17
	ds_write2_b32 v11, v13, v2 offset0:7 offset1:15
.LBB65_20:
	;; [unrolled: 58-line block ×4, first 2 shown]
	s_or_b64 exec, exec, s[2:3]
	v_cmp_gt_u32_e32 vcc, 2, v0
	s_waitcnt lgkmcnt(0)
	s_barrier
	s_and_saveexec_b64 s[2:3], vcc
	s_cbranch_execz .LBB65_26
; %bb.25:
	v_lshlrev_b32_e32 v2, 9, v0
	v_add_u32_e32 v19, 0xfc, v2
	ds_read2st64_b32 v[7:8], v19 offset0:4 offset1:5
	ds_read2st64_b32 v[9:10], v2 offset0:8 offset1:9
	;; [unrolled: 1-line block ×3, first 2 shown]
	ds_read2st64_b32 v[13:14], v2 offset1:1
	ds_read2st64_b32 v[15:16], v19 offset0:12 offset1:13
	s_waitcnt lgkmcnt(3)
	v_fma_f32 v20, -v10, v7, 1.0
	v_div_scale_f32 v17, s[8:9], v20, v20, 1.0
	v_div_scale_f32 v18, vcc, 1.0, v20, 1.0
	v_rcp_f32_e32 v21, v17
	v_fma_f32 v22, -v17, v21, 1.0
	v_fmac_f32_e32 v21, v22, v21
	v_mul_f32_e32 v22, v18, v21
	v_fma_f32 v23, -v17, v22, v18
	v_fmac_f32_e32 v22, v23, v21
	v_fma_f32 v17, -v17, v22, v18
	v_div_fmas_f32 v21, v17, v21, v22
	ds_read2st64_b32 v[17:18], v19 offset0:20 offset1:21
	s_waitcnt lgkmcnt(0)
	v_fma_f32 v22, -v7, v12, v17
	v_fma_f32 v12, -v10, v17, v12
	v_mul_f32_e32 v7, v7, v14
	v_mul_f32_e32 v10, v10, v15
	v_div_fixup_f32 v17, v21, v20, 1.0
	v_mul_f32_e32 v12, v12, v17
	v_mul_f32_e32 v20, v17, v22
	v_mul_f32_e64 v7, v7, -v17
	v_fma_f32 v11, -v12, v13, v11
	v_mul_f32_e32 v14, v17, v14
	v_mul_f32_e64 v10, v10, -v17
	v_mul_f32_e32 v15, v17, v15
	v_fma_f32 v17, -v16, v20, v18
	v_fma_f32 v9, -v10, v13, v9
	v_mul_f32_e64 v13, v14, -v13
	v_fma_f32 v8, -v7, v16, v8
	v_mul_f32_e64 v16, v15, -v16
	ds_write2st64_b32 v2, v11, v12 offset0:16 offset1:17
	ds_write2st64_b32 v19, v20, v17 offset0:20 offset1:21
	;; [unrolled: 1-line block ×3, first 2 shown]
	ds_write2st64_b32 v2, v13, v14 offset1:1
	ds_write2st64_b32 v19, v7, v8 offset0:4 offset1:5
	ds_write2st64_b32 v19, v15, v16 offset0:12 offset1:13
.LBB65_26:
	s_or_b64 exec, exec, s[2:3]
	v_cmp_eq_u32_e64 s[2:3], 0, v0
	s_waitcnt lgkmcnt(0)
	s_barrier
	s_and_saveexec_b64 s[8:9], s[2:3]
	s_cbranch_execz .LBB65_28
; %bb.27:
	s_movk_i32 s10, 0xa00
	v_add_u32_e64 v2, s10, 0
	v_mov_b32_e32 v0, 0
	ds_read2_b32 v[7:8], v2 offset1:255
	ds_read_b32 v13, v0 offset:1532
	v_mov_b32_e32 v17, 0xffc
	s_waitcnt lgkmcnt(0)
	v_fma_f32 v9, -v7, v13, 1.0
	v_div_scale_f32 v10, s[10:11], v9, v9, 1.0
	s_movk_i32 s10, 0x1200
	v_rcp_f32_e32 v11, v10
	v_fma_f32 v12, -v10, v11, 1.0
	v_fmac_f32_e32 v11, v12, v11
	v_div_scale_f32 v12, vcc, 1.0, v9, 1.0
	v_mul_f32_e32 v14, v12, v11
	v_fma_f32 v15, -v10, v14, v12
	v_fmac_f32_e32 v14, v15, v11
	v_fma_f32 v10, -v10, v14, v12
	v_div_fmas_f32 v10, v10, v11, v14
	v_add_u32_e64 v11, s10, 0
	v_div_fixup_f32 v14, v10, v9, 1.0
	ds_read2_b32 v[9:10], v11 offset1:255
	s_waitcnt lgkmcnt(0)
	v_fma_f32 v12, -v13, v9, v10
	v_fma_f32 v9, -v7, v10, v9
	v_mul_f32_e32 v15, v14, v12
	v_mul_f32_e32 v16, v9, v14
	ds_write2_b32 v11, v16, v15 offset1:255
	ds_read2_b32 v[9:10], v17 offset1:1
	ds_read2st64_b32 v[11:12], v0 offset1:2
	v_mul_f32_e32 v7, v7, v8
	s_waitcnt lgkmcnt(0)
	v_fma_f32 v10, -v16, v11, v10
	ds_read_b32 v16, v0 offset:6140
	v_mul_f32_e32 v13, v13, v12
	v_mul_f32_e64 v13, v13, -v14
	v_mul_f32_e32 v12, v14, v12
	ds_write_b32 v0, v13 offset:1532
	s_waitcnt lgkmcnt(1)
	v_fma_f32 v15, -v9, v15, v16
	ds_write_b32 v0, v15 offset:6140
	v_mul_f32_e64 v15, v7, -v14
	v_mul_f32_e32 v14, v14, v8
	ds_write2_b32 v2, v15, v14 offset1:255
	v_mov_b32_e32 v2, 0x7fc
	ds_read2_b32 v[7:8], v2 offset1:1
	s_waitcnt lgkmcnt(0)
	v_fma_f32 v8, -v15, v11, v8
	v_mul_f32_e64 v11, v12, -v11
	ds_write2st64_b32 v0, v11, v12 offset1:2
	v_fma_f32 v0, -v13, v9, v7
	ds_write2_b32 v2, v0, v8 offset1:1
	v_mul_f32_e64 v0, v14, -v9
	ds_write2_b32 v17, v0, v10 offset1:1
.LBB65_28:
	s_or_b64 exec, exec, s[8:9]
	s_load_dwordx2 s[14:15], s[4:5], 0x48
	s_load_dwordx4 s[8:11], s[4:5], 0x38
	s_waitcnt lgkmcnt(0)
	s_barrier
	s_and_saveexec_b64 s[16:17], s[0:1]
	s_cbranch_execnz .LBB65_31
; %bb.29:
	s_or_b64 exec, exec, s[16:17]
	s_and_saveexec_b64 s[0:1], s[2:3]
	s_cbranch_execnz .LBB65_35
.LBB65_30:
	s_endpgm
.LBB65_31:
	s_cmp_eq_u32 s7, 0
	s_cbranch_scc1 .LBB65_39
; %bb.32:
	s_mul_i32 s18, s18, 63
	s_cbranch_execnz .LBB65_34
.LBB65_33:
	s_load_dwordx4 s[20:23], s[4:5], 0x28
	v_ashrrev_i32_e32 v2, 31, v1
	v_lshlrev_b64 v[8:9], 2, v[1:2]
	ds_read2st64_b32 v[6:7], v6 offset1:4
	s_mov_b32 s18, s19
	s_waitcnt lgkmcnt(0)
	v_mov_b32_e32 v0, s21
	v_add_co_u32_e32 v10, vcc, s20, v8
	v_addc_co_u32_e32 v11, vcc, v0, v9, vcc
	v_add_u32_e32 v0, s19, v1
	v_mov_b32_e32 v1, 0
	v_lshlrev_b64 v[0:1], 2, v[0:1]
	global_store_dword v[10:11], v6, off
	v_mov_b32_e32 v2, s21
	v_add_co_u32_e32 v10, vcc, s20, v0
	v_addc_co_u32_e32 v11, vcc, v2, v1, vcc
	ds_read2st64_b32 v[5:6], v5 offset1:4
	global_store_dword v[10:11], v7, off
	v_mov_b32_e32 v2, s23
	v_add_co_u32_e32 v7, vcc, s22, v8
	v_addc_co_u32_e32 v8, vcc, v2, v9, vcc
	v_add_co_u32_e32 v0, vcc, s22, v0
	v_addc_co_u32_e32 v1, vcc, v2, v1, vcc
	s_waitcnt lgkmcnt(0)
	global_store_dword v[7:8], v5, off
	global_store_dword v[0:1], v6, off
.LBB65_34:
	ds_read2st64_b32 v[0:1], v4 offset1:4
	v_ashrrev_i32_e32 v4, 31, v3
	v_lshlrev_b64 v[4:5], 2, v[3:4]
	v_mov_b32_e32 v2, s13
	v_add_co_u32_e32 v4, vcc, s12, v4
	v_addc_co_u32_e32 v5, vcc, v2, v5, vcc
	v_add_u32_e32 v2, s18, v3
	v_mov_b32_e32 v3, 0
	v_lshlrev_b64 v[2:3], 2, v[2:3]
	s_waitcnt lgkmcnt(0)
	global_store_dword v[4:5], v0, off
	v_mov_b32_e32 v0, s13
	v_add_co_u32_e32 v2, vcc, s12, v2
	v_addc_co_u32_e32 v3, vcc, v0, v3, vcc
	global_store_dword v[2:3], v1, off
	s_or_b64 exec, exec, s[16:17]
	s_and_saveexec_b64 s[0:1], s[2:3]
	s_cbranch_execz .LBB65_30
.LBB65_35:
	s_cmp_eq_u32 s7, 0
	s_cbranch_scc1 .LBB65_40
; %bb.36:
	s_load_dword s2, s[4:5], 0x50
	s_cbranch_execnz .LBB65_38
.LBB65_37:
	v_mov_b32_e32 v0, 0x7fc
	ds_read2_b32 v[0:1], v0 offset1:1
	s_waitcnt lgkmcnt(0)
	s_load_dword s2, s[4:5], 0x50
	s_mov_b32 s0, s7
	s_ashr_i32 s7, s6, 31
	s_lshl_b64 s[12:13], s[6:7], 2
	s_mov_b32 s7, s0
	s_add_u32 s0, s10, s12
	s_addc_u32 s1, s11, s13
	v_mov_b32_e32 v2, 0
	ds_read_b32 v3, v2 offset:4092
	ds_read_b32 v4, v2
	global_store_dword v2, v1, s[0:1]
	s_waitcnt lgkmcnt(0)
	s_add_i32 s0, s2, s6
	s_mov_b32 s1, 0
	s_lshl_b64 s[0:1], s[0:1], 2
	s_add_u32 s4, s10, s0
	s_addc_u32 s5, s11, s1
	global_store_dword v2, v3, s[4:5]
	s_add_u32 s4, s14, s12
	s_addc_u32 s5, s15, s13
	s_add_u32 s0, s14, s0
	s_addc_u32 s1, s15, s1
	global_store_dword v2, v4, s[4:5]
	global_store_dword v2, v0, s[0:1]
.LBB65_38:
	s_waitcnt lgkmcnt(0)
	s_mul_i32 s0, s2, s7
	s_lshl_b32 s0, s0, 1
	s_add_i32 s0, s0, s6
	s_mov_b32 s1, 0
	v_mov_b32_e32 v0, 0
	s_lshl_b64 s[4:5], s[0:1], 2
	ds_read_b32 v1, v0 offset:4096
	ds_read_b32 v2, v0 offset:6140
	s_add_u32 s4, s8, s4
	s_addc_u32 s5, s9, s5
	s_add_i32 s0, s0, s2
	s_lshl_b64 s[0:1], s[0:1], 2
	s_add_u32 s0, s8, s0
	s_addc_u32 s1, s9, s1
	s_waitcnt lgkmcnt(1)
	global_store_dword v0, v1, s[4:5]
	s_waitcnt lgkmcnt(0)
	global_store_dword v0, v2, s[0:1]
	s_endpgm
.LBB65_39:
                                        ; implicit-def: $sgpr18
	s_branch .LBB65_33
.LBB65_40:
                                        ; implicit-def: $sgpr2
	s_branch .LBB65_37
	.section	.rodata,"a",@progbits
	.p2align	6, 0x0
	.amdhsa_kernel _ZN9rocsparseL29gtsv_spike_block_level_kernelILj256ELj64EfEEviiiPT1_PKS1_S4_S2_S2_S2_S2_S2_
		.amdhsa_group_segment_fixed_size 6144
		.amdhsa_private_segment_fixed_size 0
		.amdhsa_kernarg_size 336
		.amdhsa_user_sgpr_count 6
		.amdhsa_user_sgpr_private_segment_buffer 1
		.amdhsa_user_sgpr_dispatch_ptr 0
		.amdhsa_user_sgpr_queue_ptr 0
		.amdhsa_user_sgpr_kernarg_segment_ptr 1
		.amdhsa_user_sgpr_dispatch_id 0
		.amdhsa_user_sgpr_flat_scratch_init 0
		.amdhsa_user_sgpr_private_segment_size 0
		.amdhsa_uses_dynamic_stack 0
		.amdhsa_system_sgpr_private_segment_wavefront_offset 0
		.amdhsa_system_sgpr_workgroup_id_x 1
		.amdhsa_system_sgpr_workgroup_id_y 1
		.amdhsa_system_sgpr_workgroup_id_z 0
		.amdhsa_system_sgpr_workgroup_info 0
		.amdhsa_system_vgpr_workitem_id 0
		.amdhsa_next_free_vgpr 24
		.amdhsa_next_free_sgpr 24
		.amdhsa_reserve_vcc 1
		.amdhsa_reserve_flat_scratch 0
		.amdhsa_float_round_mode_32 0
		.amdhsa_float_round_mode_16_64 0
		.amdhsa_float_denorm_mode_32 3
		.amdhsa_float_denorm_mode_16_64 3
		.amdhsa_dx10_clamp 1
		.amdhsa_ieee_mode 1
		.amdhsa_fp16_overflow 0
		.amdhsa_exception_fp_ieee_invalid_op 0
		.amdhsa_exception_fp_denorm_src 0
		.amdhsa_exception_fp_ieee_div_zero 0
		.amdhsa_exception_fp_ieee_overflow 0
		.amdhsa_exception_fp_ieee_underflow 0
		.amdhsa_exception_fp_ieee_inexact 0
		.amdhsa_exception_int_div_zero 0
	.end_amdhsa_kernel
	.section	.text._ZN9rocsparseL29gtsv_spike_block_level_kernelILj256ELj64EfEEviiiPT1_PKS1_S4_S2_S2_S2_S2_S2_,"axG",@progbits,_ZN9rocsparseL29gtsv_spike_block_level_kernelILj256ELj64EfEEviiiPT1_PKS1_S4_S2_S2_S2_S2_S2_,comdat
.Lfunc_end65:
	.size	_ZN9rocsparseL29gtsv_spike_block_level_kernelILj256ELj64EfEEviiiPT1_PKS1_S4_S2_S2_S2_S2_S2_, .Lfunc_end65-_ZN9rocsparseL29gtsv_spike_block_level_kernelILj256ELj64EfEEviiiPT1_PKS1_S4_S2_S2_S2_S2_S2_
                                        ; -- End function
	.set _ZN9rocsparseL29gtsv_spike_block_level_kernelILj256ELj64EfEEviiiPT1_PKS1_S4_S2_S2_S2_S2_S2_.num_vgpr, 24
	.set _ZN9rocsparseL29gtsv_spike_block_level_kernelILj256ELj64EfEEviiiPT1_PKS1_S4_S2_S2_S2_S2_S2_.num_agpr, 0
	.set _ZN9rocsparseL29gtsv_spike_block_level_kernelILj256ELj64EfEEviiiPT1_PKS1_S4_S2_S2_S2_S2_S2_.numbered_sgpr, 24
	.set _ZN9rocsparseL29gtsv_spike_block_level_kernelILj256ELj64EfEEviiiPT1_PKS1_S4_S2_S2_S2_S2_S2_.num_named_barrier, 0
	.set _ZN9rocsparseL29gtsv_spike_block_level_kernelILj256ELj64EfEEviiiPT1_PKS1_S4_S2_S2_S2_S2_S2_.private_seg_size, 0
	.set _ZN9rocsparseL29gtsv_spike_block_level_kernelILj256ELj64EfEEviiiPT1_PKS1_S4_S2_S2_S2_S2_S2_.uses_vcc, 1
	.set _ZN9rocsparseL29gtsv_spike_block_level_kernelILj256ELj64EfEEviiiPT1_PKS1_S4_S2_S2_S2_S2_S2_.uses_flat_scratch, 0
	.set _ZN9rocsparseL29gtsv_spike_block_level_kernelILj256ELj64EfEEviiiPT1_PKS1_S4_S2_S2_S2_S2_S2_.has_dyn_sized_stack, 0
	.set _ZN9rocsparseL29gtsv_spike_block_level_kernelILj256ELj64EfEEviiiPT1_PKS1_S4_S2_S2_S2_S2_S2_.has_recursion, 0
	.set _ZN9rocsparseL29gtsv_spike_block_level_kernelILj256ELj64EfEEviiiPT1_PKS1_S4_S2_S2_S2_S2_S2_.has_indirect_call, 0
	.section	.AMDGPU.csdata,"",@progbits
; Kernel info:
; codeLenInByte = 3864
; TotalNumSgprs: 28
; NumVgprs: 24
; ScratchSize: 0
; MemoryBound: 0
; FloatMode: 240
; IeeeMode: 1
; LDSByteSize: 6144 bytes/workgroup (compile time only)
; SGPRBlocks: 3
; VGPRBlocks: 5
; NumSGPRsForWavesPerEU: 28
; NumVGPRsForWavesPerEU: 24
; Occupancy: 10
; WaveLimiterHint : 0
; COMPUTE_PGM_RSRC2:SCRATCH_EN: 0
; COMPUTE_PGM_RSRC2:USER_SGPR: 6
; COMPUTE_PGM_RSRC2:TRAP_HANDLER: 0
; COMPUTE_PGM_RSRC2:TGID_X_EN: 1
; COMPUTE_PGM_RSRC2:TGID_Y_EN: 1
; COMPUTE_PGM_RSRC2:TGID_Z_EN: 0
; COMPUTE_PGM_RSRC2:TIDIG_COMP_CNT: 0
	.section	.text._ZN9rocsparseL33gtsv_solve_spike_propagate_kernelILj256ELj64EfEEviiiPT1_PKS1_S4_S4_,"axG",@progbits,_ZN9rocsparseL33gtsv_solve_spike_propagate_kernelILj256ELj64EfEEviiiPT1_PKS1_S4_S4_,comdat
	.globl	_ZN9rocsparseL33gtsv_solve_spike_propagate_kernelILj256ELj64EfEEviiiPT1_PKS1_S4_S4_ ; -- Begin function _ZN9rocsparseL33gtsv_solve_spike_propagate_kernelILj256ELj64EfEEviiiPT1_PKS1_S4_S4_
	.p2align	8
	.type	_ZN9rocsparseL33gtsv_solve_spike_propagate_kernelILj256ELj64EfEEviiiPT1_PKS1_S4_S4_,@function
_ZN9rocsparseL33gtsv_solve_spike_propagate_kernelILj256ELj64EfEEviiiPT1_PKS1_S4_S4_: ; @_ZN9rocsparseL33gtsv_solve_spike_propagate_kernelILj256ELj64EfEEviiiPT1_PKS1_S4_S4_
; %bb.0:
	s_load_dword s10, s[4:5], 0x0
	v_lshl_or_b32 v1, s6, 8, v0
	v_mov_b32_e32 v4, 0
	v_ashrrev_i32_e32 v2, 31, v1
	v_mov_b32_e32 v5, 0
	s_waitcnt lgkmcnt(0)
	s_lshr_b32 s12, s10, 6
	v_cmp_le_i32_e64 s[0:1], s12, v1
	v_cmp_gt_i32_e32 vcc, s12, v1
	s_and_saveexec_b64 s[8:9], vcc
	s_cbranch_execz .LBB66_2
; %bb.1:
	s_load_dwordx2 s[14:15], s[4:5], 0x18
	v_lshlrev_b64 v[3:4], 2, v[1:2]
	v_mad_u64_u32 v[5:6], s[2:3], s12, 63, v[1:2]
	s_waitcnt lgkmcnt(0)
	v_mov_b32_e32 v6, s15
	v_add_co_u32_e64 v7, s[2:3], s14, v3
	v_addc_co_u32_e64 v8, s[2:3], v6, v4, s[2:3]
	v_mov_b32_e32 v6, 0
	v_lshlrev_b64 v[3:4], 2, v[5:6]
	v_mov_b32_e32 v5, s15
	v_add_co_u32_e64 v9, s[2:3], s14, v3
	v_addc_co_u32_e64 v10, s[2:3], v5, v4, s[2:3]
	global_load_dword v4, v[7:8], off
	global_load_dword v5, v[9:10], off
.LBB66_2:
	s_or_b64 exec, exec, s[8:9]
	s_load_dwordx2 s[2:3], s[4:5], 0x10
	v_lshlrev_b32_e32 v3, 2, v0
	v_add_u32_e32 v6, 16, v3
	s_waitcnt vmcnt(0)
	ds_write2st64_b32 v6, v4, v5 offset0:16 offset1:20
	s_and_saveexec_b64 s[8:9], s[0:1]
	s_xor_b64 s[0:1], exec, s[8:9]
; %bb.3:
	v_mov_b32_e32 v2, 0
	ds_write2st64_b32 v6, v2, v2 offset0:8 offset1:12
; %bb.4:
	s_or_saveexec_b64 s[8:9], s[0:1]
	v_mov_b32_e32 v4, 0
	s_mul_i32 s10, s10, s7
	v_mov_b32_e32 v5, 0
	s_xor_b64 exec, exec, s[8:9]
	s_cbranch_execz .LBB66_6
; %bb.5:
	s_load_dwordx2 s[14:15], s[4:5], 0x20
	v_mad_u64_u32 v[7:8], s[0:1], s12, 63, v[1:2]
	v_lshlrev_b64 v[5:6], 2, v[1:2]
	v_mov_b32_e32 v8, 0
	s_waitcnt lgkmcnt(0)
	v_mov_b32_e32 v2, s15
	v_add_co_u32_e64 v5, s[0:1], s14, v5
	v_lshlrev_b64 v[9:10], 2, v[7:8]
	v_addc_co_u32_e64 v6, s[0:1], v2, v6, s[0:1]
	v_add_co_u32_e64 v9, s[0:1], s14, v9
	v_add_u32_e32 v7, s10, v7
	v_addc_co_u32_e64 v10, s[0:1], v2, v10, s[0:1]
	global_load_dword v2, v[5:6], off
	global_load_dword v11, v[9:10], off
	v_lshlrev_b64 v[5:6], 2, v[7:8]
	v_mov_b32_e32 v7, s3
	v_add_co_u32_e64 v5, s[0:1], s2, v5
	v_addc_co_u32_e64 v6, s[0:1], v7, v6, s[0:1]
	global_load_dword v5, v[5:6], off
	v_add_u32_e32 v6, 16, v3
	s_waitcnt vmcnt(1)
	ds_write2st64_b32 v6, v2, v11 offset0:8 offset1:12
.LBB66_6:
	s_or_b64 exec, exec, s[8:9]
	v_add_u32_e32 v1, s10, v1
	s_waitcnt vmcnt(0)
	ds_write_b32 v3, v5 offset:4
	s_and_saveexec_b64 s[8:9], vcc
	s_cbranch_execz .LBB66_8
; %bb.7:
	v_ashrrev_i32_e32 v2, 31, v1
	v_lshlrev_b64 v[4:5], 2, v[1:2]
	s_waitcnt lgkmcnt(0)
	v_mov_b32_e32 v2, s3
	v_add_co_u32_e64 v4, s[0:1], s2, v4
	v_addc_co_u32_e64 v5, s[0:1], v2, v5, s[0:1]
	global_load_dword v4, v[4:5], off
.LBB66_8:
	s_or_b64 exec, exec, s[8:9]
	s_mov_b32 s14, 0
	v_cmp_eq_u32_e64 s[0:1], 0, v0
	s_waitcnt vmcnt(0)
	ds_write_b32 v3, v4 offset:1028
	s_waitcnt lgkmcnt(0)
	s_barrier
	s_and_saveexec_b64 s[8:9], s[0:1]
	s_cbranch_execz .LBB66_14
; %bb.9:
	s_load_dword s13, s[4:5], 0x30
	s_load_dwordx2 s[10:11], s[4:5], 0x28
	s_cmp_lt_i32 s6, 1
	s_waitcnt lgkmcnt(0)
	s_mul_i32 s7, s7, s13
	s_cbranch_scc1 .LBB66_11
; %bb.10:
	s_lshl_b32 s4, s7, 1
	s_add_i32 s5, s6, s13
	s_add_i32 s4, s5, s4
	s_add_i32 s4, s4, -1
	s_mov_b32 s5, 0
	s_lshl_b64 s[4:5], s[4:5], 2
	s_add_u32 s4, s10, s4
	s_addc_u32 s5, s11, s5
	s_load_dword s14, s[4:5], 0x0
.LBB66_11:
	s_add_i32 s4, s13, -1
	v_mov_b32_e32 v2, 0
	s_waitcnt lgkmcnt(0)
	v_mov_b32_e32 v4, s14
	s_mov_b32 s5, 0
	s_cmp_ge_u32 s6, s4
	s_mov_b32 s14, 0
	ds_write_b32 v2, v4
	s_cbranch_scc1 .LBB66_13
; %bb.12:
	s_lshl_b32 s4, s7, 1
	s_add_i32 s4, s6, s4
	s_add_i32 s14, s4, 1
	s_mov_b32 s15, 0
	s_lshl_b64 s[14:15], s[14:15], 2
	s_add_u32 s14, s10, s14
	s_addc_u32 s15, s11, s15
	s_load_dword s14, s[14:15], 0x0
.LBB66_13:
	s_lshl_b32 s4, s7, 1
	s_add_i32 s4, s4, s6
	s_lshl_b64 s[6:7], s[4:5], 2
	s_add_u32 s6, s10, s6
	s_addc_u32 s7, s11, s7
	s_add_i32 s4, s4, s13
	s_lshl_b64 s[4:5], s[4:5], 2
	s_add_u32 s4, s10, s4
	s_addc_u32 s5, s11, s5
	s_load_dword s10, s[4:5], 0x0
	s_load_dword s11, s[6:7], 0x0
	s_waitcnt lgkmcnt(0)
	v_mov_b32_e32 v4, s14
	ds_write_b32 v2, v4 offset:2052
	v_mov_b32_e32 v4, s10
	v_mov_b32_e32 v5, s11
	ds_write_b64 v2, v[4:5] offset:1024
.LBB66_14:
	s_or_b64 exec, exec, s[8:9]
	s_waitcnt lgkmcnt(0)
	s_barrier
	s_and_saveexec_b64 s[4:5], s[0:1]
	s_cbranch_execz .LBB66_16
; %bb.15:
	s_movk_i32 s0, 0xa10
	v_mov_b32_e32 v2, 0
	v_add_u32_e64 v6, s0, 0
	v_add_u32_e64 v8, 4, 0
	s_movk_i32 s0, 0x1210
	ds_read2st64_b32 v[4:5], v2 offset1:2
	ds_read2_b32 v[6:7], v6 offset1:255
	ds_read2st64_b32 v[8:9], v8 offset0:6 offset1:8
	v_add_u32_e64 v10, s0, 0
	ds_read2_b32 v[10:11], v10 offset1:255
	s_waitcnt lgkmcnt(1)
	v_fma_f32 v5, -v7, v9, v5
	s_waitcnt lgkmcnt(0)
	v_fma_f32 v5, -v11, v4, v5
	ds_write_b32 v2, v5 offset:512
	v_fma_f32 v5, -v6, v9, v8
	v_fma_f32 v4, -v10, v4, v5
	ds_write_b32 v2, v4 offset:1540
.LBB66_16:
	s_or_b64 exec, exec, s[4:5]
	v_cmp_gt_u32_e64 s[0:1], 2, v0
	s_waitcnt lgkmcnt(0)
	s_barrier
	s_and_saveexec_b64 s[4:5], s[0:1]
	s_cbranch_execz .LBB66_18
; %bb.17:
	s_movk_i32 s0, 0x1fc
	v_mad_u32_u24 v2, v0, s0, v3
	v_lshlrev_b32_e32 v10, 9, v0
	v_add_u32_e32 v6, 0x910, v10
	v_add_u32_e32 v8, 4, v2
	ds_read2st64_b32 v[4:5], v2 offset1:1
	ds_read2_b32 v[6:7], v6 offset1:255
	ds_read2st64_b32 v[8:9], v8 offset0:5 offset1:6
	v_add_u32_e32 v10, 0x1110, v10
	ds_read2_b32 v[10:11], v10 offset1:255
	s_waitcnt lgkmcnt(1)
	v_fma_f32 v5, -v7, v9, v5
	s_waitcnt lgkmcnt(0)
	v_fma_f32 v5, -v11, v4, v5
	ds_write_b32 v2, v5 offset:256
	v_fma_f32 v5, -v6, v9, v8
	v_fma_f32 v4, -v10, v4, v5
	ds_write_b32 v2, v4 offset:1284
.LBB66_18:
	s_or_b64 exec, exec, s[4:5]
	v_cmp_gt_u32_e64 s[0:1], 4, v0
	s_waitcnt lgkmcnt(0)
	s_barrier
	s_and_saveexec_b64 s[4:5], s[0:1]
	s_cbranch_execz .LBB66_20
; %bb.19:
	v_lshlrev_b32_e32 v2, 8, v0
	v_add_u32_e32 v6, 0x890, v2
	v_add_u32_e32 v8, 0x400, v2
	ds_read2_b32 v[4:5], v2 offset1:32
	ds_read2_b32 v[6:7], v6 offset1:255
	ds_read2_b32 v[8:9], v8 offset0:33 offset1:65
	v_add_u32_e32 v10, 0x1090, v2
	ds_read2_b32 v[10:11], v10 offset1:255
	s_waitcnt lgkmcnt(1)
	v_fma_f32 v5, -v7, v9, v5
	s_waitcnt lgkmcnt(0)
	v_fma_f32 v5, -v11, v4, v5
	ds_write_b32 v2, v5 offset:128
	v_fma_f32 v5, -v6, v9, v8
	v_fma_f32 v4, -v10, v4, v5
	ds_write_b32 v2, v4 offset:1156
.LBB66_20:
	s_or_b64 exec, exec, s[4:5]
	v_cmp_gt_u32_e64 s[0:1], 8, v0
	s_waitcnt lgkmcnt(0)
	s_barrier
	s_and_saveexec_b64 s[4:5], s[0:1]
	s_cbranch_execz .LBB66_22
; %bb.21:
	v_lshlrev_b32_e32 v2, 7, v0
	v_add_u32_e32 v6, 0x850, v2
	v_add_u32_e32 v8, 0x400, v2
	ds_read2_b32 v[4:5], v2 offset1:16
	ds_read2_b32 v[6:7], v6 offset1:255
	ds_read2_b32 v[8:9], v8 offset0:17 offset1:33
	v_add_u32_e32 v10, 0x1050, v2
	ds_read2_b32 v[10:11], v10 offset1:255
	s_waitcnt lgkmcnt(1)
	v_fma_f32 v5, -v7, v9, v5
	s_waitcnt lgkmcnt(0)
	v_fma_f32 v5, -v11, v4, v5
	ds_write_b32 v2, v5 offset:64
	v_fma_f32 v5, -v6, v9, v8
	v_fma_f32 v4, -v10, v4, v5
	ds_write_b32 v2, v4 offset:1092
.LBB66_22:
	;; [unrolled: 24-line block ×5, first 2 shown]
	s_or_b64 exec, exec, s[4:5]
	s_movk_i32 s0, 0x80
	v_cmp_gt_u32_e64 s[0:1], s0, v0
	s_waitcnt lgkmcnt(0)
	s_barrier
	s_and_saveexec_b64 s[4:5], s[0:1]
	s_cbranch_execz .LBB66_30
; %bb.29:
	v_lshlrev_b32_e32 v0, 3, v0
	v_add_u32_e32 v2, 0x814, v0
	ds_read2_b64 v[4:7], v0 offset1:129
	ds_read2_b32 v[8:9], v2 offset1:255
	v_add_u32_e32 v2, 0x1014, v0
	ds_read2_b32 v[10:11], v2 offset1:255
	s_waitcnt lgkmcnt(1)
	v_fma_f32 v2, -v9, v7, v5
	v_fma_f32 v5, -v8, v7, v6
	s_waitcnt lgkmcnt(0)
	v_fma_f32 v2, -v11, v4, v2
	ds_write_b32 v0, v2 offset:4
	v_fma_f32 v2, -v10, v4, v5
	ds_write_b32 v0, v2 offset:1032
.LBB66_30:
	s_or_b64 exec, exec, s[4:5]
	s_waitcnt lgkmcnt(0)
	s_barrier
	s_and_saveexec_b64 s[0:1], vcc
	s_cbranch_execz .LBB66_32
; %bb.31:
	v_add_u32_e32 v0, 4, v3
	ds_read2st64_b32 v[3:4], v0 offset1:4
	v_ashrrev_i32_e32 v2, 31, v1
	v_lshlrev_b64 v[5:6], 2, v[1:2]
	v_mov_b32_e32 v2, s3
	v_mad_u64_u32 v[0:1], s[0:1], s12, 63, v[1:2]
	v_add_co_u32_e32 v1, vcc, s2, v5
	v_addc_co_u32_e32 v2, vcc, v2, v6, vcc
	s_waitcnt lgkmcnt(0)
	global_store_dword v[1:2], v4, off
	v_mov_b32_e32 v1, 0
	v_lshlrev_b64 v[0:1], 2, v[0:1]
	v_mov_b32_e32 v2, s3
	v_add_co_u32_e32 v0, vcc, s2, v0
	v_addc_co_u32_e32 v1, vcc, v2, v1, vcc
	global_store_dword v[0:1], v3, off
.LBB66_32:
	s_endpgm
	.section	.rodata,"a",@progbits
	.p2align	6, 0x0
	.amdhsa_kernel _ZN9rocsparseL33gtsv_solve_spike_propagate_kernelILj256ELj64EfEEviiiPT1_PKS1_S4_S4_
		.amdhsa_group_segment_fixed_size 6160
		.amdhsa_private_segment_fixed_size 0
		.amdhsa_kernarg_size 304
		.amdhsa_user_sgpr_count 6
		.amdhsa_user_sgpr_private_segment_buffer 1
		.amdhsa_user_sgpr_dispatch_ptr 0
		.amdhsa_user_sgpr_queue_ptr 0
		.amdhsa_user_sgpr_kernarg_segment_ptr 1
		.amdhsa_user_sgpr_dispatch_id 0
		.amdhsa_user_sgpr_flat_scratch_init 0
		.amdhsa_user_sgpr_private_segment_size 0
		.amdhsa_uses_dynamic_stack 0
		.amdhsa_system_sgpr_private_segment_wavefront_offset 0
		.amdhsa_system_sgpr_workgroup_id_x 1
		.amdhsa_system_sgpr_workgroup_id_y 1
		.amdhsa_system_sgpr_workgroup_id_z 0
		.amdhsa_system_sgpr_workgroup_info 0
		.amdhsa_system_vgpr_workitem_id 0
		.amdhsa_next_free_vgpr 12
		.amdhsa_next_free_sgpr 16
		.amdhsa_reserve_vcc 1
		.amdhsa_reserve_flat_scratch 0
		.amdhsa_float_round_mode_32 0
		.amdhsa_float_round_mode_16_64 0
		.amdhsa_float_denorm_mode_32 3
		.amdhsa_float_denorm_mode_16_64 3
		.amdhsa_dx10_clamp 1
		.amdhsa_ieee_mode 1
		.amdhsa_fp16_overflow 0
		.amdhsa_exception_fp_ieee_invalid_op 0
		.amdhsa_exception_fp_denorm_src 0
		.amdhsa_exception_fp_ieee_div_zero 0
		.amdhsa_exception_fp_ieee_overflow 0
		.amdhsa_exception_fp_ieee_underflow 0
		.amdhsa_exception_fp_ieee_inexact 0
		.amdhsa_exception_int_div_zero 0
	.end_amdhsa_kernel
	.section	.text._ZN9rocsparseL33gtsv_solve_spike_propagate_kernelILj256ELj64EfEEviiiPT1_PKS1_S4_S4_,"axG",@progbits,_ZN9rocsparseL33gtsv_solve_spike_propagate_kernelILj256ELj64EfEEviiiPT1_PKS1_S4_S4_,comdat
.Lfunc_end66:
	.size	_ZN9rocsparseL33gtsv_solve_spike_propagate_kernelILj256ELj64EfEEviiiPT1_PKS1_S4_S4_, .Lfunc_end66-_ZN9rocsparseL33gtsv_solve_spike_propagate_kernelILj256ELj64EfEEviiiPT1_PKS1_S4_S4_
                                        ; -- End function
	.set _ZN9rocsparseL33gtsv_solve_spike_propagate_kernelILj256ELj64EfEEviiiPT1_PKS1_S4_S4_.num_vgpr, 12
	.set _ZN9rocsparseL33gtsv_solve_spike_propagate_kernelILj256ELj64EfEEviiiPT1_PKS1_S4_S4_.num_agpr, 0
	.set _ZN9rocsparseL33gtsv_solve_spike_propagate_kernelILj256ELj64EfEEviiiPT1_PKS1_S4_S4_.numbered_sgpr, 16
	.set _ZN9rocsparseL33gtsv_solve_spike_propagate_kernelILj256ELj64EfEEviiiPT1_PKS1_S4_S4_.num_named_barrier, 0
	.set _ZN9rocsparseL33gtsv_solve_spike_propagate_kernelILj256ELj64EfEEviiiPT1_PKS1_S4_S4_.private_seg_size, 0
	.set _ZN9rocsparseL33gtsv_solve_spike_propagate_kernelILj256ELj64EfEEviiiPT1_PKS1_S4_S4_.uses_vcc, 1
	.set _ZN9rocsparseL33gtsv_solve_spike_propagate_kernelILj256ELj64EfEEviiiPT1_PKS1_S4_S4_.uses_flat_scratch, 0
	.set _ZN9rocsparseL33gtsv_solve_spike_propagate_kernelILj256ELj64EfEEviiiPT1_PKS1_S4_S4_.has_dyn_sized_stack, 0
	.set _ZN9rocsparseL33gtsv_solve_spike_propagate_kernelILj256ELj64EfEEviiiPT1_PKS1_S4_S4_.has_recursion, 0
	.set _ZN9rocsparseL33gtsv_solve_spike_propagate_kernelILj256ELj64EfEEviiiPT1_PKS1_S4_S4_.has_indirect_call, 0
	.section	.AMDGPU.csdata,"",@progbits
; Kernel info:
; codeLenInByte = 1984
; TotalNumSgprs: 20
; NumVgprs: 12
; ScratchSize: 0
; MemoryBound: 0
; FloatMode: 240
; IeeeMode: 1
; LDSByteSize: 6160 bytes/workgroup (compile time only)
; SGPRBlocks: 2
; VGPRBlocks: 2
; NumSGPRsForWavesPerEU: 20
; NumVGPRsForWavesPerEU: 12
; Occupancy: 10
; WaveLimiterHint : 0
; COMPUTE_PGM_RSRC2:SCRATCH_EN: 0
; COMPUTE_PGM_RSRC2:USER_SGPR: 6
; COMPUTE_PGM_RSRC2:TRAP_HANDLER: 0
; COMPUTE_PGM_RSRC2:TGID_X_EN: 1
; COMPUTE_PGM_RSRC2:TGID_Y_EN: 1
; COMPUTE_PGM_RSRC2:TGID_Z_EN: 0
; COMPUTE_PGM_RSRC2:TIDIG_COMP_CNT: 0
	.section	.text._ZN9rocsparseL39gtsv_spike_backward_substitution_kernelILj256ELj64EfEEviiiPT1_PKS1_S4_,"axG",@progbits,_ZN9rocsparseL39gtsv_spike_backward_substitution_kernelILj256ELj64EfEEviiiPT1_PKS1_S4_,comdat
	.globl	_ZN9rocsparseL39gtsv_spike_backward_substitution_kernelILj256ELj64EfEEviiiPT1_PKS1_S4_ ; -- Begin function _ZN9rocsparseL39gtsv_spike_backward_substitution_kernelILj256ELj64EfEEviiiPT1_PKS1_S4_
	.p2align	8
	.type	_ZN9rocsparseL39gtsv_spike_backward_substitution_kernelILj256ELj64EfEEviiiPT1_PKS1_S4_,@function
_ZN9rocsparseL39gtsv_spike_backward_substitution_kernelILj256ELj64EfEEviiiPT1_PKS1_S4_: ; @_ZN9rocsparseL39gtsv_spike_backward_substitution_kernelILj256ELj64EfEEviiiPT1_PKS1_S4_
; %bb.0:
	s_load_dword s12, s[4:5], 0x0
	s_lshl_b32 s6, s6, 8
	v_or_b32_e32 v1, s6, v0
	s_waitcnt lgkmcnt(0)
	s_lshr_b32 s10, s12, 6
	v_cmp_gt_i32_e32 vcc, s10, v1
	s_and_saveexec_b64 s[0:1], vcc
	s_cbranch_execz .LBB67_7
; %bb.1:
	s_load_dwordx2 s[8:9], s[4:5], 0x10
	v_cmp_lt_i32_e32 vcc, 0, v1
	v_mov_b32_e32 v5, 0
	s_mul_i32 s11, s12, s7
	s_and_saveexec_b64 s[0:1], vcc
	s_cbranch_execz .LBB67_3
; %bb.2:
	s_mul_i32 s2, s10, 63
	s_mul_i32 s3, s12, s7
	s_add_i32 s2, s2, s3
	v_add3_u32 v2, v1, s2, -1
	v_mov_b32_e32 v3, 0
	v_lshlrev_b64 v[2:3], 2, v[2:3]
	s_waitcnt lgkmcnt(0)
	v_mov_b32_e32 v4, s9
	v_add_co_u32_e32 v2, vcc, s8, v2
	v_addc_co_u32_e32 v3, vcc, v4, v3, vcc
	global_load_dword v5, v[2:3], off
.LBB67_3:
	s_or_b64 exec, exec, s[0:1]
	s_load_dwordx4 s[0:3], s[4:5], 0x18
	v_add_u32_e32 v2, 64, v1
	v_cmp_le_u32_e32 vcc, s12, v2
	s_and_saveexec_b64 s[4:5], vcc
	s_xor_b64 s[4:5], exec, s[4:5]
	s_or_saveexec_b64 s[4:5], s[4:5]
	v_mov_b32_e32 v6, 0
	v_mov_b32_e32 v7, s11
	s_xor_b64 exec, exec, s[4:5]
	s_cbranch_execz .LBB67_5
; %bb.4:
	s_ashr_i32 s7, s11, 31
	v_ashrrev_i32_e32 v3, 31, v1
	v_mov_b32_e32 v4, s7
	v_add_co_u32_e32 v2, vcc, s11, v1
	v_addc_co_u32_e32 v3, vcc, v3, v4, vcc
	v_lshlrev_b64 v[2:3], 2, v[2:3]
	s_waitcnt lgkmcnt(0)
	v_mov_b32_e32 v4, s9
	v_add_co_u32_e32 v2, vcc, s8, v2
	v_addc_co_u32_e32 v3, vcc, v4, v3, vcc
	global_load_dword v6, v[2:3], off offset:4
	v_mov_b32_e32 v7, s11
.LBB67_5:
	s_or_b64 exec, exec, s[4:5]
	s_lshl_b32 s4, s10, 1
	s_add_i32 s6, s6, s10
	v_add_u32_e32 v1, s4, v1
	v_add_u32_e32 v3, s6, v0
	s_mov_b32 s5, 62
	s_waitcnt lgkmcnt(0)
	v_mov_b32_e32 v0, s9
	v_mov_b32_e32 v8, s1
	;; [unrolled: 1-line block ×3, first 2 shown]
.LBB67_6:                               ; =>This Inner Loop Header: Depth=1
	v_ashrrev_i32_e32 v4, 31, v3
	v_lshlrev_b64 v[10:11], 2, v[3:4]
	v_ashrrev_i32_e32 v2, 31, v1
	v_add_co_u32_e32 v14, vcc, s0, v10
	v_addc_co_u32_e32 v15, vcc, v8, v11, vcc
	v_lshlrev_b64 v[12:13], 2, v[1:2]
	v_add_co_u32_e32 v10, vcc, s2, v10
	v_addc_co_u32_e32 v11, vcc, v9, v11, vcc
	v_add_co_u32_e32 v16, vcc, s0, v12
	v_add_u32_e32 v18, v7, v3
	v_addc_co_u32_e32 v17, vcc, v8, v13, vcc
	v_ashrrev_i32_e32 v19, 31, v18
	v_add_co_u32_e32 v12, vcc, s2, v12
	v_lshlrev_b64 v[18:19], 2, v[18:19]
	v_addc_co_u32_e32 v13, vcc, v9, v13, vcc
	v_add_co_u32_e32 v18, vcc, s8, v18
	v_addc_co_u32_e32 v19, vcc, v0, v19, vcc
	global_load_dword v2, v[14:15], off
	global_load_dword v4, v[10:11], off
	;; [unrolled: 1-line block ×4, first 2 shown]
	v_add_u32_e32 v20, v7, v1
	v_ashrrev_i32_e32 v21, 31, v20
	v_lshlrev_b64 v[20:21], 2, v[20:21]
	s_add_i32 s5, s5, -2
	v_add_co_u32_e32 v20, vcc, s8, v20
	v_addc_co_u32_e32 v21, vcc, v0, v21, vcc
	v_add_u32_e32 v1, s4, v1
	v_add_u32_e32 v3, s4, v3
	s_cmp_lg_u32 s5, 0
	s_waitcnt vmcnt(0)
	v_fma_f32 v2, -v5, v2, v23
	v_fma_f32 v2, -v6, v4, v2
	global_store_dword v[18:19], v2, off
	global_load_dword v2, v[20:21], off
	s_nop 0
	global_load_dword v4, v[12:13], off
	s_waitcnt vmcnt(1)
	v_fma_f32 v2, -v5, v22, v2
	s_waitcnt vmcnt(0)
	v_fma_f32 v2, -v6, v4, v2
	global_store_dword v[20:21], v2, off
	s_cbranch_scc1 .LBB67_6
.LBB67_7:
	s_endpgm
	.section	.rodata,"a",@progbits
	.p2align	6, 0x0
	.amdhsa_kernel _ZN9rocsparseL39gtsv_spike_backward_substitution_kernelILj256ELj64EfEEviiiPT1_PKS1_S4_
		.amdhsa_group_segment_fixed_size 0
		.amdhsa_private_segment_fixed_size 0
		.amdhsa_kernarg_size 40
		.amdhsa_user_sgpr_count 6
		.amdhsa_user_sgpr_private_segment_buffer 1
		.amdhsa_user_sgpr_dispatch_ptr 0
		.amdhsa_user_sgpr_queue_ptr 0
		.amdhsa_user_sgpr_kernarg_segment_ptr 1
		.amdhsa_user_sgpr_dispatch_id 0
		.amdhsa_user_sgpr_flat_scratch_init 0
		.amdhsa_user_sgpr_private_segment_size 0
		.amdhsa_uses_dynamic_stack 0
		.amdhsa_system_sgpr_private_segment_wavefront_offset 0
		.amdhsa_system_sgpr_workgroup_id_x 1
		.amdhsa_system_sgpr_workgroup_id_y 1
		.amdhsa_system_sgpr_workgroup_id_z 0
		.amdhsa_system_sgpr_workgroup_info 0
		.amdhsa_system_vgpr_workitem_id 0
		.amdhsa_next_free_vgpr 24
		.amdhsa_next_free_sgpr 13
		.amdhsa_reserve_vcc 1
		.amdhsa_reserve_flat_scratch 0
		.amdhsa_float_round_mode_32 0
		.amdhsa_float_round_mode_16_64 0
		.amdhsa_float_denorm_mode_32 3
		.amdhsa_float_denorm_mode_16_64 3
		.amdhsa_dx10_clamp 1
		.amdhsa_ieee_mode 1
		.amdhsa_fp16_overflow 0
		.amdhsa_exception_fp_ieee_invalid_op 0
		.amdhsa_exception_fp_denorm_src 0
		.amdhsa_exception_fp_ieee_div_zero 0
		.amdhsa_exception_fp_ieee_overflow 0
		.amdhsa_exception_fp_ieee_underflow 0
		.amdhsa_exception_fp_ieee_inexact 0
		.amdhsa_exception_int_div_zero 0
	.end_amdhsa_kernel
	.section	.text._ZN9rocsparseL39gtsv_spike_backward_substitution_kernelILj256ELj64EfEEviiiPT1_PKS1_S4_,"axG",@progbits,_ZN9rocsparseL39gtsv_spike_backward_substitution_kernelILj256ELj64EfEEviiiPT1_PKS1_S4_,comdat
.Lfunc_end67:
	.size	_ZN9rocsparseL39gtsv_spike_backward_substitution_kernelILj256ELj64EfEEviiiPT1_PKS1_S4_, .Lfunc_end67-_ZN9rocsparseL39gtsv_spike_backward_substitution_kernelILj256ELj64EfEEviiiPT1_PKS1_S4_
                                        ; -- End function
	.set _ZN9rocsparseL39gtsv_spike_backward_substitution_kernelILj256ELj64EfEEviiiPT1_PKS1_S4_.num_vgpr, 24
	.set _ZN9rocsparseL39gtsv_spike_backward_substitution_kernelILj256ELj64EfEEviiiPT1_PKS1_S4_.num_agpr, 0
	.set _ZN9rocsparseL39gtsv_spike_backward_substitution_kernelILj256ELj64EfEEviiiPT1_PKS1_S4_.numbered_sgpr, 13
	.set _ZN9rocsparseL39gtsv_spike_backward_substitution_kernelILj256ELj64EfEEviiiPT1_PKS1_S4_.num_named_barrier, 0
	.set _ZN9rocsparseL39gtsv_spike_backward_substitution_kernelILj256ELj64EfEEviiiPT1_PKS1_S4_.private_seg_size, 0
	.set _ZN9rocsparseL39gtsv_spike_backward_substitution_kernelILj256ELj64EfEEviiiPT1_PKS1_S4_.uses_vcc, 1
	.set _ZN9rocsparseL39gtsv_spike_backward_substitution_kernelILj256ELj64EfEEviiiPT1_PKS1_S4_.uses_flat_scratch, 0
	.set _ZN9rocsparseL39gtsv_spike_backward_substitution_kernelILj256ELj64EfEEviiiPT1_PKS1_S4_.has_dyn_sized_stack, 0
	.set _ZN9rocsparseL39gtsv_spike_backward_substitution_kernelILj256ELj64EfEEviiiPT1_PKS1_S4_.has_recursion, 0
	.set _ZN9rocsparseL39gtsv_spike_backward_substitution_kernelILj256ELj64EfEEviiiPT1_PKS1_S4_.has_indirect_call, 0
	.section	.AMDGPU.csdata,"",@progbits
; Kernel info:
; codeLenInByte = 504
; TotalNumSgprs: 17
; NumVgprs: 24
; ScratchSize: 0
; MemoryBound: 0
; FloatMode: 240
; IeeeMode: 1
; LDSByteSize: 0 bytes/workgroup (compile time only)
; SGPRBlocks: 2
; VGPRBlocks: 5
; NumSGPRsForWavesPerEU: 17
; NumVGPRsForWavesPerEU: 24
; Occupancy: 10
; WaveLimiterHint : 0
; COMPUTE_PGM_RSRC2:SCRATCH_EN: 0
; COMPUTE_PGM_RSRC2:USER_SGPR: 6
; COMPUTE_PGM_RSRC2:TRAP_HANDLER: 0
; COMPUTE_PGM_RSRC2:TGID_X_EN: 1
; COMPUTE_PGM_RSRC2:TGID_Y_EN: 1
; COMPUTE_PGM_RSRC2:TGID_Z_EN: 0
; COMPUTE_PGM_RSRC2:TIDIG_COMP_CNT: 0
	.section	.text._ZN9rocsparseL32gtsv_transpose_back_array_kernelILj256ELj64EfEEviiiPKT1_PS1_,"axG",@progbits,_ZN9rocsparseL32gtsv_transpose_back_array_kernelILj256ELj64EfEEviiiPKT1_PS1_,comdat
	.globl	_ZN9rocsparseL32gtsv_transpose_back_array_kernelILj256ELj64EfEEviiiPKT1_PS1_ ; -- Begin function _ZN9rocsparseL32gtsv_transpose_back_array_kernelILj256ELj64EfEEviiiPKT1_PS1_
	.p2align	8
	.type	_ZN9rocsparseL32gtsv_transpose_back_array_kernelILj256ELj64EfEEviiiPKT1_PS1_,@function
_ZN9rocsparseL32gtsv_transpose_back_array_kernelILj256ELj64EfEEviiiPKT1_PS1_: ; @_ZN9rocsparseL32gtsv_transpose_back_array_kernelILj256ELj64EfEEviiiPKT1_PS1_
; %bb.0:
	s_load_dwordx4 s[0:3], s[4:5], 0x0
	v_lshl_or_b32 v0, s6, 8, v0
	v_lshlrev_b32_e32 v3, 6, v0
	s_waitcnt lgkmcnt(0)
	v_cvt_f32_u32_e32 v1, s1
	s_sub_i32 s3, 0, s1
	v_rcp_iflag_f32_e32 v1, v1
	v_mul_f32_e32 v1, 0x4f7ffffe, v1
	v_cvt_u32_f32_e32 v1, v1
	v_mul_lo_u32 v2, s3, v1
	v_mul_hi_u32 v2, v1, v2
	v_add_u32_e32 v1, v1, v2
	v_mul_hi_u32 v1, v3, v1
	v_mul_lo_u32 v2, v1, s1
	v_add_u32_e32 v4, 1, v1
	v_sub_u32_e32 v2, v3, v2
	v_cmp_le_u32_e32 vcc, s1, v2
	v_cndmask_b32_e32 v1, v1, v4, vcc
	v_subrev_u32_e32 v4, s1, v2
	v_cndmask_b32_e32 v2, v2, v4, vcc
	v_add_u32_e32 v4, 1, v1
	v_cmp_le_u32_e32 vcc, s1, v2
	v_cndmask_b32_e32 v1, v1, v4, vcc
	v_mul_lo_u32 v2, v1, s1
	v_sub_u32_e32 v2, v3, v2
	v_add_u32_e32 v1, v1, v2
	v_cmp_gt_i32_e32 vcc, s0, v1
	s_and_saveexec_b64 s[8:9], vcc
	s_cbranch_execz .LBB68_2
; %bb.1:
	s_load_dwordx4 s[8:11], s[4:5], 0x10
	s_mul_i32 s0, s1, s7
	v_add_u32_e32 v2, s0, v0
	v_ashrrev_i32_e32 v3, 31, v2
	v_lshlrev_b64 v[2:3], 2, v[2:3]
	s_waitcnt lgkmcnt(0)
	v_mov_b32_e32 v0, s9
	v_add_co_u32_e32 v2, vcc, s8, v2
	v_addc_co_u32_e32 v3, vcc, v0, v3, vcc
	global_load_dword v2, v[2:3], off
	s_mul_i32 s0, s2, s7
	v_add_u32_e32 v0, s0, v1
	v_ashrrev_i32_e32 v1, 31, v0
	v_lshlrev_b64 v[0:1], 2, v[0:1]
	v_mov_b32_e32 v3, s11
	v_add_co_u32_e32 v0, vcc, s10, v0
	v_addc_co_u32_e32 v1, vcc, v3, v1, vcc
	s_waitcnt vmcnt(0)
	global_store_dword v[0:1], v2, off
.LBB68_2:
	s_endpgm
	.section	.rodata,"a",@progbits
	.p2align	6, 0x0
	.amdhsa_kernel _ZN9rocsparseL32gtsv_transpose_back_array_kernelILj256ELj64EfEEviiiPKT1_PS1_
		.amdhsa_group_segment_fixed_size 0
		.amdhsa_private_segment_fixed_size 0
		.amdhsa_kernarg_size 32
		.amdhsa_user_sgpr_count 6
		.amdhsa_user_sgpr_private_segment_buffer 1
		.amdhsa_user_sgpr_dispatch_ptr 0
		.amdhsa_user_sgpr_queue_ptr 0
		.amdhsa_user_sgpr_kernarg_segment_ptr 1
		.amdhsa_user_sgpr_dispatch_id 0
		.amdhsa_user_sgpr_flat_scratch_init 0
		.amdhsa_user_sgpr_private_segment_size 0
		.amdhsa_uses_dynamic_stack 0
		.amdhsa_system_sgpr_private_segment_wavefront_offset 0
		.amdhsa_system_sgpr_workgroup_id_x 1
		.amdhsa_system_sgpr_workgroup_id_y 1
		.amdhsa_system_sgpr_workgroup_id_z 0
		.amdhsa_system_sgpr_workgroup_info 0
		.amdhsa_system_vgpr_workitem_id 0
		.amdhsa_next_free_vgpr 5
		.amdhsa_next_free_sgpr 12
		.amdhsa_reserve_vcc 1
		.amdhsa_reserve_flat_scratch 0
		.amdhsa_float_round_mode_32 0
		.amdhsa_float_round_mode_16_64 0
		.amdhsa_float_denorm_mode_32 3
		.amdhsa_float_denorm_mode_16_64 3
		.amdhsa_dx10_clamp 1
		.amdhsa_ieee_mode 1
		.amdhsa_fp16_overflow 0
		.amdhsa_exception_fp_ieee_invalid_op 0
		.amdhsa_exception_fp_denorm_src 0
		.amdhsa_exception_fp_ieee_div_zero 0
		.amdhsa_exception_fp_ieee_overflow 0
		.amdhsa_exception_fp_ieee_underflow 0
		.amdhsa_exception_fp_ieee_inexact 0
		.amdhsa_exception_int_div_zero 0
	.end_amdhsa_kernel
	.section	.text._ZN9rocsparseL32gtsv_transpose_back_array_kernelILj256ELj64EfEEviiiPKT1_PS1_,"axG",@progbits,_ZN9rocsparseL32gtsv_transpose_back_array_kernelILj256ELj64EfEEviiiPKT1_PS1_,comdat
.Lfunc_end68:
	.size	_ZN9rocsparseL32gtsv_transpose_back_array_kernelILj256ELj64EfEEviiiPKT1_PS1_, .Lfunc_end68-_ZN9rocsparseL32gtsv_transpose_back_array_kernelILj256ELj64EfEEviiiPKT1_PS1_
                                        ; -- End function
	.set _ZN9rocsparseL32gtsv_transpose_back_array_kernelILj256ELj64EfEEviiiPKT1_PS1_.num_vgpr, 5
	.set _ZN9rocsparseL32gtsv_transpose_back_array_kernelILj256ELj64EfEEviiiPKT1_PS1_.num_agpr, 0
	.set _ZN9rocsparseL32gtsv_transpose_back_array_kernelILj256ELj64EfEEviiiPKT1_PS1_.numbered_sgpr, 12
	.set _ZN9rocsparseL32gtsv_transpose_back_array_kernelILj256ELj64EfEEviiiPKT1_PS1_.num_named_barrier, 0
	.set _ZN9rocsparseL32gtsv_transpose_back_array_kernelILj256ELj64EfEEviiiPKT1_PS1_.private_seg_size, 0
	.set _ZN9rocsparseL32gtsv_transpose_back_array_kernelILj256ELj64EfEEviiiPKT1_PS1_.uses_vcc, 1
	.set _ZN9rocsparseL32gtsv_transpose_back_array_kernelILj256ELj64EfEEviiiPKT1_PS1_.uses_flat_scratch, 0
	.set _ZN9rocsparseL32gtsv_transpose_back_array_kernelILj256ELj64EfEEviiiPKT1_PS1_.has_dyn_sized_stack, 0
	.set _ZN9rocsparseL32gtsv_transpose_back_array_kernelILj256ELj64EfEEviiiPKT1_PS1_.has_recursion, 0
	.set _ZN9rocsparseL32gtsv_transpose_back_array_kernelILj256ELj64EfEEviiiPKT1_PS1_.has_indirect_call, 0
	.section	.AMDGPU.csdata,"",@progbits
; Kernel info:
; codeLenInByte = 248
; TotalNumSgprs: 16
; NumVgprs: 5
; ScratchSize: 0
; MemoryBound: 0
; FloatMode: 240
; IeeeMode: 1
; LDSByteSize: 0 bytes/workgroup (compile time only)
; SGPRBlocks: 1
; VGPRBlocks: 1
; NumSGPRsForWavesPerEU: 16
; NumVGPRsForWavesPerEU: 5
; Occupancy: 10
; WaveLimiterHint : 0
; COMPUTE_PGM_RSRC2:SCRATCH_EN: 0
; COMPUTE_PGM_RSRC2:USER_SGPR: 6
; COMPUTE_PGM_RSRC2:TRAP_HANDLER: 0
; COMPUTE_PGM_RSRC2:TGID_X_EN: 1
; COMPUTE_PGM_RSRC2:TGID_Y_EN: 1
; COMPUTE_PGM_RSRC2:TGID_Z_EN: 0
; COMPUTE_PGM_RSRC2:TIDIG_COMP_CNT: 0
	.section	.text._ZN9rocsparseL42gtsv_transpose_and_pad_array_shared_kernelILj256ELj128EfEEviiiPKT1_PS1_S1_,"axG",@progbits,_ZN9rocsparseL42gtsv_transpose_and_pad_array_shared_kernelILj256ELj128EfEEviiiPKT1_PS1_S1_,comdat
	.globl	_ZN9rocsparseL42gtsv_transpose_and_pad_array_shared_kernelILj256ELj128EfEEviiiPKT1_PS1_S1_ ; -- Begin function _ZN9rocsparseL42gtsv_transpose_and_pad_array_shared_kernelILj256ELj128EfEEviiiPKT1_PS1_S1_
	.p2align	8
	.type	_ZN9rocsparseL42gtsv_transpose_and_pad_array_shared_kernelILj256ELj128EfEEviiiPKT1_PS1_S1_,@function
_ZN9rocsparseL42gtsv_transpose_and_pad_array_shared_kernelILj256ELj128EfEEviiiPKT1_PS1_S1_: ; @_ZN9rocsparseL42gtsv_transpose_and_pad_array_shared_kernelILj256ELj128EfEEviiiPKT1_PS1_S1_
; %bb.0:
	s_load_dwordx4 s[0:3], s[4:5], 0x0
	s_waitcnt lgkmcnt(0)
	s_load_dword s3, s[4:5], 0x20
	v_lshl_or_b32 v2, s6, 8, v0
	v_cmp_gt_i32_e32 vcc, s0, v2
	s_waitcnt lgkmcnt(0)
	v_mov_b32_e32 v1, s3
	s_and_saveexec_b64 s[8:9], vcc
	s_cbranch_execz .LBB69_2
; %bb.1:
	s_load_dwordx2 s[10:11], s[4:5], 0x10
	s_mul_i32 s0, s2, s7
	v_add_u32_e32 v1, s0, v2
	v_ashrrev_i32_e32 v2, 31, v1
	v_lshlrev_b64 v[1:2], 2, v[1:2]
	s_waitcnt lgkmcnt(0)
	v_mov_b32_e32 v3, s11
	v_add_co_u32_e32 v1, vcc, s10, v1
	v_addc_co_u32_e32 v2, vcc, v3, v2, vcc
	global_load_dword v1, v[1:2], off
.LBB69_2:
	s_or_b64 exec, exec, s[8:9]
	v_lshrrev_b32_e32 v2, 1, v0
	v_and_b32_e32 v3, 1, v0
	v_lshlrev_b32_e32 v0, 2, v0
	s_waitcnt vmcnt(0)
	ds_write_b32 v0, v1
	s_lshr_b32 s0, s1, 7
	v_lshl_or_b32 v0, s6, 1, v3
	v_mad_u64_u32 v[0:1], s[2:3], s0, v2, v[0:1]
	s_waitcnt lgkmcnt(0)
	s_barrier
	v_cmp_gt_i32_e32 vcc, s1, v0
	s_and_saveexec_b64 s[2:3], vcc
	s_cbranch_execz .LBB69_4
; %bb.3:
	s_load_dwordx2 s[2:3], s[4:5], 0x18
	v_lshlrev_b32_e32 v1, 2, v2
	s_mul_i32 s0, s1, s7
	v_lshl_or_b32 v1, v3, 9, v1
	v_add_u32_e32 v0, s0, v0
	ds_read_b32 v2, v1
	v_ashrrev_i32_e32 v1, 31, v0
	v_lshlrev_b64 v[0:1], 2, v[0:1]
	s_waitcnt lgkmcnt(0)
	v_mov_b32_e32 v3, s3
	v_add_co_u32_e32 v0, vcc, s2, v0
	v_addc_co_u32_e32 v1, vcc, v3, v1, vcc
	global_store_dword v[0:1], v2, off
.LBB69_4:
	s_endpgm
	.section	.rodata,"a",@progbits
	.p2align	6, 0x0
	.amdhsa_kernel _ZN9rocsparseL42gtsv_transpose_and_pad_array_shared_kernelILj256ELj128EfEEviiiPKT1_PS1_S1_
		.amdhsa_group_segment_fixed_size 1024
		.amdhsa_private_segment_fixed_size 0
		.amdhsa_kernarg_size 36
		.amdhsa_user_sgpr_count 6
		.amdhsa_user_sgpr_private_segment_buffer 1
		.amdhsa_user_sgpr_dispatch_ptr 0
		.amdhsa_user_sgpr_queue_ptr 0
		.amdhsa_user_sgpr_kernarg_segment_ptr 1
		.amdhsa_user_sgpr_dispatch_id 0
		.amdhsa_user_sgpr_flat_scratch_init 0
		.amdhsa_user_sgpr_private_segment_size 0
		.amdhsa_uses_dynamic_stack 0
		.amdhsa_system_sgpr_private_segment_wavefront_offset 0
		.amdhsa_system_sgpr_workgroup_id_x 1
		.amdhsa_system_sgpr_workgroup_id_y 1
		.amdhsa_system_sgpr_workgroup_id_z 0
		.amdhsa_system_sgpr_workgroup_info 0
		.amdhsa_system_vgpr_workitem_id 0
		.amdhsa_next_free_vgpr 4
		.amdhsa_next_free_sgpr 12
		.amdhsa_reserve_vcc 1
		.amdhsa_reserve_flat_scratch 0
		.amdhsa_float_round_mode_32 0
		.amdhsa_float_round_mode_16_64 0
		.amdhsa_float_denorm_mode_32 3
		.amdhsa_float_denorm_mode_16_64 3
		.amdhsa_dx10_clamp 1
		.amdhsa_ieee_mode 1
		.amdhsa_fp16_overflow 0
		.amdhsa_exception_fp_ieee_invalid_op 0
		.amdhsa_exception_fp_denorm_src 0
		.amdhsa_exception_fp_ieee_div_zero 0
		.amdhsa_exception_fp_ieee_overflow 0
		.amdhsa_exception_fp_ieee_underflow 0
		.amdhsa_exception_fp_ieee_inexact 0
		.amdhsa_exception_int_div_zero 0
	.end_amdhsa_kernel
	.section	.text._ZN9rocsparseL42gtsv_transpose_and_pad_array_shared_kernelILj256ELj128EfEEviiiPKT1_PS1_S1_,"axG",@progbits,_ZN9rocsparseL42gtsv_transpose_and_pad_array_shared_kernelILj256ELj128EfEEviiiPKT1_PS1_S1_,comdat
.Lfunc_end69:
	.size	_ZN9rocsparseL42gtsv_transpose_and_pad_array_shared_kernelILj256ELj128EfEEviiiPKT1_PS1_S1_, .Lfunc_end69-_ZN9rocsparseL42gtsv_transpose_and_pad_array_shared_kernelILj256ELj128EfEEviiiPKT1_PS1_S1_
                                        ; -- End function
	.set _ZN9rocsparseL42gtsv_transpose_and_pad_array_shared_kernelILj256ELj128EfEEviiiPKT1_PS1_S1_.num_vgpr, 4
	.set _ZN9rocsparseL42gtsv_transpose_and_pad_array_shared_kernelILj256ELj128EfEEviiiPKT1_PS1_S1_.num_agpr, 0
	.set _ZN9rocsparseL42gtsv_transpose_and_pad_array_shared_kernelILj256ELj128EfEEviiiPKT1_PS1_S1_.numbered_sgpr, 12
	.set _ZN9rocsparseL42gtsv_transpose_and_pad_array_shared_kernelILj256ELj128EfEEviiiPKT1_PS1_S1_.num_named_barrier, 0
	.set _ZN9rocsparseL42gtsv_transpose_and_pad_array_shared_kernelILj256ELj128EfEEviiiPKT1_PS1_S1_.private_seg_size, 0
	.set _ZN9rocsparseL42gtsv_transpose_and_pad_array_shared_kernelILj256ELj128EfEEviiiPKT1_PS1_S1_.uses_vcc, 1
	.set _ZN9rocsparseL42gtsv_transpose_and_pad_array_shared_kernelILj256ELj128EfEEviiiPKT1_PS1_S1_.uses_flat_scratch, 0
	.set _ZN9rocsparseL42gtsv_transpose_and_pad_array_shared_kernelILj256ELj128EfEEviiiPKT1_PS1_S1_.has_dyn_sized_stack, 0
	.set _ZN9rocsparseL42gtsv_transpose_and_pad_array_shared_kernelILj256ELj128EfEEviiiPKT1_PS1_S1_.has_recursion, 0
	.set _ZN9rocsparseL42gtsv_transpose_and_pad_array_shared_kernelILj256ELj128EfEEviiiPKT1_PS1_S1_.has_indirect_call, 0
	.section	.AMDGPU.csdata,"",@progbits
; Kernel info:
; codeLenInByte = 244
; TotalNumSgprs: 16
; NumVgprs: 4
; ScratchSize: 0
; MemoryBound: 0
; FloatMode: 240
; IeeeMode: 1
; LDSByteSize: 1024 bytes/workgroup (compile time only)
; SGPRBlocks: 1
; VGPRBlocks: 0
; NumSGPRsForWavesPerEU: 16
; NumVGPRsForWavesPerEU: 4
; Occupancy: 10
; WaveLimiterHint : 0
; COMPUTE_PGM_RSRC2:SCRATCH_EN: 0
; COMPUTE_PGM_RSRC2:USER_SGPR: 6
; COMPUTE_PGM_RSRC2:TRAP_HANDLER: 0
; COMPUTE_PGM_RSRC2:TGID_X_EN: 1
; COMPUTE_PGM_RSRC2:TGID_Y_EN: 1
; COMPUTE_PGM_RSRC2:TGID_Z_EN: 0
; COMPUTE_PGM_RSRC2:TIDIG_COMP_CNT: 0
	.section	.text._ZN9rocsparseL18gtsv_LBM_wv_kernelILj256ELj128EfEEviiiPKT1_S3_S3_PS1_S4_S4_Pi,"axG",@progbits,_ZN9rocsparseL18gtsv_LBM_wv_kernelILj256ELj128EfEEviiiPKT1_S3_S3_PS1_S4_S4_Pi,comdat
	.globl	_ZN9rocsparseL18gtsv_LBM_wv_kernelILj256ELj128EfEEviiiPKT1_S3_S3_PS1_S4_S4_Pi ; -- Begin function _ZN9rocsparseL18gtsv_LBM_wv_kernelILj256ELj128EfEEviiiPKT1_S3_S3_PS1_S4_S4_Pi
	.p2align	8
	.type	_ZN9rocsparseL18gtsv_LBM_wv_kernelILj256ELj128EfEEviiiPKT1_S3_S3_PS1_S4_S4_Pi,@function
_ZN9rocsparseL18gtsv_LBM_wv_kernelILj256ELj128EfEEviiiPKT1_S3_S3_PS1_S4_S4_Pi: ; @_ZN9rocsparseL18gtsv_LBM_wv_kernelILj256ELj128EfEEviiiPKT1_S3_S3_PS1_S4_S4_Pi
; %bb.0:
	s_load_dword s27, s[4:5], 0x0
	v_lshl_or_b32 v0, s6, 8, v0
	s_waitcnt lgkmcnt(0)
	s_lshr_b32 s26, s27, 7
	v_cmp_gt_i32_e32 vcc, s26, v0
	s_and_saveexec_b64 s[0:1], vcc
	s_cbranch_execz .LBB70_30
; %bb.1:
	s_load_dwordx2 s[16:17], s[4:5], 0x10
	s_load_dwordx8 s[8:15], s[4:5], 0x20
	v_ashrrev_i32_e32 v1, 31, v0
	v_lshlrev_b64 v[4:5], 2, v[0:1]
	s_mul_i32 s28, s26, 0x7f
	s_waitcnt lgkmcnt(0)
	v_mov_b32_e32 v2, s17
	v_add_co_u32_e32 v1, vcc, s16, v4
	v_addc_co_u32_e32 v2, vcc, v2, v5, vcc
	global_load_dword v8, v[1:2], off
	v_add_u32_e32 v2, s28, v0
	v_mov_b32_e32 v3, 0
	v_lshlrev_b64 v[6:7], 2, v[2:3]
	v_mov_b32_e32 v2, s9
	v_add_co_u32_e32 v1, vcc, s8, v6
	v_addc_co_u32_e32 v2, vcc, v2, v7, vcc
	global_load_dword v9, v[1:2], off
	s_load_dwordx2 s[6:7], s[4:5], 0x40
	v_mov_b32_e32 v2, s11
	v_add_co_u32_e32 v1, vcc, s10, v4
	v_addc_co_u32_e32 v2, vcc, v2, v5, vcc
	s_cmp_lt_i32 s27, 1
	v_add_u32_e32 v10, s26, v0
	v_mov_b32_e32 v11, s13
	v_add_co_u32_e32 v6, vcc, s12, v6
	v_addc_co_u32_e32 v7, vcc, v11, v7, vcc
	s_waitcnt vmcnt(1)
	global_store_dword v[1:2], v8, off
	s_waitcnt vmcnt(1)
	global_store_dword v[6:7], v9, off
	s_cbranch_scc1 .LBB70_23
; %bb.2:
	s_load_dwordx2 s[18:19], s[4:5], 0x18
	s_mov_b32 s22, 0x372fe950
	s_mul_i32 s29, s26, 0x7e
	s_lshl_b32 s30, s26, 1
	v_add_u32_e32 v11, s26, v10
	s_waitcnt lgkmcnt(0)
	v_mov_b32_e32 v6, s19
	v_add_co_u32_e32 v3, vcc, s18, v4
	v_addc_co_u32_e32 v4, vcc, v6, v5, vcc
	global_load_dword v15, v[3:4], off
	v_mov_b32_e32 v3, 0
	s_mov_b64 s[20:21], 0
	s_mov_b32 s23, 0x3fe3c6ef
	v_mov_b32_e32 v12, 2
	v_mov_b32_e32 v13, 1
	;; [unrolled: 1-line block ×3, first 2 shown]
	s_branch .LBB70_5
.LBB70_3:                               ;   in Loop: Header=BB70_5 Depth=1
	s_or_b64 exec, exec, s[4:5]
	v_fma_f32 v15, -v5, v7, v17
	v_mov_b32_e32 v4, s26
.LBB70_4:                               ;   in Loop: Header=BB70_5 Depth=1
	s_or_b64 exec, exec, s[2:3]
	v_add_u32_e32 v3, v4, v3
	v_cmp_le_i32_e32 vcc, s27, v3
	s_or_b64 s[20:21], vcc, s[20:21]
	s_andn2_b64 exec, exec, s[20:21]
	s_cbranch_execz .LBB70_22
.LBB70_5:                               ; =>This Inner Loop Header: Depth=1
	v_add_u32_e32 v4, v3, v0
	v_ashrrev_i32_e32 v5, 31, v4
	v_lshlrev_b64 v[5:6], 2, v[4:5]
	v_cmp_gt_u32_e64 s[0:1], s28, v3
	v_add_co_u32_e32 v7, vcc, s8, v5
	v_addc_co_u32_e32 v8, vcc, v14, v6, vcc
	global_load_dword v18, v[7:8], off
	v_mov_b32_e32 v16, 0
	s_and_saveexec_b64 s[2:3], s[0:1]
	s_cbranch_execz .LBB70_7
; %bb.6:                                ;   in Loop: Header=BB70_5 Depth=1
	v_add_u32_e32 v7, v10, v3
	v_ashrrev_i32_e32 v8, 31, v7
	v_lshlrev_b64 v[7:8], 2, v[7:8]
	v_mov_b32_e32 v4, s17
	v_add_co_u32_e32 v7, vcc, s16, v7
	v_addc_co_u32_e32 v8, vcc, v4, v8, vcc
	global_load_dword v16, v[7:8], off
.LBB70_7:                               ;   in Loop: Header=BB70_5 Depth=1
	s_or_b64 exec, exec, s[2:3]
	v_mov_b32_e32 v19, 0
	v_mov_b32_e32 v17, 0
	s_and_saveexec_b64 s[2:3], s[0:1]
	s_cbranch_execz .LBB70_9
; %bb.8:                                ;   in Loop: Header=BB70_5 Depth=1
	v_add_u32_e32 v7, v10, v3
	v_ashrrev_i32_e32 v8, 31, v7
	v_lshlrev_b64 v[7:8], 2, v[7:8]
	v_mov_b32_e32 v4, s19
	v_add_co_u32_e32 v7, vcc, s18, v7
	v_addc_co_u32_e32 v8, vcc, v4, v8, vcc
	global_load_dword v17, v[7:8], off
.LBB70_9:                               ;   in Loop: Header=BB70_5 Depth=1
	s_or_b64 exec, exec, s[2:3]
	s_and_saveexec_b64 s[2:3], s[0:1]
	s_cbranch_execz .LBB70_11
; %bb.10:                               ;   in Loop: Header=BB70_5 Depth=1
	v_add_u32_e32 v7, v10, v3
	v_ashrrev_i32_e32 v8, 31, v7
	v_lshlrev_b64 v[7:8], 2, v[7:8]
	v_mov_b32_e32 v4, s9
	v_add_co_u32_e32 v7, vcc, s8, v7
	v_addc_co_u32_e32 v8, vcc, v4, v8, vcc
	global_load_dword v19, v[7:8], off
.LBB70_11:                              ;   in Loop: Header=BB70_5 Depth=1
	s_or_b64 exec, exec, s[2:3]
	v_cmp_gt_u32_e64 s[2:3], s29, v3
	v_mov_b32_e32 v20, 0
	s_and_saveexec_b64 s[4:5], s[2:3]
	s_cbranch_execz .LBB70_13
; %bb.12:                               ;   in Loop: Header=BB70_5 Depth=1
	v_add_u32_e32 v7, v11, v3
	v_ashrrev_i32_e32 v8, 31, v7
	v_lshlrev_b64 v[7:8], 2, v[7:8]
	v_mov_b32_e32 v4, s17
	v_add_co_u32_e32 v7, vcc, s16, v7
	v_addc_co_u32_e32 v8, vcc, v4, v8, vcc
	global_load_dword v20, v[7:8], off
.LBB70_13:                              ;   in Loop: Header=BB70_5 Depth=1
	s_or_b64 exec, exec, s[4:5]
	s_waitcnt vmcnt(0)
	v_cmp_gt_f32_e32 vcc, 0, v16
	v_cndmask_b32_e64 v4, v16, -v16, vcc
	v_cmp_gt_f32_e32 vcc, 0, v20
	v_cndmask_b32_e64 v7, v20, -v20, vcc
	v_cmp_lt_f32_e32 vcc, v4, v7
	v_cndmask_b32_e32 v4, v4, v7, vcc
	v_cmp_gt_f32_e32 vcc, 0, v17
	v_cndmask_b32_e64 v7, v17, -v17, vcc
	v_cmp_lt_f32_e32 vcc, v7, v4
	v_cndmask_b32_e32 v4, v7, v4, vcc
	;; [unrolled: 4-line block ×4, first 2 shown]
	v_cmp_gt_f32_e32 vcc, 0, v15
	v_cvt_f64_f32_e32 v[7:8], v4
	v_cndmask_b32_e64 v4, v15, -v15, vcc
	v_cvt_f64_f32_e32 v[21:22], v4
	v_cmp_ne_u32_e64 s[4:5], s28, v3
	v_mul_f64 v[8:9], v[21:22], v[7:8]
	v_mul_f32_e32 v7, v18, v16
	v_cmp_gt_f32_e32 vcc, 0, v7
	v_cndmask_b32_e64 v4, v7, -v7, vcc
	v_cvt_f64_f32_e32 v[21:22], v4
	v_mul_f64 v[21:22], v[21:22], s[22:23]
	v_cmp_nge_f64_e32 vcc, v[8:9], v[21:22]
	s_and_b64 s[4:5], s[4:5], vcc
	s_and_saveexec_b64 s[24:25], s[4:5]
	s_xor_b64 s[4:5], exec, s[24:25]
	s_cbranch_execz .LBB70_19
; %bb.14:                               ;   in Loop: Header=BB70_5 Depth=1
	v_mov_b32_e32 v4, s13
	v_add_co_u32_e32 v25, vcc, s12, v5
	v_addc_co_u32_e32 v26, vcc, v4, v6, vcc
	v_mov_b32_e32 v4, s15
	v_add_co_u32_e32 v8, vcc, s14, v5
	v_addc_co_u32_e32 v9, vcc, v4, v6, vcc
	;; [unrolled: 3-line block ×3, first 2 shown]
	v_fma_f32 v4, v15, v17, -v7
	v_div_scale_f32 v5, s[24:25], v4, v4, 1.0
	v_rcp_f32_e32 v6, v5
	v_fma_f32 v7, -v5, v6, 1.0
	v_fmac_f32_e32 v6, v7, v6
	v_div_scale_f32 v7, vcc, 1.0, v4, 1.0
	v_mul_f32_e32 v21, v7, v6
	v_fma_f32 v22, -v5, v21, v7
	v_fmac_f32_e32 v21, v22, v6
	v_fma_f32 v5, -v5, v21, v7
	v_div_fmas_f32 v5, v5, v6, v21
	v_mov_b32_e32 v7, s11
	v_div_fixup_f32 v21, v5, v4, 1.0
	v_mul_f32_e64 v4, v19, -v18
	v_mul_f32_e32 v4, v21, v4
	global_store_dword v[8:9], v4, off
	v_ashrrev_i32_e32 v4, 31, v3
	v_lshlrev_b64 v[4:5], 2, v[3:4]
	v_add_co_u32_e32 v8, vcc, v1, v4
	v_add_u32_e32 v4, v10, v3
	v_addc_co_u32_e32 v9, vcc, v2, v5, vcc
	v_ashrrev_i32_e32 v5, 31, v4
	v_lshlrev_b64 v[4:5], 2, v[4:5]
	v_add_co_u32_e32 v6, vcc, s10, v4
	v_addc_co_u32_e32 v7, vcc, v7, v5, vcc
	global_load_dword v23, v[6:7], off
	global_load_dword v22, v[8:9], off
	s_waitcnt vmcnt(1)
	v_mul_f32_e32 v24, v18, v23
	s_waitcnt vmcnt(0)
	v_fma_f32 v24, v17, v22, -v24
	v_mul_f32_e32 v24, v21, v24
	global_store_dword v[8:9], v24, off
	v_mov_b32_e32 v9, s13
	v_add_co_u32_e32 v8, vcc, s12, v4
	v_addc_co_u32_e32 v9, vcc, v9, v5, vcc
	global_load_dword v24, v[8:9], off
	s_waitcnt vmcnt(0)
	v_mul_f32_e32 v29, v18, v24
	global_load_dword v18, v[25:26], off
	s_waitcnt vmcnt(0)
	v_fma_f32 v17, v17, v18, -v29
	v_mul_f32_e32 v17, v21, v17
	global_store_dword v[25:26], v17, off
	global_store_dword v[27:28], v12, off
	s_and_saveexec_b64 s[24:25], s[0:1]
	s_cbranch_execz .LBB70_16
; %bb.15:                               ;   in Loop: Header=BB70_5 Depth=1
	v_mul_f32_e32 v17, v16, v22
	v_fma_f32 v17, v15, v23, -v17
	v_mul_f32_e32 v17, v21, v17
	global_store_dword v[6:7], v17, off
	v_mul_f32_e32 v6, v16, v18
	v_fma_f32 v6, v15, v24, -v6
	v_mul_f32_e32 v6, v21, v6
	global_store_dword v[8:9], v6, off
	v_mul_f32_e32 v6, v15, v19
	v_mul_f32_e32 v8, v21, v6
	v_mov_b32_e32 v7, s15
	v_add_co_u32_e32 v6, vcc, s14, v4
	v_addc_co_u32_e32 v7, vcc, v7, v5, vcc
	global_store_dword v[6:7], v8, off
	v_mov_b32_e32 v6, s7
	v_add_co_u32_e32 v4, vcc, s6, v4
	v_addc_co_u32_e32 v5, vcc, v6, v5, vcc
	global_store_dword v[4:5], v12, off
.LBB70_16:                              ;   in Loop: Header=BB70_5 Depth=1
	s_or_b64 exec, exec, s[24:25]
	v_mov_b32_e32 v4, 0
	s_and_saveexec_b64 s[24:25], s[2:3]
	s_cbranch_execz .LBB70_18
; %bb.17:                               ;   in Loop: Header=BB70_5 Depth=1
	v_add_u32_e32 v4, v11, v3
	v_ashrrev_i32_e32 v5, 31, v4
	v_lshlrev_b64 v[4:5], 2, v[4:5]
	v_mov_b32_e32 v7, s11
	v_add_co_u32_e32 v6, vcc, s10, v4
	v_addc_co_u32_e32 v7, vcc, v7, v5, vcc
	v_mov_b32_e32 v9, s19
	v_add_co_u32_e32 v4, vcc, s18, v4
	v_addc_co_u32_e32 v5, vcc, v9, v5, vcc
	global_load_dword v8, v[6:7], off
	v_mul_f32_e32 v9, v15, v20
	global_load_dword v4, v[4:5], off
	v_mul_f32_e32 v5, v20, v16
	v_mul_f32_e32 v15, v21, v9
	;; [unrolled: 1-line block ×5, first 2 shown]
	v_fma_f32 v5, v5, v22, -v15
	s_waitcnt vmcnt(1)
	v_add_f32_e32 v5, v5, v8
	global_store_dword v[6:7], v5, off
	s_waitcnt vmcnt(1)
	v_fma_f32 v4, -v21, v9, v4
.LBB70_18:                              ;   in Loop: Header=BB70_5 Depth=1
	s_or_b64 exec, exec, s[24:25]
	v_mov_b32_e32 v15, v4
                                        ; implicit-def: $vgpr7
                                        ; implicit-def: $vgpr17
                                        ; implicit-def: $vgpr18
                                        ; implicit-def: $vgpr5_vgpr6
                                        ; implicit-def: $vgpr16
.LBB70_19:                              ;   in Loop: Header=BB70_5 Depth=1
	s_or_saveexec_b64 s[2:3], s[4:5]
	v_mov_b32_e32 v4, s30
	s_xor_b64 exec, exec, s[2:3]
	s_cbranch_execz .LBB70_4
; %bb.20:                               ;   in Loop: Header=BB70_5 Depth=1
	v_ashrrev_i32_e32 v4, 31, v3
	v_lshlrev_b64 v[8:9], 2, v[3:4]
	v_mov_b32_e32 v4, s13
	v_add_co_u32_e32 v19, vcc, s12, v5
	v_addc_co_u32_e32 v20, vcc, v4, v6, vcc
	v_add_co_u32_e32 v8, vcc, v1, v8
	global_load_dword v25, v[19:20], off
	v_addc_co_u32_e32 v9, vcc, v2, v9, vcc
	global_load_dword v4, v[8:9], off
	v_div_scale_f32 v21, s[4:5], v15, v15, 1.0
	v_div_scale_f32 v22, vcc, 1.0, v15, 1.0
	v_rcp_f32_e32 v23, v21
	v_fma_f32 v24, -v21, v23, 1.0
	v_fmac_f32_e32 v23, v24, v23
	v_mul_f32_e32 v24, v22, v23
	v_fma_f32 v26, -v21, v24, v22
	v_fmac_f32_e32 v24, v26, v23
	v_fma_f32 v21, -v21, v24, v22
	v_div_fmas_f32 v26, v21, v23, v24
	v_mov_b32_e32 v22, s15
	v_add_co_u32_e32 v21, vcc, s14, v5
	v_addc_co_u32_e32 v22, vcc, v22, v6, vcc
	v_mov_b32_e32 v24, s7
	v_add_co_u32_e32 v23, vcc, s6, v5
	v_addc_co_u32_e32 v24, vcc, v24, v6, vcc
	v_div_fixup_f32 v5, v26, v15, 1.0
	v_mul_f32_e32 v6, v5, v18
	global_store_dword v[21:22], v6, off
	s_waitcnt vmcnt(2)
	v_mul_f32_e32 v6, v5, v25
	global_store_dword v[19:20], v6, off
	s_waitcnt vmcnt(2)
	v_mul_f32_e32 v6, v5, v4
	global_store_dword v[8:9], v6, off
	global_store_dword v[23:24], v13, off
	s_and_saveexec_b64 s[4:5], s[0:1]
	s_cbranch_execz .LBB70_3
; %bb.21:                               ;   in Loop: Header=BB70_5 Depth=1
	v_add_u32_e32 v8, v10, v3
	v_ashrrev_i32_e32 v9, 31, v8
	v_lshlrev_b64 v[8:9], 2, v[8:9]
	v_mov_b32_e32 v6, s11
	v_add_co_u32_e32 v8, vcc, s10, v8
	v_addc_co_u32_e32 v9, vcc, v6, v9, vcc
	global_load_dword v6, v[8:9], off
	v_mul_f32_e32 v15, v16, v5
	s_waitcnt vmcnt(0)
	v_fma_f32 v4, -v15, v4, v6
	global_store_dword v[8:9], v4, off
	s_branch .LBB70_3
.LBB70_22:
	s_or_b64 exec, exec, s[20:21]
.LBB70_23:
	v_subrev_u32_e32 v5, s26, v3
	v_add_u32_e32 v3, v5, v0
	v_ashrrev_i32_e32 v4, 31, v3
	v_lshlrev_b64 v[3:4], 2, v[3:4]
	s_waitcnt lgkmcnt(0)
	v_mov_b32_e32 v6, s7
	v_add_co_u32_e32 v3, vcc, s6, v3
	v_addc_co_u32_e32 v4, vcc, v6, v4, vcc
	s_waitcnt vmcnt(0)
	buffer_wbinvl1_vol
	global_load_dword v3, v[3:4], off
	s_waitcnt vmcnt(0)
	v_mul_lo_u32 v3, v3, s26
	v_sub_u32_e32 v3, v5, v3
	v_cmp_lt_i32_e32 vcc, -1, v3
	s_and_b64 exec, exec, vcc
	s_cbranch_execz .LBB70_30
; %bb.24:
	v_subrev_u32_e32 v7, s26, v0
	s_lshl_b32 s4, s26, 1
	s_mov_b64 s[0:1], 0
	v_mov_b32_e32 v8, s7
	v_mov_b32_e32 v9, s15
	s_branch .LBB70_26
.LBB70_25:                              ;   in Loop: Header=BB70_26 Depth=1
	s_or_b64 exec, exec, s[2:3]
	v_sub_u32_e32 v3, v3, v4
	v_cmp_gt_i32_e32 vcc, 0, v3
	s_or_b64 s[0:1], vcc, s[0:1]
	s_andn2_b64 exec, exec, s[0:1]
	s_cbranch_execz .LBB70_30
.LBB70_26:                              ; =>This Inner Loop Header: Depth=1
	v_add_u32_e32 v4, v3, v0
	v_ashrrev_i32_e32 v5, 31, v4
	v_lshlrev_b64 v[5:6], 2, v[4:5]
	s_waitcnt vmcnt(0)
	v_add_co_u32_e32 v11, vcc, s6, v5
	v_addc_co_u32_e32 v12, vcc, v8, v6, vcc
	global_load_dword v4, v[11:12], off
	v_add_co_u32_e32 v11, vcc, s14, v5
	v_addc_co_u32_e32 v12, vcc, v9, v6, vcc
	global_load_dword v11, v[11:12], off
	s_waitcnt vmcnt(1)
	v_cmp_ne_u32_e32 vcc, 1, v4
	s_and_saveexec_b64 s[2:3], vcc
	s_xor_b64 s[2:3], exec, s[2:3]
	s_cbranch_execz .LBB70_28
; %bb.27:                               ;   in Loop: Header=BB70_26 Depth=1
	v_add_u32_e32 v12, v10, v3
	v_ashrrev_i32_e32 v13, 31, v12
	v_lshlrev_b64 v[12:13], 2, v[12:13]
	v_mov_b32_e32 v4, s11
	v_add_co_u32_e32 v14, vcc, s10, v12
	v_addc_co_u32_e32 v15, vcc, v4, v13, vcc
	v_ashrrev_i32_e32 v4, 31, v3
	v_lshlrev_b64 v[16:17], 2, v[3:4]
	v_mov_b32_e32 v4, s13
	v_add_co_u32_e32 v16, vcc, v1, v16
	v_addc_co_u32_e32 v17, vcc, v2, v17, vcc
	v_add_co_u32_e32 v12, vcc, s12, v12
	v_addc_co_u32_e32 v13, vcc, v4, v13, vcc
	global_load_dword v24, v[14:15], off
	global_load_dword v25, v[16:17], off
	v_mov_b32_e32 v18, s13
	v_add_co_u32_e32 v4, vcc, s12, v5
	v_addc_co_u32_e32 v5, vcc, v18, v6, vcc
	global_load_dword v6, v[12:13], off
	global_load_dword v26, v[4:5], off
	v_add_u32_e32 v18, v7, v3
	v_ashrrev_i32_e32 v19, 31, v18
	v_lshlrev_b64 v[18:19], 2, v[18:19]
	v_mov_b32_e32 v21, s11
	v_add_co_u32_e32 v20, vcc, s10, v18
	v_addc_co_u32_e32 v21, vcc, v21, v19, vcc
	v_mov_b32_e32 v23, s13
	v_add_co_u32_e32 v22, vcc, s12, v18
	v_addc_co_u32_e32 v23, vcc, v23, v19, vcc
	v_add_co_u32_e32 v18, vcc, s14, v18
	v_addc_co_u32_e32 v19, vcc, v9, v19, vcc
	global_load_dword v18, v[18:19], off
	s_waitcnt vmcnt(3)
	v_fma_f32 v19, -v11, v24, v25
	s_waitcnt vmcnt(1)
	v_fma_f32 v6, -v11, v6, v26
	global_store_dword v[16:17], v19, off
	global_store_dword v[4:5], v6, off
	global_load_dword v4, v[14:15], off
	s_nop 0
	global_load_dword v5, v[20:21], off
	global_load_dword v6, v[12:13], off
	;; [unrolled: 1-line block ×3, first 2 shown]
	s_waitcnt vmcnt(2)
	v_fma_f32 v4, -v18, v4, v5
	s_waitcnt vmcnt(0)
	v_fma_f32 v5, -v18, v6, v11
	global_store_dword v[20:21], v4, off
	global_store_dword v[22:23], v5, off
                                        ; implicit-def: $vgpr11
                                        ; implicit-def: $vgpr5_vgpr6
.LBB70_28:                              ;   in Loop: Header=BB70_26 Depth=1
	s_or_saveexec_b64 s[2:3], s[2:3]
	v_mov_b32_e32 v4, s4
	s_xor_b64 exec, exec, s[2:3]
	s_cbranch_execz .LBB70_25
; %bb.29:                               ;   in Loop: Header=BB70_26 Depth=1
	v_add_u32_e32 v12, v10, v3
	v_ashrrev_i32_e32 v13, 31, v12
	v_lshlrev_b64 v[12:13], 2, v[12:13]
	v_mov_b32_e32 v4, s11
	v_add_co_u32_e32 v14, vcc, s10, v12
	v_addc_co_u32_e32 v15, vcc, v4, v13, vcc
	v_ashrrev_i32_e32 v4, 31, v3
	v_lshlrev_b64 v[16:17], 2, v[3:4]
	v_mov_b32_e32 v4, s13
	v_add_co_u32_e32 v16, vcc, v1, v16
	v_addc_co_u32_e32 v17, vcc, v2, v17, vcc
	v_add_co_u32_e32 v12, vcc, s12, v12
	v_addc_co_u32_e32 v13, vcc, v4, v13, vcc
	global_load_dword v18, v[14:15], off
	global_load_dword v19, v[16:17], off
	v_mov_b32_e32 v14, s13
	v_add_co_u32_e32 v4, vcc, s12, v5
	v_addc_co_u32_e32 v5, vcc, v14, v6, vcc
	global_load_dword v6, v[12:13], off
	global_load_dword v14, v[4:5], off
	s_waitcnt vmcnt(2)
	v_fma_f32 v12, -v11, v18, v19
	s_waitcnt vmcnt(0)
	v_fma_f32 v6, -v11, v6, v14
	global_store_dword v[16:17], v12, off
	global_store_dword v[4:5], v6, off
	v_mov_b32_e32 v4, s26
	s_branch .LBB70_25
.LBB70_30:
	s_endpgm
	.section	.rodata,"a",@progbits
	.p2align	6, 0x0
	.amdhsa_kernel _ZN9rocsparseL18gtsv_LBM_wv_kernelILj256ELj128EfEEviiiPKT1_S3_S3_PS1_S4_S4_Pi
		.amdhsa_group_segment_fixed_size 0
		.amdhsa_private_segment_fixed_size 0
		.amdhsa_kernarg_size 72
		.amdhsa_user_sgpr_count 6
		.amdhsa_user_sgpr_private_segment_buffer 1
		.amdhsa_user_sgpr_dispatch_ptr 0
		.amdhsa_user_sgpr_queue_ptr 0
		.amdhsa_user_sgpr_kernarg_segment_ptr 1
		.amdhsa_user_sgpr_dispatch_id 0
		.amdhsa_user_sgpr_flat_scratch_init 0
		.amdhsa_user_sgpr_private_segment_size 0
		.amdhsa_uses_dynamic_stack 0
		.amdhsa_system_sgpr_private_segment_wavefront_offset 0
		.amdhsa_system_sgpr_workgroup_id_x 1
		.amdhsa_system_sgpr_workgroup_id_y 0
		.amdhsa_system_sgpr_workgroup_id_z 0
		.amdhsa_system_sgpr_workgroup_info 0
		.amdhsa_system_vgpr_workitem_id 0
		.amdhsa_next_free_vgpr 30
		.amdhsa_next_free_sgpr 31
		.amdhsa_reserve_vcc 1
		.amdhsa_reserve_flat_scratch 0
		.amdhsa_float_round_mode_32 0
		.amdhsa_float_round_mode_16_64 0
		.amdhsa_float_denorm_mode_32 3
		.amdhsa_float_denorm_mode_16_64 3
		.amdhsa_dx10_clamp 1
		.amdhsa_ieee_mode 1
		.amdhsa_fp16_overflow 0
		.amdhsa_exception_fp_ieee_invalid_op 0
		.amdhsa_exception_fp_denorm_src 0
		.amdhsa_exception_fp_ieee_div_zero 0
		.amdhsa_exception_fp_ieee_overflow 0
		.amdhsa_exception_fp_ieee_underflow 0
		.amdhsa_exception_fp_ieee_inexact 0
		.amdhsa_exception_int_div_zero 0
	.end_amdhsa_kernel
	.section	.text._ZN9rocsparseL18gtsv_LBM_wv_kernelILj256ELj128EfEEviiiPKT1_S3_S3_PS1_S4_S4_Pi,"axG",@progbits,_ZN9rocsparseL18gtsv_LBM_wv_kernelILj256ELj128EfEEviiiPKT1_S3_S3_PS1_S4_S4_Pi,comdat
.Lfunc_end70:
	.size	_ZN9rocsparseL18gtsv_LBM_wv_kernelILj256ELj128EfEEviiiPKT1_S3_S3_PS1_S4_S4_Pi, .Lfunc_end70-_ZN9rocsparseL18gtsv_LBM_wv_kernelILj256ELj128EfEEviiiPKT1_S3_S3_PS1_S4_S4_Pi
                                        ; -- End function
	.set _ZN9rocsparseL18gtsv_LBM_wv_kernelILj256ELj128EfEEviiiPKT1_S3_S3_PS1_S4_S4_Pi.num_vgpr, 30
	.set _ZN9rocsparseL18gtsv_LBM_wv_kernelILj256ELj128EfEEviiiPKT1_S3_S3_PS1_S4_S4_Pi.num_agpr, 0
	.set _ZN9rocsparseL18gtsv_LBM_wv_kernelILj256ELj128EfEEviiiPKT1_S3_S3_PS1_S4_S4_Pi.numbered_sgpr, 31
	.set _ZN9rocsparseL18gtsv_LBM_wv_kernelILj256ELj128EfEEviiiPKT1_S3_S3_PS1_S4_S4_Pi.num_named_barrier, 0
	.set _ZN9rocsparseL18gtsv_LBM_wv_kernelILj256ELj128EfEEviiiPKT1_S3_S3_PS1_S4_S4_Pi.private_seg_size, 0
	.set _ZN9rocsparseL18gtsv_LBM_wv_kernelILj256ELj128EfEEviiiPKT1_S3_S3_PS1_S4_S4_Pi.uses_vcc, 1
	.set _ZN9rocsparseL18gtsv_LBM_wv_kernelILj256ELj128EfEEviiiPKT1_S3_S3_PS1_S4_S4_Pi.uses_flat_scratch, 0
	.set _ZN9rocsparseL18gtsv_LBM_wv_kernelILj256ELj128EfEEviiiPKT1_S3_S3_PS1_S4_S4_Pi.has_dyn_sized_stack, 0
	.set _ZN9rocsparseL18gtsv_LBM_wv_kernelILj256ELj128EfEEviiiPKT1_S3_S3_PS1_S4_S4_Pi.has_recursion, 0
	.set _ZN9rocsparseL18gtsv_LBM_wv_kernelILj256ELj128EfEEviiiPKT1_S3_S3_PS1_S4_S4_Pi.has_indirect_call, 0
	.section	.AMDGPU.csdata,"",@progbits
; Kernel info:
; codeLenInByte = 2248
; TotalNumSgprs: 35
; NumVgprs: 30
; ScratchSize: 0
; MemoryBound: 0
; FloatMode: 240
; IeeeMode: 1
; LDSByteSize: 0 bytes/workgroup (compile time only)
; SGPRBlocks: 4
; VGPRBlocks: 7
; NumSGPRsForWavesPerEU: 35
; NumVGPRsForWavesPerEU: 30
; Occupancy: 8
; WaveLimiterHint : 0
; COMPUTE_PGM_RSRC2:SCRATCH_EN: 0
; COMPUTE_PGM_RSRC2:USER_SGPR: 6
; COMPUTE_PGM_RSRC2:TRAP_HANDLER: 0
; COMPUTE_PGM_RSRC2:TGID_X_EN: 1
; COMPUTE_PGM_RSRC2:TGID_Y_EN: 0
; COMPUTE_PGM_RSRC2:TGID_Z_EN: 0
; COMPUTE_PGM_RSRC2:TIDIG_COMP_CNT: 0
	.section	.text._ZN9rocsparseL19gtsv_LBM_rhs_kernelILj256ELj128ELj8EfEEviiiPKT2_S3_S3_PS1_S3_PKi,"axG",@progbits,_ZN9rocsparseL19gtsv_LBM_rhs_kernelILj256ELj128ELj8EfEEviiiPKT2_S3_S3_PS1_S3_PKi,comdat
	.globl	_ZN9rocsparseL19gtsv_LBM_rhs_kernelILj256ELj128ELj8EfEEviiiPKT2_S3_S3_PS1_S3_PKi ; -- Begin function _ZN9rocsparseL19gtsv_LBM_rhs_kernelILj256ELj128ELj8EfEEviiiPKT2_S3_S3_PS1_S3_PKi
	.p2align	8
	.type	_ZN9rocsparseL19gtsv_LBM_rhs_kernelILj256ELj128ELj8EfEEviiiPKT2_S3_S3_PS1_S3_PKi,@function
_ZN9rocsparseL19gtsv_LBM_rhs_kernelILj256ELj128ELj8EfEEviiiPKT2_S3_S3_PS1_S3_PKi: ; @_ZN9rocsparseL19gtsv_LBM_rhs_kernelILj256ELj128ELj8EfEEviiiPKT2_S3_S3_PS1_S3_PKi
; %bb.0:
	s_load_dword s23, s[4:5], 0x0
	v_lshl_or_b32 v0, s6, 8, v0
	s_waitcnt lgkmcnt(0)
	s_lshr_b32 s22, s23, 7
	v_cmp_gt_i32_e32 vcc, s22, v0
	s_and_saveexec_b64 s[0:1], vcc
	s_cbranch_execz .LBB71_29
; %bb.1:
	s_load_dwordx4 s[8:11], s[4:5], 0x28
	s_load_dwordx2 s[16:17], s[4:5], 0x38
	s_cmp_lt_i32 s23, 1
	v_add_u32_e32 v19, s22, v0
	s_mul_i32 s24, s7, s23
	s_cbranch_scc1 .LBB71_21
; %bb.2:
	s_load_dwordx4 s[12:15], s[4:5], 0x10
	s_load_dwordx2 s[6:7], s[4:5], 0x20
	v_ashrrev_i32_e32 v1, 31, v0
	v_lshlrev_b64 v[1:2], 2, v[0:1]
	s_lshl_b32 s28, s24, 3
	s_waitcnt lgkmcnt(0)
	v_mov_b32_e32 v3, s15
	v_add_co_u32_e32 v1, vcc, s14, v1
	v_addc_co_u32_e32 v2, vcc, v3, v2, vcc
	global_load_dword v24, v[1:2], off
	s_add_i32 s29, s28, s23
	s_add_i32 s30, s29, s23
	;; [unrolled: 1-line block ×6, first 2 shown]
	s_mul_i32 s25, s22, 0x7f
	s_mul_i32 s26, s22, 0x7e
	s_lshl_b32 s27, s22, 1
	v_add_u32_e32 v20, s22, v19
	s_add_i32 s36, s35, s23
	v_mov_b32_e32 v2, 0
	s_mov_b64 s[18:19], 0
	v_mov_b32_e32 v22, s7
	v_mov_b32_e32 v21, 0
	s_branch .LBB71_5
.LBB71_3:                               ;   in Loop: Header=BB71_5 Depth=1
	s_or_b64 exec, exec, s[4:5]
	v_fma_f32 v24, -v24, v29, v25
	v_mov_b32_e32 v1, s22
.LBB71_4:                               ;   in Loop: Header=BB71_5 Depth=1
	s_or_b64 exec, exec, s[2:3]
	v_add_u32_e32 v21, v1, v21
	v_cmp_le_i32_e32 vcc, s23, v21
	s_or_b64 s[18:19], vcc, s[18:19]
	s_andn2_b64 exec, exec, s[18:19]
	s_cbranch_execz .LBB71_20
.LBB71_5:                               ; =>This Inner Loop Header: Depth=1
	v_add_u32_e32 v15, v21, v0
	v_ashrrev_i32_e32 v16, 31, v15
	v_lshlrev_b64 v[3:4], 2, v[15:16]
	v_cmp_gt_u32_e64 s[0:1], s25, v21
	v_add_co_u32_e32 v5, vcc, s6, v3
	v_addc_co_u32_e32 v6, vcc, v22, v4, vcc
	global_load_dword v27, v[5:6], off
	v_mov_b32_e32 v23, 0
	s_and_saveexec_b64 s[2:3], s[0:1]
	s_cbranch_execz .LBB71_7
; %bb.6:                                ;   in Loop: Header=BB71_5 Depth=1
	v_add_u32_e32 v5, v19, v21
	v_ashrrev_i32_e32 v6, 31, v5
	v_lshlrev_b64 v[5:6], 2, v[5:6]
	v_mov_b32_e32 v1, s13
	v_add_co_u32_e32 v5, vcc, s12, v5
	v_addc_co_u32_e32 v6, vcc, v1, v6, vcc
	global_load_dword v23, v[5:6], off
.LBB71_7:                               ;   in Loop: Header=BB71_5 Depth=1
	s_or_b64 exec, exec, s[2:3]
	v_mov_b32_e32 v26, 0
	v_mov_b32_e32 v25, 0
	s_and_saveexec_b64 s[2:3], s[0:1]
	s_cbranch_execz .LBB71_9
; %bb.8:                                ;   in Loop: Header=BB71_5 Depth=1
	v_add_u32_e32 v5, v19, v21
	v_ashrrev_i32_e32 v6, 31, v5
	v_lshlrev_b64 v[5:6], 2, v[5:6]
	v_mov_b32_e32 v1, s15
	v_add_co_u32_e32 v5, vcc, s14, v5
	v_addc_co_u32_e32 v6, vcc, v1, v6, vcc
	global_load_dword v25, v[5:6], off
.LBB71_9:                               ;   in Loop: Header=BB71_5 Depth=1
	s_or_b64 exec, exec, s[2:3]
	s_and_saveexec_b64 s[2:3], s[0:1]
	s_cbranch_execz .LBB71_11
; %bb.10:                               ;   in Loop: Header=BB71_5 Depth=1
	v_add_u32_e32 v5, v19, v21
	v_ashrrev_i32_e32 v6, 31, v5
	v_lshlrev_b64 v[5:6], 2, v[5:6]
	v_mov_b32_e32 v1, s7
	v_add_co_u32_e32 v5, vcc, s6, v5
	v_addc_co_u32_e32 v6, vcc, v1, v6, vcc
	global_load_dword v26, v[5:6], off
.LBB71_11:                              ;   in Loop: Header=BB71_5 Depth=1
	s_or_b64 exec, exec, s[2:3]
	v_cmp_gt_u32_e64 s[2:3], s26, v21
	v_mov_b32_e32 v28, 0
	s_and_saveexec_b64 s[4:5], s[2:3]
	s_cbranch_execz .LBB71_13
; %bb.12:                               ;   in Loop: Header=BB71_5 Depth=1
	v_add_u32_e32 v5, v20, v21
	v_ashrrev_i32_e32 v6, 31, v5
	v_lshlrev_b64 v[5:6], 2, v[5:6]
	v_mov_b32_e32 v1, s13
	v_add_co_u32_e32 v5, vcc, s12, v5
	v_addc_co_u32_e32 v6, vcc, v1, v6, vcc
	global_load_dword v28, v[5:6], off
.LBB71_13:                              ;   in Loop: Header=BB71_5 Depth=1
	s_or_b64 exec, exec, s[4:5]
	v_mov_b32_e32 v1, s17
	v_add_co_u32_e32 v3, vcc, s16, v3
	v_addc_co_u32_e32 v4, vcc, v1, v4, vcc
	v_add_u32_e32 v1, s28, v15
	global_load_dword v29, v[3:4], off
	v_lshlrev_b64 v[3:4], 2, v[1:2]
	s_waitcnt vmcnt(2)
	v_mov_b32_e32 v30, s9
	v_add_co_u32_e32 v17, vcc, s8, v3
	v_add_u32_e32 v1, s29, v15
	v_addc_co_u32_e32 v18, vcc, v30, v4, vcc
	v_lshlrev_b64 v[3:4], 2, v[1:2]
	v_add_u32_e32 v1, s30, v15
	v_add_co_u32_e32 v7, vcc, s8, v3
	v_addc_co_u32_e32 v8, vcc, v30, v4, vcc
	v_lshlrev_b64 v[3:4], 2, v[1:2]
	v_add_u32_e32 v1, s31, v15
	v_add_co_u32_e32 v11, vcc, s8, v3
	;; [unrolled: 4-line block ×3, first 2 shown]
	v_lshlrev_b64 v[5:6], 2, v[1:2]
	v_addc_co_u32_e32 v4, vcc, v30, v4, vcc
	v_add_u32_e32 v1, s34, v15
	v_add_co_u32_e32 v5, vcc, s8, v5
	v_lshlrev_b64 v[9:10], 2, v[1:2]
	v_addc_co_u32_e32 v6, vcc, v30, v6, vcc
	v_add_u32_e32 v1, s35, v15
	v_add_co_u32_e32 v9, vcc, s8, v9
	;; [unrolled: 4-line block ×3, first 2 shown]
	v_lshlrev_b64 v[15:16], 2, v[1:2]
	v_addc_co_u32_e32 v14, vcc, v30, v14, vcc
	v_add_co_u32_e32 v15, vcc, s8, v15
	v_addc_co_u32_e32 v16, vcc, v30, v16, vcc
	global_load_dword v37, v[17:18], off
	global_load_dword v36, v[7:8], off
	;; [unrolled: 1-line block ×8, first 2 shown]
	v_cmp_ne_u32_e64 s[4:5], s25, v21
	s_waitcnt vmcnt(8)
	v_cmp_ne_u32_e32 vcc, 1, v29
	s_and_b64 s[4:5], s[4:5], vcc
	v_mul_f32_e32 v29, v27, v23
	s_and_saveexec_b64 s[20:21], s[4:5]
	s_xor_b64 s[4:5], exec, s[20:21]
	s_cbranch_execz .LBB71_17
; %bb.14:                               ;   in Loop: Header=BB71_5 Depth=1
	v_add_u32_e32 v54, v19, v21
	v_add_u32_e32 v1, s28, v54
	v_lshlrev_b64 v[38:39], 2, v[1:2]
	v_mov_b32_e32 v55, s9
	v_add_co_u32_e32 v40, vcc, s8, v38
	v_add_u32_e32 v1, s29, v54
	v_addc_co_u32_e32 v41, vcc, v55, v39, vcc
	v_lshlrev_b64 v[38:39], 2, v[1:2]
	v_add_u32_e32 v1, s30, v54
	v_add_co_u32_e32 v42, vcc, s8, v38
	v_addc_co_u32_e32 v43, vcc, v55, v39, vcc
	v_lshlrev_b64 v[38:39], 2, v[1:2]
	v_add_u32_e32 v1, s31, v54
	v_add_co_u32_e32 v44, vcc, s8, v38
	;; [unrolled: 4-line block ×6, first 2 shown]
	v_addc_co_u32_e32 v53, vcc, v55, v39, vcc
	v_lshlrev_b64 v[38:39], 2, v[1:2]
	v_fma_f32 v1, v24, v25, -v29
	v_div_scale_f32 v29, s[20:21], v1, v1, 1.0
	v_add_co_u32_e32 v54, vcc, s8, v38
	v_addc_co_u32_e32 v55, vcc, v55, v39, vcc
	v_rcp_f32_e32 v38, v29
	v_fma_f32 v39, -v29, v38, 1.0
	v_fmac_f32_e32 v38, v39, v38
	v_div_scale_f32 v39, vcc, 1.0, v1, 1.0
	v_mul_f32_e32 v56, v39, v38
	v_fma_f32 v57, -v29, v56, v39
	v_fmac_f32_e32 v56, v57, v38
	v_fma_f32 v29, -v29, v56, v39
	v_div_fmas_f32 v29, v29, v38, v56
	v_div_fixup_f32 v29, v29, v1, 1.0
	global_load_dword v1, v[40:41], off
	global_load_dword v39, v[42:43], off
	global_load_dword v56, v[44:45], off
	global_load_dword v57, v[46:47], off
	global_load_dword v58, v[48:49], off
	global_load_dword v59, v[50:51], off
	global_load_dword v60, v[52:53], off
	global_load_dword v61, v[54:55], off
	s_waitcnt vmcnt(15)
	v_mul_f32_e32 v37, v29, v37
	s_waitcnt vmcnt(13)
	v_mul_f32_e32 v35, v29, v35
	;; [unrolled: 2-line block ×3, first 2 shown]
	v_mul_f32_e32 v1, v27, v38
	v_fma_f32 v1, v25, v37, -v1
	global_store_dword v[17:18], v1, off
	v_mul_f32_e32 v18, v29, v36
	s_waitcnt vmcnt(7)
	v_mul_f32_e32 v36, v29, v39
	v_mul_f32_e32 v1, v27, v36
	v_fma_f32 v1, v25, v18, -v1
	s_waitcnt vmcnt(6)
	v_mul_f32_e32 v39, v29, v56
	global_store_dword v[7:8], v1, off
	v_mul_f32_e32 v1, v27, v39
	v_fma_f32 v1, v25, v35, -v1
	global_store_dword v[11:12], v1, off
	s_waitcnt vmcnt(7)
	v_mul_f32_e32 v12, v29, v57
	v_mul_f32_e32 v7, v29, v34
	;; [unrolled: 1-line block ×3, first 2 shown]
	v_fma_f32 v1, v25, v7, -v1
	v_mul_f32_e32 v17, v29, v33
	s_waitcnt vmcnt(6)
	v_mul_f32_e32 v33, v29, v58
	global_store_dword v[3:4], v1, off
	v_mul_f32_e32 v1, v27, v33
	v_fma_f32 v1, v25, v17, -v1
	s_waitcnt vmcnt(6)
	v_mul_f32_e32 v11, v29, v59
	global_store_dword v[5:6], v1, off
	v_mul_f32_e32 v8, v29, v32
	v_mul_f32_e32 v1, v27, v11
	v_fma_f32 v1, v25, v8, -v1
	s_waitcnt vmcnt(6)
	v_mul_f32_e32 v6, v29, v60
	global_store_dword v[9:10], v1, off
	v_mul_f32_e32 v5, v29, v31
	;; [unrolled: 6-line block ×3, first 2 shown]
	v_mul_f32_e32 v1, v27, v4
	v_fma_f32 v1, v25, v3, -v1
	global_store_dword v[15:16], v1, off
	v_mul_f32_e32 v1, v23, v37
	v_fma_f32 v1, v24, v38, -v1
	global_store_dword v[40:41], v1, off
	;; [unrolled: 3-line block ×9, first 2 shown]
	v_mov_b32_e32 v1, 0
	s_and_saveexec_b64 s[20:21], s[2:3]
	s_cbranch_execz .LBB71_16
; %bb.15:                               ;   in Loop: Header=BB71_5 Depth=1
	v_add_u32_e32 v9, v20, v21
	v_add_u32_e32 v1, s28, v9
	v_lshlrev_b64 v[13:14], 2, v[1:2]
	v_mov_b32_e32 v25, s9
	v_add_co_u32_e32 v13, vcc, s8, v13
	v_addc_co_u32_e32 v14, vcc, v25, v14, vcc
	global_load_dword v10, v[13:14], off
	v_mul_f32_e32 v31, v24, v28
	v_mul_f32_e32 v30, v23, v28
	;; [unrolled: 1-line block ×3, first 2 shown]
	v_fma_f32 v27, v30, v37, -v1
	v_add_u32_e32 v1, s29, v9
	v_lshlrev_b64 v[15:16], 2, v[1:2]
	v_add_u32_e32 v1, s30, v9
	v_lshlrev_b64 v[23:24], 2, v[1:2]
	v_add_co_u32_e32 v15, vcc, s8, v15
	v_addc_co_u32_e32 v16, vcc, v25, v16, vcc
	global_load_dword v32, v[15:16], off
	v_add_co_u32_e32 v23, vcc, s8, v23
	v_addc_co_u32_e32 v24, vcc, v25, v24, vcc
	v_mul_f32_e32 v4, v31, v4
	v_fma_f32 v3, v30, v3, -v4
	s_waitcnt vmcnt(1)
	v_add_f32_e32 v1, v27, v10
	global_store_dword v[13:14], v1, off
	global_load_dword v10, v[23:24], off
	v_mul_f32_e32 v1, v31, v36
	v_mul_f32_e32 v13, v31, v39
	v_fma_f32 v18, v30, v18, -v1
	v_add_u32_e32 v1, s31, v9
	v_fma_f32 v34, v30, v35, -v13
	v_lshlrev_b64 v[13:14], 2, v[1:2]
	v_add_u32_e32 v1, s33, v9
	v_lshlrev_b64 v[27:28], 2, v[1:2]
	v_add_co_u32_e32 v13, vcc, s8, v13
	s_waitcnt vmcnt(2)
	v_add_f32_e32 v1, v18, v32
	v_addc_co_u32_e32 v14, vcc, v25, v14, vcc
	global_store_dword v[15:16], v1, off
	v_add_co_u32_e32 v27, vcc, s8, v27
	global_load_dword v18, v[13:14], off
	v_addc_co_u32_e32 v28, vcc, v25, v28, vcc
	s_waitcnt vmcnt(2)
	v_add_f32_e32 v1, v34, v10
	global_store_dword v[23:24], v1, off
	global_load_dword v10, v[27:28], off
	v_mul_f32_e32 v1, v31, v12
	v_fma_f32 v7, v30, v7, -v1
	v_add_u32_e32 v1, s34, v9
	v_mul_f32_e32 v12, v31, v33
	v_lshlrev_b64 v[15:16], 2, v[1:2]
	v_fma_f32 v12, v30, v17, -v12
	v_add_co_u32_e32 v15, vcc, s8, v15
	v_addc_co_u32_e32 v16, vcc, v25, v16, vcc
	s_waitcnt vmcnt(2)
	v_add_f32_e32 v1, v7, v18
	global_store_dword v[13:14], v1, off
	s_waitcnt vmcnt(1)
	v_add_f32_e32 v1, v12, v10
	global_store_dword v[27:28], v1, off
	global_load_dword v10, v[15:16], off
	v_mul_f32_e32 v1, v31, v11
	v_fma_f32 v11, v30, v8, -v1
	v_add_u32_e32 v1, s35, v9
	v_lshlrev_b64 v[7:8], 2, v[1:2]
	v_mov_b32_e32 v12, s15
	v_add_co_u32_e32 v7, vcc, s8, v7
	v_addc_co_u32_e32 v8, vcc, v25, v8, vcc
	s_waitcnt vmcnt(0)
	v_add_f32_e32 v1, v11, v10
	global_store_dword v[15:16], v1, off
	global_load_dword v11, v[7:8], off
	v_mul_f32_e32 v1, v31, v6
	v_ashrrev_i32_e32 v10, 31, v9
	v_fma_f32 v13, v30, v5, -v1
	v_add_u32_e32 v1, s36, v9
	v_lshlrev_b64 v[5:6], 2, v[9:10]
	v_lshlrev_b64 v[9:10], 2, v[1:2]
	v_add_co_u32_e32 v9, vcc, s8, v9
	v_addc_co_u32_e32 v10, vcc, v25, v10, vcc
	v_add_co_u32_e32 v5, vcc, s14, v5
	v_addc_co_u32_e32 v6, vcc, v12, v6, vcc
	global_load_dword v5, v[5:6], off
	v_mul_f32_e32 v6, v26, v31
	s_waitcnt vmcnt(1)
	v_add_f32_e32 v1, v13, v11
	global_store_dword v[7:8], v1, off
	global_load_dword v1, v[9:10], off
	s_waitcnt vmcnt(0)
	v_add_f32_e32 v1, v3, v1
	global_store_dword v[9:10], v1, off
	v_fma_f32 v1, -v29, v6, v5
.LBB71_16:                              ;   in Loop: Header=BB71_5 Depth=1
	s_or_b64 exec, exec, s[20:21]
	v_mov_b32_e32 v24, v1
                                        ; implicit-def: $vgpr23
                                        ; implicit-def: $vgpr25
                                        ; implicit-def: $vgpr29
                                        ; implicit-def: $vgpr17_vgpr18
                                        ; implicit-def: $vgpr37
                                        ; implicit-def: $vgpr7_vgpr8
                                        ; implicit-def: $vgpr36
                                        ; implicit-def: $vgpr11_vgpr12
                                        ; implicit-def: $vgpr35
                                        ; implicit-def: $vgpr3_vgpr4
                                        ; implicit-def: $vgpr34
                                        ; implicit-def: $vgpr5_vgpr6
                                        ; implicit-def: $vgpr33
                                        ; implicit-def: $vgpr9_vgpr10
                                        ; implicit-def: $vgpr32
                                        ; implicit-def: $vgpr13_vgpr14
                                        ; implicit-def: $vgpr31
                                        ; implicit-def: $vgpr15_vgpr16
                                        ; implicit-def: $vgpr30
.LBB71_17:                              ;   in Loop: Header=BB71_5 Depth=1
	s_or_saveexec_b64 s[2:3], s[4:5]
	v_mov_b32_e32 v1, s27
	s_xor_b64 exec, exec, s[2:3]
	s_cbranch_execz .LBB71_4
; %bb.18:                               ;   in Loop: Header=BB71_5 Depth=1
	v_div_scale_f32 v1, s[4:5], v24, v24, 1.0
	v_div_scale_f32 v26, vcc, 1.0, v24, 1.0
	v_rcp_f32_e32 v27, v1
	v_fma_f32 v28, -v1, v27, 1.0
	v_fmac_f32_e32 v27, v28, v27
	v_mul_f32_e32 v28, v26, v27
	v_fma_f32 v38, -v1, v28, v26
	v_fmac_f32_e32 v28, v38, v27
	v_fma_f32 v1, -v1, v28, v26
	v_div_fmas_f32 v1, v1, v27, v28
	v_div_fixup_f32 v24, v1, v24, 1.0
	s_waitcnt vmcnt(7)
	v_mul_f32_e32 v37, v24, v37
	s_waitcnt vmcnt(6)
	v_mul_f32_e32 v36, v24, v36
	;; [unrolled: 2-line block ×8, first 2 shown]
	global_store_dword v[17:18], v37, off
	global_store_dword v[7:8], v36, off
	;; [unrolled: 1-line block ×8, first 2 shown]
	s_and_saveexec_b64 s[4:5], s[0:1]
	s_cbranch_execz .LBB71_3
; %bb.19:                               ;   in Loop: Header=BB71_5 Depth=1
	v_add_u32_e32 v11, v19, v21
	v_add_u32_e32 v1, s28, v11
	v_lshlrev_b64 v[3:4], 2, v[1:2]
	v_mov_b32_e32 v12, s9
	v_add_co_u32_e32 v3, vcc, s8, v3
	v_addc_co_u32_e32 v4, vcc, v12, v4, vcc
	global_load_dword v9, v[3:4], off
	v_add_u32_e32 v1, s29, v11
	v_lshlrev_b64 v[5:6], 2, v[1:2]
	v_add_u32_e32 v1, s30, v11
	v_lshlrev_b64 v[7:8], 2, v[1:2]
	v_add_co_u32_e32 v5, vcc, s8, v5
	v_addc_co_u32_e32 v6, vcc, v12, v6, vcc
	global_load_dword v13, v[5:6], off
	v_add_co_u32_e32 v7, vcc, s8, v7
	v_addc_co_u32_e32 v8, vcc, v12, v8, vcc
	s_waitcnt vmcnt(1)
	v_fma_f32 v1, -v23, v37, v9
	global_store_dword v[3:4], v1, off
	global_load_dword v14, v[7:8], off
	v_add_u32_e32 v1, s31, v11
	v_lshlrev_b64 v[3:4], 2, v[1:2]
	v_add_u32_e32 v1, s33, v11
	v_lshlrev_b64 v[9:10], 2, v[1:2]
	v_add_co_u32_e32 v3, vcc, s8, v3
	s_waitcnt vmcnt(2)
	v_fma_f32 v1, -v23, v36, v13
	v_addc_co_u32_e32 v4, vcc, v12, v4, vcc
	global_store_dword v[5:6], v1, off
	v_add_co_u32_e32 v9, vcc, s8, v9
	global_load_dword v13, v[3:4], off
	v_addc_co_u32_e32 v10, vcc, v12, v10, vcc
	s_waitcnt vmcnt(2)
	v_fma_f32 v1, -v23, v35, v14
	global_store_dword v[7:8], v1, off
	global_load_dword v7, v[9:10], off
	v_add_u32_e32 v1, s34, v11
	v_lshlrev_b64 v[5:6], 2, v[1:2]
	v_add_co_u32_e32 v5, vcc, s8, v5
	v_addc_co_u32_e32 v6, vcc, v12, v6, vcc
	s_waitcnt vmcnt(2)
	v_fma_f32 v1, -v23, v34, v13
	global_store_dword v[3:4], v1, off
	s_waitcnt vmcnt(1)
	v_fma_f32 v1, -v23, v33, v7
	global_store_dword v[9:10], v1, off
	global_load_dword v7, v[5:6], off
	v_add_u32_e32 v1, s35, v11
	v_lshlrev_b64 v[3:4], 2, v[1:2]
	v_add_co_u32_e32 v3, vcc, s8, v3
	v_addc_co_u32_e32 v4, vcc, v12, v4, vcc
	s_waitcnt vmcnt(0)
	v_fma_f32 v1, -v23, v28, v7
	global_store_dword v[5:6], v1, off
	global_load_dword v7, v[3:4], off
	v_add_u32_e32 v1, s36, v11
	v_lshlrev_b64 v[5:6], 2, v[1:2]
	s_waitcnt vmcnt(0)
	v_fma_f32 v1, -v23, v27, v7
	global_store_dword v[3:4], v1, off
	v_add_co_u32_e32 v3, vcc, s8, v5
	v_addc_co_u32_e32 v4, vcc, v12, v6, vcc
	global_load_dword v1, v[3:4], off
	s_waitcnt vmcnt(0)
	v_fma_f32 v1, -v23, v26, v1
	global_store_dword v[3:4], v1, off
	s_branch .LBB71_3
.LBB71_20:
	s_or_b64 exec, exec, s[18:19]
	s_branch .LBB71_22
.LBB71_21:
	v_mov_b32_e32 v21, 0
.LBB71_22:
	v_subrev_u32_e32 v3, s22, v21
	v_add_u32_e32 v1, v3, v0
	v_ashrrev_i32_e32 v2, 31, v1
	v_lshlrev_b64 v[1:2], 2, v[1:2]
	s_waitcnt lgkmcnt(0)
	v_mov_b32_e32 v4, s17
	v_add_co_u32_e32 v1, vcc, s16, v1
	v_addc_co_u32_e32 v2, vcc, v4, v2, vcc
	s_waitcnt vmcnt(0)
	buffer_wbinvl1_vol
	global_load_dword v1, v[1:2], off
	s_waitcnt vmcnt(0)
	v_mul_lo_u32 v1, v1, s22
	v_sub_u32_e32 v5, v3, v1
	v_cmp_lt_i32_e32 vcc, -1, v5
	s_and_b64 exec, exec, vcc
	s_cbranch_execz .LBB71_29
; %bb.23:
	s_lshl_b32 s4, s24, 3
	s_add_i32 s5, s4, s23
	s_add_i32 s6, s5, s23
	;; [unrolled: 1-line block ×7, first 2 shown]
	s_lshl_b32 s18, s22, 1
	s_mov_b64 s[0:1], 0
	v_mov_b32_e32 v6, s17
	v_mov_b32_e32 v7, s11
	;; [unrolled: 1-line block ×3, first 2 shown]
	s_branch .LBB71_25
.LBB71_24:                              ;   in Loop: Header=BB71_25 Depth=1
	s_or_b64 exec, exec, s[2:3]
	v_sub_u32_e32 v5, v5, v1
	v_cmp_gt_i32_e32 vcc, 0, v5
	s_or_b64 s[0:1], vcc, s[0:1]
	s_andn2_b64 exec, exec, s[0:1]
	s_cbranch_execz .LBB71_29
.LBB71_25:                              ; =>This Inner Loop Header: Depth=1
	v_add_u32_e32 v3, v5, v0
	s_waitcnt vmcnt(0)
	v_ashrrev_i32_e32 v4, 31, v3
	v_lshlrev_b64 v[8:9], 2, v[3:4]
	v_add_co_u32_e32 v10, vcc, s16, v8
	v_addc_co_u32_e32 v11, vcc, v6, v9, vcc
	v_add_co_u32_e32 v8, vcc, s10, v8
	global_load_dword v1, v[10:11], off
	v_addc_co_u32_e32 v9, vcc, v7, v9, vcc
	global_load_dword v4, v[8:9], off
	s_waitcnt vmcnt(1)
	v_cmp_ne_u32_e32 vcc, 1, v1
	s_and_saveexec_b64 s[2:3], vcc
	s_xor_b64 s[2:3], exec, s[2:3]
	s_cbranch_execz .LBB71_27
; %bb.26:                               ;   in Loop: Header=BB71_25 Depth=1
	v_add_u32_e32 v18, v19, v5
	v_add_u32_e32 v1, s4, v18
	v_lshlrev_b64 v[8:9], 2, v[1:2]
	v_mov_b32_e32 v1, s9
	v_add_co_u32_e32 v8, vcc, s8, v8
	v_addc_co_u32_e32 v9, vcc, v1, v9, vcc
	v_add_u32_e32 v1, s5, v18
	global_load_dword v28, v[8:9], off
	v_lshlrev_b64 v[8:9], 2, v[1:2]
	v_add_u32_e32 v1, s6, v18
	v_lshlrev_b64 v[10:11], 2, v[1:2]
	v_add_u32_e32 v1, s7, v18
	;; [unrolled: 2-line block ×7, first 2 shown]
	v_lshlrev_b64 v[24:25], 2, v[1:2]
	v_mov_b32_e32 v1, s9
	v_add_co_u32_e32 v24, vcc, s8, v24
	v_addc_co_u32_e32 v25, vcc, v1, v25, vcc
	global_load_dword v18, v[24:25], off
	v_add_co_u32_e32 v8, vcc, s8, v8
	v_addc_co_u32_e32 v9, vcc, v1, v9, vcc
	v_mov_b32_e32 v26, s9
	v_add_co_u32_e32 v10, vcc, s8, v10
	v_addc_co_u32_e32 v11, vcc, v26, v11, vcc
	v_mov_b32_e32 v27, s9
	;; [unrolled: 3-line block ×5, first 2 shown]
	v_add_co_u32_e32 v20, vcc, s8, v20
	v_addc_co_u32_e32 v21, vcc, v31, v21, vcc
	v_add_u32_e32 v1, s5, v3
	v_mov_b32_e32 v32, s9
	v_add_co_u32_e32 v22, vcc, s8, v22
	v_lshlrev_b64 v[26:27], 2, v[1:2]
	v_addc_co_u32_e32 v23, vcc, v32, v23, vcc
	v_mov_b32_e32 v33, s9
	global_load_dword v29, v[8:9], off
	global_load_dword v30, v[10:11], off
	;; [unrolled: 1-line block ×7, first 2 shown]
	v_add_co_u32_e32 v8, vcc, s8, v26
	v_addc_co_u32_e32 v9, vcc, v33, v27, vcc
	v_mov_b32_e32 v13, s9
	s_waitcnt vmcnt(7)
	v_fma_f32 v1, -v4, v28, v18
	global_store_dword v[24:25], v1, off
	global_load_dword v12, v[8:9], off
	v_add_u32_e32 v1, s6, v3
	v_lshlrev_b64 v[10:11], 2, v[1:2]
	v_add_co_u32_e32 v10, vcc, s8, v10
	v_addc_co_u32_e32 v11, vcc, v13, v11, vcc
	s_waitcnt vmcnt(0)
	v_fma_f32 v1, -v4, v29, v12
	global_store_dword v[8:9], v1, off
	global_load_dword v12, v[10:11], off
	v_add_u32_e32 v1, s7, v3
	v_lshlrev_b64 v[8:9], 2, v[1:2]
	v_add_co_u32_e32 v8, vcc, s8, v8
	v_addc_co_u32_e32 v9, vcc, v13, v9, vcc
	;; [unrolled: 8-line block ×6, first 2 shown]
	s_waitcnt vmcnt(0)
	v_fma_f32 v1, -v4, v35, v12
	global_store_dword v[10:11], v1, off
	global_load_dword v3, v[8:9], off
	v_subrev_u32_e32 v1, s22, v5
	v_add_u32_e32 v10, v1, v0
	v_ashrrev_i32_e32 v11, 31, v10
	v_lshlrev_b64 v[11:12], 2, v[10:11]
	v_add_u32_e32 v1, s4, v10
	v_add_co_u32_e32 v11, vcc, s10, v11
	v_addc_co_u32_e32 v12, vcc, v7, v12, vcc
	global_load_dword v14, v[11:12], off
	v_lshlrev_b64 v[11:12], 2, v[1:2]
	v_add_co_u32_e32 v11, vcc, s8, v11
	v_addc_co_u32_e32 v12, vcc, v13, v12, vcc
	s_waitcnt vmcnt(1)
	v_fma_f32 v1, -v4, v36, v3
	global_store_dword v[8:9], v1, off
	global_load_dword v8, v[11:12], off
	v_add_u32_e32 v1, s5, v10
	v_lshlrev_b64 v[3:4], 2, v[1:2]
	v_mov_b32_e32 v9, s9
	v_add_co_u32_e32 v3, vcc, s8, v3
	v_addc_co_u32_e32 v4, vcc, v9, v4, vcc
	s_waitcnt vmcnt(0)
	v_fma_f32 v1, -v14, v28, v8
	global_store_dword v[11:12], v1, off
	global_load_dword v11, v[3:4], off
	v_add_u32_e32 v1, s6, v10
	v_lshlrev_b64 v[8:9], 2, v[1:2]
	v_mov_b32_e32 v12, s9
	v_add_co_u32_e32 v8, vcc, s8, v8
	v_addc_co_u32_e32 v9, vcc, v12, v9, vcc
	s_waitcnt vmcnt(0)
	v_fma_f32 v1, -v14, v29, v11
	global_store_dword v[3:4], v1, off
	global_load_dword v11, v[8:9], off
	v_add_u32_e32 v1, s7, v10
	v_lshlrev_b64 v[3:4], 2, v[1:2]
	v_add_co_u32_e32 v3, vcc, s8, v3
	v_addc_co_u32_e32 v4, vcc, v12, v4, vcc
	s_waitcnt vmcnt(0)
	v_fma_f32 v1, -v14, v30, v11
	global_store_dword v[8:9], v1, off
	global_load_dword v11, v[3:4], off
	v_add_u32_e32 v1, s12, v10
	v_lshlrev_b64 v[8:9], 2, v[1:2]
	;; [unrolled: 8-line block ×5, first 2 shown]
	v_add_co_u32_e32 v3, vcc, s8, v3
	v_addc_co_u32_e32 v4, vcc, v12, v4, vcc
	s_waitcnt vmcnt(0)
	v_fma_f32 v1, -v14, v35, v11
	global_store_dword v[8:9], v1, off
	global_load_dword v1, v[3:4], off
	s_waitcnt vmcnt(0)
	v_fma_f32 v1, -v14, v36, v1
	global_store_dword v[3:4], v1, off
                                        ; implicit-def: $vgpr3
                                        ; implicit-def: $vgpr4
.LBB71_27:                              ;   in Loop: Header=BB71_25 Depth=1
	s_or_saveexec_b64 s[2:3], s[2:3]
	v_mov_b32_e32 v1, s18
	s_xor_b64 exec, exec, s[2:3]
	s_cbranch_execz .LBB71_24
; %bb.28:                               ;   in Loop: Header=BB71_25 Depth=1
	v_add_u32_e32 v14, v19, v5
	v_add_u32_e32 v1, s4, v14
	v_lshlrev_b64 v[8:9], 2, v[1:2]
	v_mov_b32_e32 v1, s9
	v_add_co_u32_e32 v8, vcc, s8, v8
	v_addc_co_u32_e32 v9, vcc, v1, v9, vcc
	v_add_u32_e32 v1, s4, v3
	v_lshlrev_b64 v[10:11], 2, v[1:2]
	v_mov_b32_e32 v1, s9
	v_add_co_u32_e32 v10, vcc, s8, v10
	v_addc_co_u32_e32 v11, vcc, v1, v11, vcc
	global_load_dword v15, v[8:9], off
	global_load_dword v16, v[10:11], off
	v_add_u32_e32 v1, s5, v14
	v_lshlrev_b64 v[8:9], 2, v[1:2]
	v_add_u32_e32 v1, s5, v3
	v_mov_b32_e32 v17, s9
	v_lshlrev_b64 v[12:13], 2, v[1:2]
	v_add_co_u32_e32 v8, vcc, s8, v8
	v_addc_co_u32_e32 v9, vcc, v17, v9, vcc
	v_mov_b32_e32 v18, s9
	v_add_co_u32_e32 v12, vcc, s8, v12
	v_addc_co_u32_e32 v13, vcc, v18, v13, vcc
	s_waitcnt vmcnt(0)
	v_fma_f32 v1, -v4, v15, v16
	global_store_dword v[10:11], v1, off
	global_load_dword v15, v[8:9], off
	global_load_dword v16, v[12:13], off
	v_add_u32_e32 v1, s6, v14
	v_lshlrev_b64 v[8:9], 2, v[1:2]
	v_add_u32_e32 v1, s6, v3
	v_lshlrev_b64 v[10:11], 2, v[1:2]
	v_add_co_u32_e32 v8, vcc, s8, v8
	v_addc_co_u32_e32 v9, vcc, v17, v9, vcc
	v_add_co_u32_e32 v10, vcc, s8, v10
	v_addc_co_u32_e32 v11, vcc, v18, v11, vcc
	s_waitcnt vmcnt(0)
	v_fma_f32 v1, -v4, v15, v16
	global_store_dword v[12:13], v1, off
	global_load_dword v15, v[8:9], off
	global_load_dword v16, v[10:11], off
	v_add_u32_e32 v1, s7, v14
	v_lshlrev_b64 v[8:9], 2, v[1:2]
	v_add_u32_e32 v1, s7, v3
	v_lshlrev_b64 v[12:13], 2, v[1:2]
	v_add_co_u32_e32 v8, vcc, s8, v8
	v_addc_co_u32_e32 v9, vcc, v17, v9, vcc
	;; [unrolled: 13-line block ×6, first 2 shown]
	v_add_co_u32_e32 v12, vcc, s8, v12
	v_addc_co_u32_e32 v13, vcc, v18, v13, vcc
	s_waitcnt vmcnt(0)
	v_fma_f32 v1, -v4, v15, v16
	global_store_dword v[10:11], v1, off
	global_load_dword v1, v[8:9], off
	s_nop 0
	global_load_dword v3, v[12:13], off
	s_waitcnt vmcnt(0)
	v_fma_f32 v1, -v4, v1, v3
	global_store_dword v[12:13], v1, off
	v_mov_b32_e32 v1, s22
	s_branch .LBB71_24
.LBB71_29:
	s_endpgm
	.section	.rodata,"a",@progbits
	.p2align	6, 0x0
	.amdhsa_kernel _ZN9rocsparseL19gtsv_LBM_rhs_kernelILj256ELj128ELj8EfEEviiiPKT2_S3_S3_PS1_S3_PKi
		.amdhsa_group_segment_fixed_size 0
		.amdhsa_private_segment_fixed_size 0
		.amdhsa_kernarg_size 64
		.amdhsa_user_sgpr_count 6
		.amdhsa_user_sgpr_private_segment_buffer 1
		.amdhsa_user_sgpr_dispatch_ptr 0
		.amdhsa_user_sgpr_queue_ptr 0
		.amdhsa_user_sgpr_kernarg_segment_ptr 1
		.amdhsa_user_sgpr_dispatch_id 0
		.amdhsa_user_sgpr_flat_scratch_init 0
		.amdhsa_user_sgpr_private_segment_size 0
		.amdhsa_uses_dynamic_stack 0
		.amdhsa_system_sgpr_private_segment_wavefront_offset 0
		.amdhsa_system_sgpr_workgroup_id_x 1
		.amdhsa_system_sgpr_workgroup_id_y 1
		.amdhsa_system_sgpr_workgroup_id_z 0
		.amdhsa_system_sgpr_workgroup_info 0
		.amdhsa_system_vgpr_workitem_id 0
		.amdhsa_next_free_vgpr 62
		.amdhsa_next_free_sgpr 37
		.amdhsa_reserve_vcc 1
		.amdhsa_reserve_flat_scratch 0
		.amdhsa_float_round_mode_32 0
		.amdhsa_float_round_mode_16_64 0
		.amdhsa_float_denorm_mode_32 3
		.amdhsa_float_denorm_mode_16_64 3
		.amdhsa_dx10_clamp 1
		.amdhsa_ieee_mode 1
		.amdhsa_fp16_overflow 0
		.amdhsa_exception_fp_ieee_invalid_op 0
		.amdhsa_exception_fp_denorm_src 0
		.amdhsa_exception_fp_ieee_div_zero 0
		.amdhsa_exception_fp_ieee_overflow 0
		.amdhsa_exception_fp_ieee_underflow 0
		.amdhsa_exception_fp_ieee_inexact 0
		.amdhsa_exception_int_div_zero 0
	.end_amdhsa_kernel
	.section	.text._ZN9rocsparseL19gtsv_LBM_rhs_kernelILj256ELj128ELj8EfEEviiiPKT2_S3_S3_PS1_S3_PKi,"axG",@progbits,_ZN9rocsparseL19gtsv_LBM_rhs_kernelILj256ELj128ELj8EfEEviiiPKT2_S3_S3_PS1_S3_PKi,comdat
.Lfunc_end71:
	.size	_ZN9rocsparseL19gtsv_LBM_rhs_kernelILj256ELj128ELj8EfEEviiiPKT2_S3_S3_PS1_S3_PKi, .Lfunc_end71-_ZN9rocsparseL19gtsv_LBM_rhs_kernelILj256ELj128ELj8EfEEviiiPKT2_S3_S3_PS1_S3_PKi
                                        ; -- End function
	.set _ZN9rocsparseL19gtsv_LBM_rhs_kernelILj256ELj128ELj8EfEEviiiPKT2_S3_S3_PS1_S3_PKi.num_vgpr, 62
	.set _ZN9rocsparseL19gtsv_LBM_rhs_kernelILj256ELj128ELj8EfEEviiiPKT2_S3_S3_PS1_S3_PKi.num_agpr, 0
	.set _ZN9rocsparseL19gtsv_LBM_rhs_kernelILj256ELj128ELj8EfEEviiiPKT2_S3_S3_PS1_S3_PKi.numbered_sgpr, 37
	.set _ZN9rocsparseL19gtsv_LBM_rhs_kernelILj256ELj128ELj8EfEEviiiPKT2_S3_S3_PS1_S3_PKi.num_named_barrier, 0
	.set _ZN9rocsparseL19gtsv_LBM_rhs_kernelILj256ELj128ELj8EfEEviiiPKT2_S3_S3_PS1_S3_PKi.private_seg_size, 0
	.set _ZN9rocsparseL19gtsv_LBM_rhs_kernelILj256ELj128ELj8EfEEviiiPKT2_S3_S3_PS1_S3_PKi.uses_vcc, 1
	.set _ZN9rocsparseL19gtsv_LBM_rhs_kernelILj256ELj128ELj8EfEEviiiPKT2_S3_S3_PS1_S3_PKi.uses_flat_scratch, 0
	.set _ZN9rocsparseL19gtsv_LBM_rhs_kernelILj256ELj128ELj8EfEEviiiPKT2_S3_S3_PS1_S3_PKi.has_dyn_sized_stack, 0
	.set _ZN9rocsparseL19gtsv_LBM_rhs_kernelILj256ELj128ELj8EfEEviiiPKT2_S3_S3_PS1_S3_PKi.has_recursion, 0
	.set _ZN9rocsparseL19gtsv_LBM_rhs_kernelILj256ELj128ELj8EfEEviiiPKT2_S3_S3_PS1_S3_PKi.has_indirect_call, 0
	.section	.AMDGPU.csdata,"",@progbits
; Kernel info:
; codeLenInByte = 4652
; TotalNumSgprs: 41
; NumVgprs: 62
; ScratchSize: 0
; MemoryBound: 0
; FloatMode: 240
; IeeeMode: 1
; LDSByteSize: 0 bytes/workgroup (compile time only)
; SGPRBlocks: 5
; VGPRBlocks: 15
; NumSGPRsForWavesPerEU: 41
; NumVGPRsForWavesPerEU: 62
; Occupancy: 4
; WaveLimiterHint : 0
; COMPUTE_PGM_RSRC2:SCRATCH_EN: 0
; COMPUTE_PGM_RSRC2:USER_SGPR: 6
; COMPUTE_PGM_RSRC2:TRAP_HANDLER: 0
; COMPUTE_PGM_RSRC2:TGID_X_EN: 1
; COMPUTE_PGM_RSRC2:TGID_Y_EN: 1
; COMPUTE_PGM_RSRC2:TGID_Z_EN: 0
; COMPUTE_PGM_RSRC2:TIDIG_COMP_CNT: 0
	.section	.text._ZN9rocsparseL19gtsv_LBM_rhs_kernelILj256ELj128ELj4EfEEviiiPKT2_S3_S3_PS1_S3_PKi,"axG",@progbits,_ZN9rocsparseL19gtsv_LBM_rhs_kernelILj256ELj128ELj4EfEEviiiPKT2_S3_S3_PS1_S3_PKi,comdat
	.globl	_ZN9rocsparseL19gtsv_LBM_rhs_kernelILj256ELj128ELj4EfEEviiiPKT2_S3_S3_PS1_S3_PKi ; -- Begin function _ZN9rocsparseL19gtsv_LBM_rhs_kernelILj256ELj128ELj4EfEEviiiPKT2_S3_S3_PS1_S3_PKi
	.p2align	8
	.type	_ZN9rocsparseL19gtsv_LBM_rhs_kernelILj256ELj128ELj4EfEEviiiPKT2_S3_S3_PS1_S3_PKi,@function
_ZN9rocsparseL19gtsv_LBM_rhs_kernelILj256ELj128ELj4EfEEviiiPKT2_S3_S3_PS1_S3_PKi: ; @_ZN9rocsparseL19gtsv_LBM_rhs_kernelILj256ELj128ELj4EfEEviiiPKT2_S3_S3_PS1_S3_PKi
; %bb.0:
	s_load_dword s23, s[4:5], 0x0
	v_lshl_or_b32 v0, s6, 8, v0
	s_waitcnt lgkmcnt(0)
	s_lshr_b32 s22, s23, 7
	v_cmp_gt_i32_e32 vcc, s22, v0
	s_and_saveexec_b64 s[0:1], vcc
	s_cbranch_execz .LBB72_29
; %bb.1:
	s_load_dwordx4 s[8:11], s[4:5], 0x28
	s_load_dwordx2 s[16:17], s[4:5], 0x38
	s_cmp_lt_i32 s23, 1
	v_add_u32_e32 v11, s22, v0
	s_mul_i32 s24, s7, s23
	s_cbranch_scc1 .LBB72_21
; %bb.2:
	s_load_dwordx4 s[12:15], s[4:5], 0x10
	s_load_dwordx2 s[6:7], s[4:5], 0x20
	v_ashrrev_i32_e32 v1, 31, v0
	v_lshlrev_b64 v[1:2], 2, v[0:1]
	s_lshl_b32 s28, s24, 2
	s_waitcnt lgkmcnt(0)
	v_mov_b32_e32 v3, s15
	v_add_co_u32_e32 v1, vcc, s14, v1
	v_addc_co_u32_e32 v2, vcc, v3, v2, vcc
	global_load_dword v16, v[1:2], off
	s_add_i32 s29, s28, s23
	s_add_i32 s30, s29, s23
	s_mul_i32 s25, s22, 0x7f
	s_mul_i32 s26, s22, 0x7e
	s_lshl_b32 s27, s22, 1
	v_add_u32_e32 v13, s22, v11
	s_add_i32 s31, s30, s23
	v_mov_b32_e32 v2, 0
	s_mov_b64 s[18:19], 0
	v_mov_b32_e32 v14, s7
	v_mov_b32_e32 v12, 0
	s_branch .LBB72_5
.LBB72_3:                               ;   in Loop: Header=BB72_5 Depth=1
	s_or_b64 exec, exec, s[4:5]
	v_fma_f32 v16, -v16, v22, v18
	v_mov_b32_e32 v1, s22
.LBB72_4:                               ;   in Loop: Header=BB72_5 Depth=1
	s_or_b64 exec, exec, s[2:3]
	v_add_u32_e32 v12, v1, v12
	v_cmp_le_i32_e32 vcc, s23, v12
	s_or_b64 s[18:19], vcc, s[18:19]
	s_andn2_b64 exec, exec, s[18:19]
	s_cbranch_execz .LBB72_20
.LBB72_5:                               ; =>This Inner Loop Header: Depth=1
	v_add_u32_e32 v9, v12, v0
	v_ashrrev_i32_e32 v10, 31, v9
	v_lshlrev_b64 v[3:4], 2, v[9:10]
	v_cmp_gt_u32_e64 s[0:1], s25, v12
	v_add_co_u32_e32 v5, vcc, s6, v3
	v_addc_co_u32_e32 v6, vcc, v14, v4, vcc
	global_load_dword v19, v[5:6], off
	v_mov_b32_e32 v15, 0
	s_and_saveexec_b64 s[2:3], s[0:1]
	s_cbranch_execz .LBB72_7
; %bb.6:                                ;   in Loop: Header=BB72_5 Depth=1
	v_add_u32_e32 v5, v11, v12
	v_ashrrev_i32_e32 v6, 31, v5
	v_lshlrev_b64 v[5:6], 2, v[5:6]
	v_mov_b32_e32 v1, s13
	v_add_co_u32_e32 v5, vcc, s12, v5
	v_addc_co_u32_e32 v6, vcc, v1, v6, vcc
	global_load_dword v15, v[5:6], off
.LBB72_7:                               ;   in Loop: Header=BB72_5 Depth=1
	s_or_b64 exec, exec, s[2:3]
	v_mov_b32_e32 v17, 0
	v_mov_b32_e32 v18, 0
	s_and_saveexec_b64 s[2:3], s[0:1]
	s_cbranch_execz .LBB72_9
; %bb.8:                                ;   in Loop: Header=BB72_5 Depth=1
	v_add_u32_e32 v5, v11, v12
	v_ashrrev_i32_e32 v6, 31, v5
	v_lshlrev_b64 v[5:6], 2, v[5:6]
	v_mov_b32_e32 v1, s15
	v_add_co_u32_e32 v5, vcc, s14, v5
	v_addc_co_u32_e32 v6, vcc, v1, v6, vcc
	global_load_dword v18, v[5:6], off
.LBB72_9:                               ;   in Loop: Header=BB72_5 Depth=1
	s_or_b64 exec, exec, s[2:3]
	s_and_saveexec_b64 s[2:3], s[0:1]
	s_cbranch_execz .LBB72_11
; %bb.10:                               ;   in Loop: Header=BB72_5 Depth=1
	v_add_u32_e32 v5, v11, v12
	v_ashrrev_i32_e32 v6, 31, v5
	v_lshlrev_b64 v[5:6], 2, v[5:6]
	v_mov_b32_e32 v1, s7
	v_add_co_u32_e32 v5, vcc, s6, v5
	v_addc_co_u32_e32 v6, vcc, v1, v6, vcc
	global_load_dword v17, v[5:6], off
.LBB72_11:                              ;   in Loop: Header=BB72_5 Depth=1
	s_or_b64 exec, exec, s[2:3]
	v_cmp_gt_u32_e64 s[2:3], s26, v12
	v_mov_b32_e32 v20, 0
	s_and_saveexec_b64 s[4:5], s[2:3]
	s_cbranch_execz .LBB72_13
; %bb.12:                               ;   in Loop: Header=BB72_5 Depth=1
	v_add_u32_e32 v5, v13, v12
	v_ashrrev_i32_e32 v6, 31, v5
	v_lshlrev_b64 v[5:6], 2, v[5:6]
	v_mov_b32_e32 v1, s13
	v_add_co_u32_e32 v5, vcc, s12, v5
	v_addc_co_u32_e32 v6, vcc, v1, v6, vcc
	global_load_dword v20, v[5:6], off
.LBB72_13:                              ;   in Loop: Header=BB72_5 Depth=1
	s_or_b64 exec, exec, s[4:5]
	v_mov_b32_e32 v1, s17
	v_add_co_u32_e32 v3, vcc, s16, v3
	v_addc_co_u32_e32 v4, vcc, v1, v4, vcc
	v_add_u32_e32 v1, s28, v9
	global_load_dword v22, v[3:4], off
	v_lshlrev_b64 v[3:4], 2, v[1:2]
	v_add_u32_e32 v1, s29, v9
	s_waitcnt vmcnt(2)
	v_mov_b32_e32 v21, s9
	v_add_co_u32_e32 v3, vcc, s8, v3
	v_lshlrev_b64 v[5:6], 2, v[1:2]
	v_addc_co_u32_e32 v4, vcc, v21, v4, vcc
	v_add_u32_e32 v1, s30, v9
	v_add_co_u32_e32 v5, vcc, s8, v5
	v_lshlrev_b64 v[7:8], 2, v[1:2]
	v_addc_co_u32_e32 v6, vcc, v21, v6, vcc
	v_add_u32_e32 v1, s31, v9
	v_add_co_u32_e32 v7, vcc, s8, v7
	v_lshlrev_b64 v[9:10], 2, v[1:2]
	v_addc_co_u32_e32 v8, vcc, v21, v8, vcc
	v_add_co_u32_e32 v9, vcc, s8, v9
	v_addc_co_u32_e32 v10, vcc, v21, v10, vcc
	global_load_dword v25, v[3:4], off
	global_load_dword v24, v[5:6], off
	;; [unrolled: 1-line block ×4, first 2 shown]
	v_cmp_ne_u32_e64 s[4:5], s25, v12
	s_waitcnt vmcnt(4)
	v_cmp_ne_u32_e32 vcc, 1, v22
	s_and_b64 s[4:5], s[4:5], vcc
	v_mul_f32_e32 v22, v19, v15
	s_and_saveexec_b64 s[20:21], s[4:5]
	s_xor_b64 s[4:5], exec, s[20:21]
	s_cbranch_execz .LBB72_17
; %bb.14:                               ;   in Loop: Header=BB72_5 Depth=1
	v_add_u32_e32 v34, v11, v12
	v_add_u32_e32 v1, s28, v34
	v_lshlrev_b64 v[26:27], 2, v[1:2]
	v_mov_b32_e32 v35, s9
	v_add_co_u32_e32 v28, vcc, s8, v26
	v_add_u32_e32 v1, s29, v34
	v_addc_co_u32_e32 v29, vcc, v35, v27, vcc
	v_lshlrev_b64 v[26:27], 2, v[1:2]
	v_add_u32_e32 v1, s30, v34
	v_add_co_u32_e32 v30, vcc, s8, v26
	v_addc_co_u32_e32 v31, vcc, v35, v27, vcc
	v_lshlrev_b64 v[26:27], 2, v[1:2]
	v_add_u32_e32 v1, s31, v34
	v_add_co_u32_e32 v32, vcc, s8, v26
	v_addc_co_u32_e32 v33, vcc, v35, v27, vcc
	v_lshlrev_b64 v[26:27], 2, v[1:2]
	v_fma_f32 v1, v16, v18, -v22
	v_div_scale_f32 v22, s[20:21], v1, v1, 1.0
	v_add_co_u32_e32 v34, vcc, s8, v26
	v_addc_co_u32_e32 v35, vcc, v35, v27, vcc
	v_rcp_f32_e32 v26, v22
	v_fma_f32 v27, -v22, v26, 1.0
	v_fmac_f32_e32 v26, v27, v26
	v_div_scale_f32 v27, vcc, 1.0, v1, 1.0
	v_mul_f32_e32 v36, v27, v26
	v_fma_f32 v37, -v22, v36, v27
	v_fmac_f32_e32 v36, v37, v26
	v_fma_f32 v22, -v22, v36, v27
	v_div_fmas_f32 v22, v22, v26, v36
	v_div_fixup_f32 v22, v22, v1, 1.0
	global_load_dword v1, v[28:29], off
	global_load_dword v27, v[30:31], off
	;; [unrolled: 1-line block ×4, first 2 shown]
	s_waitcnt vmcnt(7)
	v_mul_f32_e32 v25, v22, v25
	s_waitcnt vmcnt(6)
	v_mul_f32_e32 v24, v22, v24
	;; [unrolled: 2-line block ×3, first 2 shown]
	v_mul_f32_e32 v26, v22, v1
	v_mul_f32_e32 v1, v19, v26
	v_fma_f32 v1, v18, v25, -v1
	global_store_dword v[3:4], v1, off
	v_mul_f32_e32 v1, v19, v27
	v_fma_f32 v1, v18, v24, -v1
	s_waitcnt vmcnt(2)
	v_mul_f32_e32 v4, v22, v36
	global_store_dword v[5:6], v1, off
	v_mul_f32_e32 v3, v22, v23
	v_mul_f32_e32 v1, v19, v4
	v_fma_f32 v1, v18, v3, -v1
	s_waitcnt vmcnt(2)
	v_mul_f32_e32 v6, v22, v37
	global_store_dword v[7:8], v1, off
	v_mul_f32_e32 v5, v22, v21
	v_mul_f32_e32 v1, v19, v6
	v_fma_f32 v1, v18, v5, -v1
	global_store_dword v[9:10], v1, off
	v_mul_f32_e32 v1, v15, v25
	v_fma_f32 v1, v16, v26, -v1
	v_mul_f32_e32 v7, v15, v24
	global_store_dword v[28:29], v1, off
	v_mul_f32_e32 v1, v15, v3
	v_mul_f32_e32 v8, v15, v5
	v_fma_f32 v7, v16, v27, -v7
	v_fma_f32 v1, v16, v4, -v1
	;; [unrolled: 1-line block ×3, first 2 shown]
	global_store_dword v[30:31], v7, off
	global_store_dword v[32:33], v1, off
	;; [unrolled: 1-line block ×3, first 2 shown]
	v_mov_b32_e32 v1, 0
	s_and_saveexec_b64 s[20:21], s[2:3]
	s_cbranch_execz .LBB72_16
; %bb.15:                               ;   in Loop: Header=BB72_5 Depth=1
	v_add_u32_e32 v7, v13, v12
	v_add_u32_e32 v1, s28, v7
	v_lshlrev_b64 v[8:9], 2, v[1:2]
	v_mov_b32_e32 v10, s9
	v_add_co_u32_e32 v18, vcc, s8, v8
	v_add_u32_e32 v1, s29, v7
	v_addc_co_u32_e32 v19, vcc, v10, v9, vcc
	v_lshlrev_b64 v[8:9], 2, v[1:2]
	global_load_dword v23, v[18:19], off
	v_add_co_u32_e32 v28, vcc, s8, v8
	v_addc_co_u32_e32 v29, vcc, v10, v9, vcc
	global_load_dword v30, v[28:29], off
	v_mul_f32_e32 v32, v16, v20
	v_mul_f32_e32 v31, v15, v20
	;; [unrolled: 1-line block ×3, first 2 shown]
	v_fma_f32 v25, v31, v25, -v1
	v_add_u32_e32 v1, s30, v7
	v_lshlrev_b64 v[15:16], 2, v[1:2]
	v_add_u32_e32 v1, s31, v7
	v_lshlrev_b64 v[20:21], 2, v[1:2]
	v_add_co_u32_e32 v15, vcc, s8, v15
	v_mul_f32_e32 v9, v32, v27
	v_ashrrev_i32_e32 v8, 31, v7
	v_addc_co_u32_e32 v16, vcc, v10, v16, vcc
	v_fma_f32 v24, v31, v24, -v9
	v_lshlrev_b64 v[8:9], 2, v[7:8]
	v_add_co_u32_e32 v20, vcc, s8, v20
	v_addc_co_u32_e32 v21, vcc, v10, v21, vcc
	v_mov_b32_e32 v33, s15
	v_add_co_u32_e32 v7, vcc, s14, v8
	v_addc_co_u32_e32 v8, vcc, v33, v9, vcc
	v_mul_f32_e32 v4, v32, v4
	v_mul_f32_e32 v6, v32, v6
	v_fma_f32 v3, v31, v3, -v4
	v_fma_f32 v4, v31, v5, -v6
	s_waitcnt vmcnt(1)
	v_add_f32_e32 v1, v25, v23
	global_store_dword v[18:19], v1, off
	s_waitcnt vmcnt(1)
	v_add_f32_e32 v1, v24, v30
	global_store_dword v[28:29], v1, off
	global_load_dword v1, v[15:16], off
	s_nop 0
	global_load_dword v10, v[20:21], off
	s_waitcnt vmcnt(1)
	v_add_f32_e32 v1, v3, v1
	global_load_dword v7, v[7:8], off
	v_mul_f32_e32 v8, v17, v32
	global_store_dword v[15:16], v1, off
	s_waitcnt vmcnt(2)
	v_add_f32_e32 v1, v4, v10
	global_store_dword v[20:21], v1, off
	s_waitcnt vmcnt(2)
	v_fma_f32 v1, -v22, v8, v7
.LBB72_16:                              ;   in Loop: Header=BB72_5 Depth=1
	s_or_b64 exec, exec, s[20:21]
	v_mov_b32_e32 v16, v1
                                        ; implicit-def: $vgpr15
                                        ; implicit-def: $vgpr18
                                        ; implicit-def: $vgpr22
                                        ; implicit-def: $vgpr3_vgpr4
                                        ; implicit-def: $vgpr25
                                        ; implicit-def: $vgpr5_vgpr6
                                        ; implicit-def: $vgpr24
                                        ; implicit-def: $vgpr7_vgpr8
                                        ; implicit-def: $vgpr23
                                        ; implicit-def: $vgpr9_vgpr10
                                        ; implicit-def: $vgpr21
.LBB72_17:                              ;   in Loop: Header=BB72_5 Depth=1
	s_or_saveexec_b64 s[2:3], s[4:5]
	v_mov_b32_e32 v1, s27
	s_xor_b64 exec, exec, s[2:3]
	s_cbranch_execz .LBB72_4
; %bb.18:                               ;   in Loop: Header=BB72_5 Depth=1
	v_div_scale_f32 v1, s[4:5], v16, v16, 1.0
	v_div_scale_f32 v17, vcc, 1.0, v16, 1.0
	v_rcp_f32_e32 v19, v1
	v_fma_f32 v20, -v1, v19, 1.0
	v_fmac_f32_e32 v19, v20, v19
	v_mul_f32_e32 v20, v17, v19
	v_fma_f32 v26, -v1, v20, v17
	v_fmac_f32_e32 v20, v26, v19
	v_fma_f32 v1, -v1, v20, v17
	v_div_fmas_f32 v1, v1, v19, v20
	v_div_fixup_f32 v16, v1, v16, 1.0
	s_waitcnt vmcnt(3)
	v_mul_f32_e32 v25, v16, v25
	s_waitcnt vmcnt(2)
	v_mul_f32_e32 v20, v16, v24
	;; [unrolled: 2-line block ×4, first 2 shown]
	global_store_dword v[3:4], v25, off
	global_store_dword v[5:6], v20, off
	;; [unrolled: 1-line block ×4, first 2 shown]
	s_and_saveexec_b64 s[4:5], s[0:1]
	s_cbranch_execz .LBB72_3
; %bb.19:                               ;   in Loop: Header=BB72_5 Depth=1
	v_add_u32_e32 v9, v11, v12
	v_add_u32_e32 v1, s28, v9
	v_lshlrev_b64 v[3:4], 2, v[1:2]
	v_add_u32_e32 v1, s29, v9
	v_mov_b32_e32 v21, s9
	v_add_co_u32_e32 v3, vcc, s8, v3
	v_lshlrev_b64 v[5:6], 2, v[1:2]
	v_addc_co_u32_e32 v4, vcc, v21, v4, vcc
	v_add_co_u32_e32 v5, vcc, s8, v5
	global_load_dword v23, v[3:4], off
	v_addc_co_u32_e32 v6, vcc, v21, v6, vcc
	global_load_dword v24, v[5:6], off
	v_add_u32_e32 v1, s30, v9
	v_lshlrev_b64 v[7:8], 2, v[1:2]
	v_add_u32_e32 v1, s31, v9
	v_lshlrev_b64 v[9:10], 2, v[1:2]
	v_add_co_u32_e32 v7, vcc, s8, v7
	v_addc_co_u32_e32 v8, vcc, v21, v8, vcc
	v_add_co_u32_e32 v9, vcc, s8, v9
	v_addc_co_u32_e32 v10, vcc, v21, v10, vcc
	s_waitcnt vmcnt(1)
	v_fma_f32 v1, -v15, v25, v23
	global_store_dword v[3:4], v1, off
	global_load_dword v3, v[7:8], off
	s_waitcnt vmcnt(2)
	v_fma_f32 v1, -v15, v20, v24
	global_store_dword v[5:6], v1, off
	global_load_dword v1, v[9:10], off
	s_waitcnt vmcnt(2)
	v_fma_f32 v3, -v15, v19, v3
	global_store_dword v[7:8], v3, off
	s_waitcnt vmcnt(1)
	v_fma_f32 v1, -v15, v17, v1
	global_store_dword v[9:10], v1, off
	s_branch .LBB72_3
.LBB72_20:
	s_or_b64 exec, exec, s[18:19]
	s_branch .LBB72_22
.LBB72_21:
	v_mov_b32_e32 v12, 0
.LBB72_22:
	v_subrev_u32_e32 v3, s22, v12
	v_add_u32_e32 v1, v3, v0
	v_ashrrev_i32_e32 v2, 31, v1
	v_lshlrev_b64 v[1:2], 2, v[1:2]
	s_waitcnt lgkmcnt(0)
	v_mov_b32_e32 v4, s17
	v_add_co_u32_e32 v1, vcc, s16, v1
	v_addc_co_u32_e32 v2, vcc, v4, v2, vcc
	s_waitcnt vmcnt(0)
	buffer_wbinvl1_vol
	global_load_dword v1, v[1:2], off
	s_waitcnt vmcnt(0)
	v_mul_lo_u32 v1, v1, s22
	v_sub_u32_e32 v5, v3, v1
	v_cmp_lt_i32_e32 vcc, -1, v5
	s_and_b64 exec, exec, vcc
	s_cbranch_execz .LBB72_29
; %bb.23:
	s_lshl_b32 s4, s24, 2
	s_add_i32 s5, s4, s23
	s_add_i32 s6, s5, s23
	;; [unrolled: 1-line block ×3, first 2 shown]
	s_lshl_b32 s12, s22, 1
	s_mov_b64 s[0:1], 0
	v_mov_b32_e32 v6, s17
	v_mov_b32_e32 v7, s11
	;; [unrolled: 1-line block ×3, first 2 shown]
	s_branch .LBB72_25
.LBB72_24:                              ;   in Loop: Header=BB72_25 Depth=1
	s_or_b64 exec, exec, s[2:3]
	v_sub_u32_e32 v5, v5, v1
	v_cmp_gt_i32_e32 vcc, 0, v5
	s_or_b64 s[0:1], vcc, s[0:1]
	s_andn2_b64 exec, exec, s[0:1]
	s_cbranch_execz .LBB72_29
.LBB72_25:                              ; =>This Inner Loop Header: Depth=1
	v_add_u32_e32 v3, v5, v0
	s_waitcnt vmcnt(0)
	v_ashrrev_i32_e32 v4, 31, v3
	v_lshlrev_b64 v[8:9], 2, v[3:4]
	v_add_co_u32_e32 v12, vcc, s16, v8
	v_addc_co_u32_e32 v13, vcc, v6, v9, vcc
	v_add_co_u32_e32 v8, vcc, s10, v8
	global_load_dword v1, v[12:13], off
	v_addc_co_u32_e32 v9, vcc, v7, v9, vcc
	global_load_dword v4, v[8:9], off
	s_waitcnt vmcnt(1)
	v_cmp_ne_u32_e32 vcc, 1, v1
	s_and_saveexec_b64 s[2:3], vcc
	s_xor_b64 s[2:3], exec, s[2:3]
	s_cbranch_execz .LBB72_27
; %bb.26:                               ;   in Loop: Header=BB72_25 Depth=1
	v_add_u32_e32 v10, v11, v5
	v_add_u32_e32 v1, s4, v10
	v_lshlrev_b64 v[8:9], 2, v[1:2]
	v_mov_b32_e32 v1, s9
	v_add_co_u32_e32 v8, vcc, s8, v8
	v_addc_co_u32_e32 v9, vcc, v1, v9, vcc
	v_add_u32_e32 v1, s5, v10
	v_lshlrev_b64 v[12:13], 2, v[1:2]
	v_add_u32_e32 v1, s6, v10
	v_lshlrev_b64 v[14:15], 2, v[1:2]
	v_add_u32_e32 v1, s7, v10
	v_lshlrev_b64 v[16:17], 2, v[1:2]
	v_add_u32_e32 v1, s4, v3
	v_lshlrev_b64 v[18:19], 2, v[1:2]
	v_mov_b32_e32 v1, s9
	v_add_co_u32_e32 v18, vcc, s8, v18
	v_addc_co_u32_e32 v19, vcc, v1, v19, vcc
	global_load_dword v10, v[8:9], off
	global_load_dword v20, v[18:19], off
	v_add_co_u32_e32 v8, vcc, s8, v12
	v_addc_co_u32_e32 v9, vcc, v1, v13, vcc
	v_mov_b32_e32 v21, s9
	v_add_co_u32_e32 v12, vcc, s8, v14
	v_addc_co_u32_e32 v13, vcc, v21, v15, vcc
	v_mov_b32_e32 v22, s9
	v_add_co_u32_e32 v14, vcc, s8, v16
	v_add_u32_e32 v1, s5, v3
	v_addc_co_u32_e32 v15, vcc, v22, v17, vcc
	global_load_dword v16, v[8:9], off
	global_load_dword v17, v[12:13], off
	;; [unrolled: 1-line block ×3, first 2 shown]
	v_lshlrev_b64 v[8:9], 2, v[1:2]
	v_mov_b32_e32 v12, s9
	v_add_co_u32_e32 v8, vcc, s8, v8
	v_addc_co_u32_e32 v9, vcc, v12, v9, vcc
	v_mov_b32_e32 v15, s9
	s_waitcnt vmcnt(3)
	v_fma_f32 v1, -v4, v10, v20
	global_store_dword v[18:19], v1, off
	global_load_dword v14, v[8:9], off
	v_add_u32_e32 v1, s6, v3
	v_lshlrev_b64 v[12:13], 2, v[1:2]
	v_add_co_u32_e32 v12, vcc, s8, v12
	v_addc_co_u32_e32 v13, vcc, v15, v13, vcc
	s_waitcnt vmcnt(0)
	v_fma_f32 v1, -v4, v16, v14
	global_store_dword v[8:9], v1, off
	global_load_dword v14, v[12:13], off
	v_add_u32_e32 v1, s7, v3
	v_lshlrev_b64 v[8:9], 2, v[1:2]
	v_add_co_u32_e32 v8, vcc, s8, v8
	v_addc_co_u32_e32 v9, vcc, v15, v9, vcc
	s_waitcnt vmcnt(0)
	v_fma_f32 v1, -v4, v17, v14
	global_store_dword v[12:13], v1, off
	global_load_dword v3, v[8:9], off
	v_subrev_u32_e32 v1, s22, v5
	v_add_u32_e32 v12, v1, v0
	v_ashrrev_i32_e32 v13, 31, v12
	v_lshlrev_b64 v[13:14], 2, v[12:13]
	v_add_u32_e32 v1, s4, v12
	v_add_co_u32_e32 v13, vcc, s10, v13
	v_addc_co_u32_e32 v14, vcc, v7, v14, vcc
	global_load_dword v18, v[13:14], off
	v_lshlrev_b64 v[13:14], 2, v[1:2]
	v_add_co_u32_e32 v13, vcc, s8, v13
	v_addc_co_u32_e32 v14, vcc, v15, v14, vcc
	s_waitcnt vmcnt(1)
	v_fma_f32 v1, -v4, v21, v3
	global_store_dword v[8:9], v1, off
	global_load_dword v8, v[13:14], off
	v_add_u32_e32 v1, s5, v12
	v_lshlrev_b64 v[3:4], 2, v[1:2]
	v_mov_b32_e32 v9, s9
	v_add_co_u32_e32 v3, vcc, s8, v3
	v_addc_co_u32_e32 v4, vcc, v9, v4, vcc
	s_waitcnt vmcnt(0)
	v_fma_f32 v1, -v18, v10, v8
	global_store_dword v[13:14], v1, off
	global_load_dword v10, v[3:4], off
	v_add_u32_e32 v1, s6, v12
	v_lshlrev_b64 v[8:9], 2, v[1:2]
	v_mov_b32_e32 v13, s9
	v_add_co_u32_e32 v8, vcc, s8, v8
	v_addc_co_u32_e32 v9, vcc, v13, v9, vcc
	s_waitcnt vmcnt(0)
	v_fma_f32 v1, -v18, v16, v10
	global_store_dword v[3:4], v1, off
	global_load_dword v10, v[8:9], off
	v_add_u32_e32 v1, s7, v12
	v_lshlrev_b64 v[3:4], 2, v[1:2]
	v_add_co_u32_e32 v3, vcc, s8, v3
	v_addc_co_u32_e32 v4, vcc, v13, v4, vcc
	s_waitcnt vmcnt(0)
	v_fma_f32 v1, -v18, v17, v10
	global_store_dword v[8:9], v1, off
	global_load_dword v1, v[3:4], off
	s_waitcnt vmcnt(0)
	v_fma_f32 v1, -v18, v21, v1
	global_store_dword v[3:4], v1, off
                                        ; implicit-def: $vgpr3
                                        ; implicit-def: $vgpr4
.LBB72_27:                              ;   in Loop: Header=BB72_25 Depth=1
	s_or_saveexec_b64 s[2:3], s[2:3]
	v_mov_b32_e32 v1, s12
	s_xor_b64 exec, exec, s[2:3]
	s_cbranch_execz .LBB72_24
; %bb.28:                               ;   in Loop: Header=BB72_25 Depth=1
	v_add_u32_e32 v10, v11, v5
	v_add_u32_e32 v1, s4, v10
	v_lshlrev_b64 v[8:9], 2, v[1:2]
	v_mov_b32_e32 v1, s9
	v_add_co_u32_e32 v8, vcc, s8, v8
	v_addc_co_u32_e32 v9, vcc, v1, v9, vcc
	v_add_u32_e32 v1, s4, v3
	v_lshlrev_b64 v[12:13], 2, v[1:2]
	v_mov_b32_e32 v1, s9
	v_add_co_u32_e32 v12, vcc, s8, v12
	v_addc_co_u32_e32 v13, vcc, v1, v13, vcc
	global_load_dword v16, v[8:9], off
	global_load_dword v17, v[12:13], off
	v_add_u32_e32 v1, s5, v10
	v_lshlrev_b64 v[8:9], 2, v[1:2]
	v_add_u32_e32 v1, s5, v3
	v_mov_b32_e32 v18, s9
	v_lshlrev_b64 v[14:15], 2, v[1:2]
	v_add_co_u32_e32 v8, vcc, s8, v8
	v_addc_co_u32_e32 v9, vcc, v18, v9, vcc
	v_mov_b32_e32 v19, s9
	v_add_co_u32_e32 v14, vcc, s8, v14
	v_addc_co_u32_e32 v15, vcc, v19, v15, vcc
	s_waitcnt vmcnt(0)
	v_fma_f32 v1, -v4, v16, v17
	global_store_dword v[12:13], v1, off
	global_load_dword v16, v[8:9], off
	global_load_dword v17, v[14:15], off
	v_add_u32_e32 v1, s6, v10
	v_lshlrev_b64 v[8:9], 2, v[1:2]
	v_add_u32_e32 v1, s6, v3
	v_lshlrev_b64 v[12:13], 2, v[1:2]
	v_add_co_u32_e32 v8, vcc, s8, v8
	v_addc_co_u32_e32 v9, vcc, v18, v9, vcc
	v_add_co_u32_e32 v12, vcc, s8, v12
	v_addc_co_u32_e32 v13, vcc, v19, v13, vcc
	s_waitcnt vmcnt(0)
	v_fma_f32 v1, -v4, v16, v17
	global_store_dword v[14:15], v1, off
	global_load_dword v16, v[8:9], off
	global_load_dword v17, v[12:13], off
	v_add_u32_e32 v1, s7, v10
	v_lshlrev_b64 v[8:9], 2, v[1:2]
	v_add_u32_e32 v1, s7, v3
	v_lshlrev_b64 v[14:15], 2, v[1:2]
	v_add_co_u32_e32 v8, vcc, s8, v8
	v_addc_co_u32_e32 v9, vcc, v18, v9, vcc
	v_add_co_u32_e32 v14, vcc, s8, v14
	v_addc_co_u32_e32 v15, vcc, v19, v15, vcc
	s_waitcnt vmcnt(0)
	v_fma_f32 v1, -v4, v16, v17
	global_store_dword v[12:13], v1, off
	global_load_dword v1, v[8:9], off
	s_nop 0
	global_load_dword v3, v[14:15], off
	s_waitcnt vmcnt(0)
	v_fma_f32 v1, -v4, v1, v3
	global_store_dword v[14:15], v1, off
	v_mov_b32_e32 v1, s22
	s_branch .LBB72_24
.LBB72_29:
	s_endpgm
	.section	.rodata,"a",@progbits
	.p2align	6, 0x0
	.amdhsa_kernel _ZN9rocsparseL19gtsv_LBM_rhs_kernelILj256ELj128ELj4EfEEviiiPKT2_S3_S3_PS1_S3_PKi
		.amdhsa_group_segment_fixed_size 0
		.amdhsa_private_segment_fixed_size 0
		.amdhsa_kernarg_size 64
		.amdhsa_user_sgpr_count 6
		.amdhsa_user_sgpr_private_segment_buffer 1
		.amdhsa_user_sgpr_dispatch_ptr 0
		.amdhsa_user_sgpr_queue_ptr 0
		.amdhsa_user_sgpr_kernarg_segment_ptr 1
		.amdhsa_user_sgpr_dispatch_id 0
		.amdhsa_user_sgpr_flat_scratch_init 0
		.amdhsa_user_sgpr_private_segment_size 0
		.amdhsa_uses_dynamic_stack 0
		.amdhsa_system_sgpr_private_segment_wavefront_offset 0
		.amdhsa_system_sgpr_workgroup_id_x 1
		.amdhsa_system_sgpr_workgroup_id_y 1
		.amdhsa_system_sgpr_workgroup_id_z 0
		.amdhsa_system_sgpr_workgroup_info 0
		.amdhsa_system_vgpr_workitem_id 0
		.amdhsa_next_free_vgpr 38
		.amdhsa_next_free_sgpr 32
		.amdhsa_reserve_vcc 1
		.amdhsa_reserve_flat_scratch 0
		.amdhsa_float_round_mode_32 0
		.amdhsa_float_round_mode_16_64 0
		.amdhsa_float_denorm_mode_32 3
		.amdhsa_float_denorm_mode_16_64 3
		.amdhsa_dx10_clamp 1
		.amdhsa_ieee_mode 1
		.amdhsa_fp16_overflow 0
		.amdhsa_exception_fp_ieee_invalid_op 0
		.amdhsa_exception_fp_denorm_src 0
		.amdhsa_exception_fp_ieee_div_zero 0
		.amdhsa_exception_fp_ieee_overflow 0
		.amdhsa_exception_fp_ieee_underflow 0
		.amdhsa_exception_fp_ieee_inexact 0
		.amdhsa_exception_int_div_zero 0
	.end_amdhsa_kernel
	.section	.text._ZN9rocsparseL19gtsv_LBM_rhs_kernelILj256ELj128ELj4EfEEviiiPKT2_S3_S3_PS1_S3_PKi,"axG",@progbits,_ZN9rocsparseL19gtsv_LBM_rhs_kernelILj256ELj128ELj4EfEEviiiPKT2_S3_S3_PS1_S3_PKi,comdat
.Lfunc_end72:
	.size	_ZN9rocsparseL19gtsv_LBM_rhs_kernelILj256ELj128ELj4EfEEviiiPKT2_S3_S3_PS1_S3_PKi, .Lfunc_end72-_ZN9rocsparseL19gtsv_LBM_rhs_kernelILj256ELj128ELj4EfEEviiiPKT2_S3_S3_PS1_S3_PKi
                                        ; -- End function
	.set _ZN9rocsparseL19gtsv_LBM_rhs_kernelILj256ELj128ELj4EfEEviiiPKT2_S3_S3_PS1_S3_PKi.num_vgpr, 38
	.set _ZN9rocsparseL19gtsv_LBM_rhs_kernelILj256ELj128ELj4EfEEviiiPKT2_S3_S3_PS1_S3_PKi.num_agpr, 0
	.set _ZN9rocsparseL19gtsv_LBM_rhs_kernelILj256ELj128ELj4EfEEviiiPKT2_S3_S3_PS1_S3_PKi.numbered_sgpr, 32
	.set _ZN9rocsparseL19gtsv_LBM_rhs_kernelILj256ELj128ELj4EfEEviiiPKT2_S3_S3_PS1_S3_PKi.num_named_barrier, 0
	.set _ZN9rocsparseL19gtsv_LBM_rhs_kernelILj256ELj128ELj4EfEEviiiPKT2_S3_S3_PS1_S3_PKi.private_seg_size, 0
	.set _ZN9rocsparseL19gtsv_LBM_rhs_kernelILj256ELj128ELj4EfEEviiiPKT2_S3_S3_PS1_S3_PKi.uses_vcc, 1
	.set _ZN9rocsparseL19gtsv_LBM_rhs_kernelILj256ELj128ELj4EfEEviiiPKT2_S3_S3_PS1_S3_PKi.uses_flat_scratch, 0
	.set _ZN9rocsparseL19gtsv_LBM_rhs_kernelILj256ELj128ELj4EfEEviiiPKT2_S3_S3_PS1_S3_PKi.has_dyn_sized_stack, 0
	.set _ZN9rocsparseL19gtsv_LBM_rhs_kernelILj256ELj128ELj4EfEEviiiPKT2_S3_S3_PS1_S3_PKi.has_recursion, 0
	.set _ZN9rocsparseL19gtsv_LBM_rhs_kernelILj256ELj128ELj4EfEEviiiPKT2_S3_S3_PS1_S3_PKi.has_indirect_call, 0
	.section	.AMDGPU.csdata,"",@progbits
; Kernel info:
; codeLenInByte = 2896
; TotalNumSgprs: 36
; NumVgprs: 38
; ScratchSize: 0
; MemoryBound: 0
; FloatMode: 240
; IeeeMode: 1
; LDSByteSize: 0 bytes/workgroup (compile time only)
; SGPRBlocks: 4
; VGPRBlocks: 9
; NumSGPRsForWavesPerEU: 36
; NumVGPRsForWavesPerEU: 38
; Occupancy: 6
; WaveLimiterHint : 0
; COMPUTE_PGM_RSRC2:SCRATCH_EN: 0
; COMPUTE_PGM_RSRC2:USER_SGPR: 6
; COMPUTE_PGM_RSRC2:TRAP_HANDLER: 0
; COMPUTE_PGM_RSRC2:TGID_X_EN: 1
; COMPUTE_PGM_RSRC2:TGID_Y_EN: 1
; COMPUTE_PGM_RSRC2:TGID_Z_EN: 0
; COMPUTE_PGM_RSRC2:TIDIG_COMP_CNT: 0
	.section	.text._ZN9rocsparseL19gtsv_LBM_rhs_kernelILj256ELj128ELj2EfEEviiiPKT2_S3_S3_PS1_S3_PKi,"axG",@progbits,_ZN9rocsparseL19gtsv_LBM_rhs_kernelILj256ELj128ELj2EfEEviiiPKT2_S3_S3_PS1_S3_PKi,comdat
	.globl	_ZN9rocsparseL19gtsv_LBM_rhs_kernelILj256ELj128ELj2EfEEviiiPKT2_S3_S3_PS1_S3_PKi ; -- Begin function _ZN9rocsparseL19gtsv_LBM_rhs_kernelILj256ELj128ELj2EfEEviiiPKT2_S3_S3_PS1_S3_PKi
	.p2align	8
	.type	_ZN9rocsparseL19gtsv_LBM_rhs_kernelILj256ELj128ELj2EfEEviiiPKT2_S3_S3_PS1_S3_PKi,@function
_ZN9rocsparseL19gtsv_LBM_rhs_kernelILj256ELj128ELj2EfEEviiiPKT2_S3_S3_PS1_S3_PKi: ; @_ZN9rocsparseL19gtsv_LBM_rhs_kernelILj256ELj128ELj2EfEEviiiPKT2_S3_S3_PS1_S3_PKi
; %bb.0:
	s_load_dword s23, s[4:5], 0x0
	v_lshl_or_b32 v0, s6, 8, v0
	s_waitcnt lgkmcnt(0)
	s_lshr_b32 s22, s23, 7
	v_cmp_gt_i32_e32 vcc, s22, v0
	s_and_saveexec_b64 s[0:1], vcc
	s_cbranch_execz .LBB73_29
; %bb.1:
	s_load_dwordx4 s[8:11], s[4:5], 0x28
	s_load_dwordx2 s[16:17], s[4:5], 0x38
	s_cmp_lt_i32 s23, 1
	v_add_u32_e32 v7, s22, v0
	s_mul_i32 s24, s7, s23
	s_cbranch_scc1 .LBB73_21
; %bb.2:
	s_load_dwordx4 s[12:15], s[4:5], 0x10
	s_load_dwordx2 s[6:7], s[4:5], 0x20
	v_ashrrev_i32_e32 v1, 31, v0
	v_lshlrev_b64 v[1:2], 2, v[0:1]
	s_lshl_b32 s28, s24, 1
	s_waitcnt lgkmcnt(0)
	v_mov_b32_e32 v3, s15
	v_add_co_u32_e32 v1, vcc, s14, v1
	v_addc_co_u32_e32 v2, vcc, v3, v2, vcc
	global_load_dword v11, v[1:2], off
	s_mul_i32 s25, s22, 0x7f
	s_mul_i32 s26, s22, 0x7e
	s_lshl_b32 s27, s22, 1
	v_add_u32_e32 v9, s22, v7
	s_add_i32 s29, s28, s23
	v_mov_b32_e32 v2, 0
	s_mov_b64 s[18:19], 0
	v_mov_b32_e32 v10, s7
	v_mov_b32_e32 v8, 0
	s_branch .LBB73_5
.LBB73_3:                               ;   in Loop: Header=BB73_5 Depth=1
	s_or_b64 exec, exec, s[4:5]
	v_fma_f32 v11, -v11, v18, v14
	v_mov_b32_e32 v1, s22
.LBB73_4:                               ;   in Loop: Header=BB73_5 Depth=1
	s_or_b64 exec, exec, s[2:3]
	v_add_u32_e32 v8, v1, v8
	v_cmp_le_i32_e32 vcc, s23, v8
	s_or_b64 s[18:19], vcc, s[18:19]
	s_andn2_b64 exec, exec, s[18:19]
	s_cbranch_execz .LBB73_20
.LBB73_5:                               ; =>This Inner Loop Header: Depth=1
	v_add_u32_e32 v3, v8, v0
	v_ashrrev_i32_e32 v4, 31, v3
	v_lshlrev_b64 v[4:5], 2, v[3:4]
	v_cmp_gt_u32_e64 s[0:1], s25, v8
	v_add_co_u32_e32 v12, vcc, s6, v4
	v_addc_co_u32_e32 v13, vcc, v10, v5, vcc
	global_load_dword v16, v[12:13], off
	v_mov_b32_e32 v12, 0
	s_and_saveexec_b64 s[2:3], s[0:1]
	s_cbranch_execz .LBB73_7
; %bb.6:                                ;   in Loop: Header=BB73_5 Depth=1
	v_add_u32_e32 v12, v7, v8
	v_ashrrev_i32_e32 v13, 31, v12
	v_lshlrev_b64 v[12:13], 2, v[12:13]
	v_mov_b32_e32 v1, s13
	v_add_co_u32_e32 v12, vcc, s12, v12
	v_addc_co_u32_e32 v13, vcc, v1, v13, vcc
	global_load_dword v12, v[12:13], off
.LBB73_7:                               ;   in Loop: Header=BB73_5 Depth=1
	s_or_b64 exec, exec, s[2:3]
	v_mov_b32_e32 v13, 0
	v_mov_b32_e32 v14, 0
	s_and_saveexec_b64 s[2:3], s[0:1]
	s_cbranch_execz .LBB73_9
; %bb.8:                                ;   in Loop: Header=BB73_5 Depth=1
	v_add_u32_e32 v14, v7, v8
	v_ashrrev_i32_e32 v15, 31, v14
	v_lshlrev_b64 v[14:15], 2, v[14:15]
	v_mov_b32_e32 v1, s15
	v_add_co_u32_e32 v14, vcc, s14, v14
	v_addc_co_u32_e32 v15, vcc, v1, v15, vcc
	global_load_dword v14, v[14:15], off
.LBB73_9:                               ;   in Loop: Header=BB73_5 Depth=1
	s_or_b64 exec, exec, s[2:3]
	s_and_saveexec_b64 s[2:3], s[0:1]
	s_cbranch_execz .LBB73_11
; %bb.10:                               ;   in Loop: Header=BB73_5 Depth=1
	s_waitcnt vmcnt(1)
	v_add_u32_e32 v17, v7, v8
	v_ashrrev_i32_e32 v18, 31, v17
	v_lshlrev_b64 v[17:18], 2, v[17:18]
	v_mov_b32_e32 v1, s7
	v_add_co_u32_e32 v17, vcc, s6, v17
	v_addc_co_u32_e32 v18, vcc, v1, v18, vcc
	global_load_dword v13, v[17:18], off
.LBB73_11:                              ;   in Loop: Header=BB73_5 Depth=1
	s_or_b64 exec, exec, s[2:3]
	v_cmp_gt_u32_e64 s[2:3], s26, v8
	v_mov_b32_e32 v15, 0
	s_and_saveexec_b64 s[4:5], s[2:3]
	s_cbranch_execz .LBB73_13
; %bb.12:                               ;   in Loop: Header=BB73_5 Depth=1
	s_waitcnt vmcnt(1)
	v_add_u32_e32 v17, v9, v8
	v_ashrrev_i32_e32 v18, 31, v17
	v_lshlrev_b64 v[17:18], 2, v[17:18]
	v_mov_b32_e32 v1, s13
	v_add_co_u32_e32 v17, vcc, s12, v17
	v_addc_co_u32_e32 v18, vcc, v1, v18, vcc
	global_load_dword v15, v[17:18], off
.LBB73_13:                              ;   in Loop: Header=BB73_5 Depth=1
	s_or_b64 exec, exec, s[4:5]
	v_mov_b32_e32 v1, s17
	v_add_co_u32_e32 v4, vcc, s16, v4
	v_addc_co_u32_e32 v5, vcc, v1, v5, vcc
	v_add_u32_e32 v1, s28, v3
	global_load_dword v18, v[4:5], off
	v_lshlrev_b64 v[5:6], 2, v[1:2]
	v_add_u32_e32 v1, s29, v3
	s_waitcnt vmcnt(2)
	v_mov_b32_e32 v17, s9
	v_add_co_u32_e32 v5, vcc, s8, v5
	v_lshlrev_b64 v[3:4], 2, v[1:2]
	v_addc_co_u32_e32 v6, vcc, v17, v6, vcc
	v_add_co_u32_e32 v3, vcc, s8, v3
	v_addc_co_u32_e32 v4, vcc, v17, v4, vcc
	global_load_dword v19, v[5:6], off
	global_load_dword v17, v[3:4], off
	v_cmp_ne_u32_e64 s[4:5], s25, v8
	s_waitcnt vmcnt(2)
	v_cmp_ne_u32_e32 vcc, 1, v18
	s_and_b64 s[4:5], s[4:5], vcc
	v_mul_f32_e32 v18, v16, v12
	s_and_saveexec_b64 s[20:21], s[4:5]
	s_xor_b64 s[4:5], exec, s[20:21]
	s_cbranch_execz .LBB73_17
; %bb.14:                               ;   in Loop: Header=BB73_5 Depth=1
	v_add_u32_e32 v24, v7, v8
	v_add_u32_e32 v1, s28, v24
	v_lshlrev_b64 v[20:21], 2, v[1:2]
	v_mov_b32_e32 v25, s9
	v_add_co_u32_e32 v22, vcc, s8, v20
	v_add_u32_e32 v1, s29, v24
	v_addc_co_u32_e32 v23, vcc, v25, v21, vcc
	v_lshlrev_b64 v[20:21], 2, v[1:2]
	v_fma_f32 v1, v11, v14, -v18
	v_div_scale_f32 v18, s[20:21], v1, v1, 1.0
	v_add_co_u32_e32 v24, vcc, s8, v20
	v_addc_co_u32_e32 v25, vcc, v25, v21, vcc
	v_rcp_f32_e32 v20, v18
	v_fma_f32 v21, -v18, v20, 1.0
	v_fmac_f32_e32 v20, v21, v20
	v_div_scale_f32 v21, vcc, 1.0, v1, 1.0
	v_mul_f32_e32 v26, v21, v20
	v_fma_f32 v27, -v18, v26, v21
	v_fmac_f32_e32 v26, v27, v20
	v_fma_f32 v18, -v18, v26, v21
	v_div_fmas_f32 v18, v18, v20, v26
	global_load_dword v21, v[24:25], off
	v_div_fixup_f32 v18, v18, v1, 1.0
	global_load_dword v1, v[22:23], off
	s_waitcnt vmcnt(3)
	v_mul_f32_e32 v19, v18, v19
	s_waitcnt vmcnt(0)
	v_mul_f32_e32 v20, v18, v1
	v_mul_f32_e32 v1, v16, v20
	v_fma_f32 v1, v14, v19, -v1
	global_store_dword v[5:6], v1, off
	v_mul_f32_e32 v6, v18, v21
	v_mul_f32_e32 v5, v18, v17
	;; [unrolled: 1-line block ×3, first 2 shown]
	v_fma_f32 v1, v14, v5, -v1
	global_store_dword v[3:4], v1, off
	v_mul_f32_e32 v1, v12, v19
	v_fma_f32 v1, v11, v20, -v1
	global_store_dword v[22:23], v1, off
	v_mul_f32_e32 v1, v12, v5
	v_fma_f32 v1, v11, v6, -v1
	global_store_dword v[24:25], v1, off
	v_mov_b32_e32 v1, 0
	s_and_saveexec_b64 s[20:21], s[2:3]
	s_cbranch_execz .LBB73_16
; %bb.15:                               ;   in Loop: Header=BB73_5 Depth=1
	v_add_u32_e32 v3, v9, v8
	v_add_u32_e32 v1, s28, v3
	v_lshlrev_b64 v[16:17], 2, v[1:2]
	v_add_u32_e32 v1, s29, v3
	v_mov_b32_e32 v4, s9
	v_add_co_u32_e32 v16, vcc, s8, v16
	v_lshlrev_b64 v[21:22], 2, v[1:2]
	v_addc_co_u32_e32 v17, vcc, v4, v17, vcc
	v_add_co_u32_e32 v21, vcc, s8, v21
	v_addc_co_u32_e32 v22, vcc, v4, v22, vcc
	v_ashrrev_i32_e32 v4, 31, v3
	v_lshlrev_b64 v[3:4], 2, v[3:4]
	v_mov_b32_e32 v23, s15
	v_add_co_u32_e32 v3, vcc, s14, v3
	global_load_dword v1, v[16:17], off
	global_load_dword v14, v[21:22], off
	v_addc_co_u32_e32 v4, vcc, v23, v4, vcc
	global_load_dword v3, v[3:4], off
	v_mul_f32_e32 v11, v11, v15
	v_mul_f32_e32 v4, v12, v15
	v_mul_f32_e32 v12, v11, v20
	v_mul_f32_e32 v6, v11, v6
	v_fma_f32 v12, v4, v19, -v12
	v_fma_f32 v4, v4, v5, -v6
	v_mul_f32_e32 v11, v13, v11
	s_waitcnt vmcnt(2)
	v_add_f32_e32 v1, v12, v1
	global_store_dword v[16:17], v1, off
	s_waitcnt vmcnt(2)
	v_add_f32_e32 v1, v4, v14
	global_store_dword v[21:22], v1, off
	s_waitcnt vmcnt(2)
	v_fma_f32 v1, -v18, v11, v3
.LBB73_16:                              ;   in Loop: Header=BB73_5 Depth=1
	s_or_b64 exec, exec, s[20:21]
	v_mov_b32_e32 v11, v1
                                        ; implicit-def: $vgpr18
                                        ; implicit-def: $vgpr14
                                        ; implicit-def: $vgpr19
                                        ; implicit-def: $vgpr17
                                        ; implicit-def: $vgpr5_vgpr6
                                        ; implicit-def: $vgpr3_vgpr4
                                        ; implicit-def: $vgpr12
.LBB73_17:                              ;   in Loop: Header=BB73_5 Depth=1
	s_or_saveexec_b64 s[2:3], s[4:5]
	v_mov_b32_e32 v1, s27
	s_xor_b64 exec, exec, s[2:3]
	s_cbranch_execz .LBB73_4
; %bb.18:                               ;   in Loop: Header=BB73_5 Depth=1
	v_div_scale_f32 v1, s[4:5], v11, v11, 1.0
	v_div_scale_f32 v13, vcc, 1.0, v11, 1.0
	v_rcp_f32_e32 v15, v1
	v_fma_f32 v16, -v1, v15, 1.0
	v_fmac_f32_e32 v15, v16, v15
	v_mul_f32_e32 v16, v13, v15
	v_fma_f32 v20, -v1, v16, v13
	v_fmac_f32_e32 v16, v20, v15
	v_fma_f32 v1, -v1, v16, v13
	v_div_fmas_f32 v1, v1, v15, v16
	v_div_fixup_f32 v11, v1, v11, 1.0
	s_waitcnt vmcnt(1)
	v_mul_f32_e32 v15, v11, v19
	s_waitcnt vmcnt(0)
	v_mul_f32_e32 v13, v11, v17
	global_store_dword v[5:6], v15, off
	global_store_dword v[3:4], v13, off
	s_and_saveexec_b64 s[4:5], s[0:1]
	s_cbranch_execz .LBB73_3
; %bb.19:                               ;   in Loop: Header=BB73_5 Depth=1
	v_add_u32_e32 v5, v7, v8
	v_add_u32_e32 v1, s28, v5
	v_lshlrev_b64 v[3:4], 2, v[1:2]
	v_add_u32_e32 v1, s29, v5
	v_mov_b32_e32 v16, s9
	v_add_co_u32_e32 v3, vcc, s8, v3
	v_lshlrev_b64 v[5:6], 2, v[1:2]
	v_addc_co_u32_e32 v4, vcc, v16, v4, vcc
	v_add_co_u32_e32 v5, vcc, s8, v5
	v_addc_co_u32_e32 v6, vcc, v16, v6, vcc
	global_load_dword v17, v[3:4], off
	global_load_dword v1, v[5:6], off
	s_waitcnt vmcnt(1)
	v_fma_f32 v15, -v12, v15, v17
	s_waitcnt vmcnt(0)
	v_fma_f32 v1, -v12, v13, v1
	global_store_dword v[3:4], v15, off
	global_store_dword v[5:6], v1, off
	s_branch .LBB73_3
.LBB73_20:
	s_or_b64 exec, exec, s[18:19]
	s_branch .LBB73_22
.LBB73_21:
	v_mov_b32_e32 v8, 0
.LBB73_22:
	v_subrev_u32_e32 v3, s22, v8
	v_add_u32_e32 v1, v3, v0
	v_ashrrev_i32_e32 v2, 31, v1
	v_lshlrev_b64 v[1:2], 2, v[1:2]
	s_waitcnt lgkmcnt(0)
	v_mov_b32_e32 v4, s17
	v_add_co_u32_e32 v1, vcc, s16, v1
	v_addc_co_u32_e32 v2, vcc, v4, v2, vcc
	s_waitcnt vmcnt(0)
	buffer_wbinvl1_vol
	global_load_dword v1, v[1:2], off
	s_waitcnt vmcnt(0)
	v_mul_lo_u32 v1, v1, s22
	v_sub_u32_e32 v5, v3, v1
	v_cmp_lt_i32_e32 vcc, -1, v5
	s_and_b64 exec, exec, vcc
	s_cbranch_execz .LBB73_29
; %bb.23:
	s_lshl_b32 s4, s24, 1
	s_add_i32 s5, s4, s23
	s_lshl_b32 s6, s22, 1
	s_mov_b64 s[0:1], 0
	v_mov_b32_e32 v6, s17
	v_mov_b32_e32 v8, s11
	;; [unrolled: 1-line block ×3, first 2 shown]
	s_branch .LBB73_25
.LBB73_24:                              ;   in Loop: Header=BB73_25 Depth=1
	s_or_b64 exec, exec, s[2:3]
	v_sub_u32_e32 v5, v5, v1
	v_cmp_gt_i32_e32 vcc, 0, v5
	s_or_b64 s[0:1], vcc, s[0:1]
	s_andn2_b64 exec, exec, s[0:1]
	s_cbranch_execz .LBB73_29
.LBB73_25:                              ; =>This Inner Loop Header: Depth=1
	v_add_u32_e32 v3, v5, v0
	s_waitcnt vmcnt(0)
	v_ashrrev_i32_e32 v4, 31, v3
	v_lshlrev_b64 v[9:10], 2, v[3:4]
	v_add_co_u32_e32 v11, vcc, s16, v9
	v_addc_co_u32_e32 v12, vcc, v6, v10, vcc
	v_add_co_u32_e32 v9, vcc, s10, v9
	global_load_dword v1, v[11:12], off
	v_addc_co_u32_e32 v10, vcc, v8, v10, vcc
	global_load_dword v4, v[9:10], off
	s_waitcnt vmcnt(1)
	v_cmp_ne_u32_e32 vcc, 1, v1
	s_and_saveexec_b64 s[2:3], vcc
	s_xor_b64 s[2:3], exec, s[2:3]
	s_cbranch_execz .LBB73_27
; %bb.26:                               ;   in Loop: Header=BB73_25 Depth=1
	v_add_u32_e32 v11, v7, v5
	v_add_u32_e32 v1, s4, v11
	v_lshlrev_b64 v[9:10], 2, v[1:2]
	v_mov_b32_e32 v1, s9
	v_add_co_u32_e32 v9, vcc, s8, v9
	v_addc_co_u32_e32 v10, vcc, v1, v10, vcc
	v_add_u32_e32 v1, s5, v11
	v_lshlrev_b64 v[11:12], 2, v[1:2]
	v_add_u32_e32 v1, s4, v3
	v_lshlrev_b64 v[13:14], 2, v[1:2]
	v_mov_b32_e32 v1, s9
	v_add_co_u32_e32 v13, vcc, s8, v13
	v_addc_co_u32_e32 v14, vcc, v1, v14, vcc
	global_load_dword v15, v[9:10], off
	global_load_dword v16, v[13:14], off
	v_add_co_u32_e32 v9, vcc, s8, v11
	v_addc_co_u32_e32 v10, vcc, v1, v12, vcc
	v_add_u32_e32 v1, s5, v3
	global_load_dword v17, v[9:10], off
	v_lshlrev_b64 v[9:10], 2, v[1:2]
	v_mov_b32_e32 v11, s9
	v_add_co_u32_e32 v9, vcc, s8, v9
	v_addc_co_u32_e32 v10, vcc, v11, v10, vcc
	s_waitcnt vmcnt(1)
	v_fma_f32 v1, -v4, v15, v16
	global_store_dword v[13:14], v1, off
	global_load_dword v3, v[9:10], off
	v_subrev_u32_e32 v1, s22, v5
	v_add_u32_e32 v11, v1, v0
	v_ashrrev_i32_e32 v12, 31, v11
	v_lshlrev_b64 v[12:13], 2, v[11:12]
	v_add_u32_e32 v1, s4, v11
	v_add_co_u32_e32 v12, vcc, s10, v12
	v_addc_co_u32_e32 v13, vcc, v8, v13, vcc
	global_load_dword v16, v[12:13], off
	v_lshlrev_b64 v[12:13], 2, v[1:2]
	v_mov_b32_e32 v14, s9
	v_add_co_u32_e32 v12, vcc, s8, v12
	v_addc_co_u32_e32 v13, vcc, v14, v13, vcc
	s_waitcnt vmcnt(1)
	v_fma_f32 v1, -v4, v17, v3
	global_store_dword v[9:10], v1, off
	global_load_dword v9, v[12:13], off
	v_add_u32_e32 v1, s5, v11
	v_lshlrev_b64 v[3:4], 2, v[1:2]
	v_mov_b32_e32 v10, s9
	v_add_co_u32_e32 v3, vcc, s8, v3
	v_addc_co_u32_e32 v4, vcc, v10, v4, vcc
	s_waitcnt vmcnt(0)
	v_fma_f32 v1, -v16, v15, v9
	global_store_dword v[12:13], v1, off
	global_load_dword v1, v[3:4], off
	s_waitcnt vmcnt(0)
	v_fma_f32 v1, -v16, v17, v1
	global_store_dword v[3:4], v1, off
                                        ; implicit-def: $vgpr3
                                        ; implicit-def: $vgpr4
.LBB73_27:                              ;   in Loop: Header=BB73_25 Depth=1
	s_or_saveexec_b64 s[2:3], s[2:3]
	v_mov_b32_e32 v1, s6
	s_xor_b64 exec, exec, s[2:3]
	s_cbranch_execz .LBB73_24
; %bb.28:                               ;   in Loop: Header=BB73_25 Depth=1
	v_add_u32_e32 v13, v7, v5
	v_add_u32_e32 v1, s4, v13
	v_lshlrev_b64 v[9:10], 2, v[1:2]
	v_mov_b32_e32 v1, s9
	v_add_co_u32_e32 v9, vcc, s8, v9
	v_addc_co_u32_e32 v10, vcc, v1, v10, vcc
	v_add_u32_e32 v1, s4, v3
	v_lshlrev_b64 v[11:12], 2, v[1:2]
	v_mov_b32_e32 v1, s9
	v_add_co_u32_e32 v11, vcc, s8, v11
	v_addc_co_u32_e32 v12, vcc, v1, v12, vcc
	global_load_dword v15, v[9:10], off
	global_load_dword v16, v[11:12], off
	v_add_u32_e32 v1, s5, v13
	v_lshlrev_b64 v[9:10], 2, v[1:2]
	v_add_u32_e32 v1, s5, v3
	v_mov_b32_e32 v17, s9
	v_lshlrev_b64 v[13:14], 2, v[1:2]
	v_add_co_u32_e32 v9, vcc, s8, v9
	v_addc_co_u32_e32 v10, vcc, v17, v10, vcc
	v_mov_b32_e32 v18, s9
	v_add_co_u32_e32 v13, vcc, s8, v13
	v_addc_co_u32_e32 v14, vcc, v18, v14, vcc
	s_waitcnt vmcnt(0)
	v_fma_f32 v1, -v4, v15, v16
	global_store_dword v[11:12], v1, off
	global_load_dword v1, v[9:10], off
	s_nop 0
	global_load_dword v3, v[13:14], off
	s_waitcnt vmcnt(0)
	v_fma_f32 v1, -v4, v1, v3
	global_store_dword v[13:14], v1, off
	v_mov_b32_e32 v1, s22
	s_branch .LBB73_24
.LBB73_29:
	s_endpgm
	.section	.rodata,"a",@progbits
	.p2align	6, 0x0
	.amdhsa_kernel _ZN9rocsparseL19gtsv_LBM_rhs_kernelILj256ELj128ELj2EfEEviiiPKT2_S3_S3_PS1_S3_PKi
		.amdhsa_group_segment_fixed_size 0
		.amdhsa_private_segment_fixed_size 0
		.amdhsa_kernarg_size 64
		.amdhsa_user_sgpr_count 6
		.amdhsa_user_sgpr_private_segment_buffer 1
		.amdhsa_user_sgpr_dispatch_ptr 0
		.amdhsa_user_sgpr_queue_ptr 0
		.amdhsa_user_sgpr_kernarg_segment_ptr 1
		.amdhsa_user_sgpr_dispatch_id 0
		.amdhsa_user_sgpr_flat_scratch_init 0
		.amdhsa_user_sgpr_private_segment_size 0
		.amdhsa_uses_dynamic_stack 0
		.amdhsa_system_sgpr_private_segment_wavefront_offset 0
		.amdhsa_system_sgpr_workgroup_id_x 1
		.amdhsa_system_sgpr_workgroup_id_y 1
		.amdhsa_system_sgpr_workgroup_id_z 0
		.amdhsa_system_sgpr_workgroup_info 0
		.amdhsa_system_vgpr_workitem_id 0
		.amdhsa_next_free_vgpr 28
		.amdhsa_next_free_sgpr 30
		.amdhsa_reserve_vcc 1
		.amdhsa_reserve_flat_scratch 0
		.amdhsa_float_round_mode_32 0
		.amdhsa_float_round_mode_16_64 0
		.amdhsa_float_denorm_mode_32 3
		.amdhsa_float_denorm_mode_16_64 3
		.amdhsa_dx10_clamp 1
		.amdhsa_ieee_mode 1
		.amdhsa_fp16_overflow 0
		.amdhsa_exception_fp_ieee_invalid_op 0
		.amdhsa_exception_fp_denorm_src 0
		.amdhsa_exception_fp_ieee_div_zero 0
		.amdhsa_exception_fp_ieee_overflow 0
		.amdhsa_exception_fp_ieee_underflow 0
		.amdhsa_exception_fp_ieee_inexact 0
		.amdhsa_exception_int_div_zero 0
	.end_amdhsa_kernel
	.section	.text._ZN9rocsparseL19gtsv_LBM_rhs_kernelILj256ELj128ELj2EfEEviiiPKT2_S3_S3_PS1_S3_PKi,"axG",@progbits,_ZN9rocsparseL19gtsv_LBM_rhs_kernelILj256ELj128ELj2EfEEviiiPKT2_S3_S3_PS1_S3_PKi,comdat
.Lfunc_end73:
	.size	_ZN9rocsparseL19gtsv_LBM_rhs_kernelILj256ELj128ELj2EfEEviiiPKT2_S3_S3_PS1_S3_PKi, .Lfunc_end73-_ZN9rocsparseL19gtsv_LBM_rhs_kernelILj256ELj128ELj2EfEEviiiPKT2_S3_S3_PS1_S3_PKi
                                        ; -- End function
	.set _ZN9rocsparseL19gtsv_LBM_rhs_kernelILj256ELj128ELj2EfEEviiiPKT2_S3_S3_PS1_S3_PKi.num_vgpr, 28
	.set _ZN9rocsparseL19gtsv_LBM_rhs_kernelILj256ELj128ELj2EfEEviiiPKT2_S3_S3_PS1_S3_PKi.num_agpr, 0
	.set _ZN9rocsparseL19gtsv_LBM_rhs_kernelILj256ELj128ELj2EfEEviiiPKT2_S3_S3_PS1_S3_PKi.numbered_sgpr, 30
	.set _ZN9rocsparseL19gtsv_LBM_rhs_kernelILj256ELj128ELj2EfEEviiiPKT2_S3_S3_PS1_S3_PKi.num_named_barrier, 0
	.set _ZN9rocsparseL19gtsv_LBM_rhs_kernelILj256ELj128ELj2EfEEviiiPKT2_S3_S3_PS1_S3_PKi.private_seg_size, 0
	.set _ZN9rocsparseL19gtsv_LBM_rhs_kernelILj256ELj128ELj2EfEEviiiPKT2_S3_S3_PS1_S3_PKi.uses_vcc, 1
	.set _ZN9rocsparseL19gtsv_LBM_rhs_kernelILj256ELj128ELj2EfEEviiiPKT2_S3_S3_PS1_S3_PKi.uses_flat_scratch, 0
	.set _ZN9rocsparseL19gtsv_LBM_rhs_kernelILj256ELj128ELj2EfEEviiiPKT2_S3_S3_PS1_S3_PKi.has_dyn_sized_stack, 0
	.set _ZN9rocsparseL19gtsv_LBM_rhs_kernelILj256ELj128ELj2EfEEviiiPKT2_S3_S3_PS1_S3_PKi.has_recursion, 0
	.set _ZN9rocsparseL19gtsv_LBM_rhs_kernelILj256ELj128ELj2EfEEviiiPKT2_S3_S3_PS1_S3_PKi.has_indirect_call, 0
	.section	.AMDGPU.csdata,"",@progbits
; Kernel info:
; codeLenInByte = 2012
; TotalNumSgprs: 34
; NumVgprs: 28
; ScratchSize: 0
; MemoryBound: 0
; FloatMode: 240
; IeeeMode: 1
; LDSByteSize: 0 bytes/workgroup (compile time only)
; SGPRBlocks: 4
; VGPRBlocks: 6
; NumSGPRsForWavesPerEU: 34
; NumVGPRsForWavesPerEU: 28
; Occupancy: 9
; WaveLimiterHint : 0
; COMPUTE_PGM_RSRC2:SCRATCH_EN: 0
; COMPUTE_PGM_RSRC2:USER_SGPR: 6
; COMPUTE_PGM_RSRC2:TRAP_HANDLER: 0
; COMPUTE_PGM_RSRC2:TGID_X_EN: 1
; COMPUTE_PGM_RSRC2:TGID_Y_EN: 1
; COMPUTE_PGM_RSRC2:TGID_Z_EN: 0
; COMPUTE_PGM_RSRC2:TIDIG_COMP_CNT: 0
	.section	.text._ZN9rocsparseL19gtsv_LBM_rhs_kernelILj256ELj128ELj1EfEEviiiPKT2_S3_S3_PS1_S3_PKi,"axG",@progbits,_ZN9rocsparseL19gtsv_LBM_rhs_kernelILj256ELj128ELj1EfEEviiiPKT2_S3_S3_PS1_S3_PKi,comdat
	.globl	_ZN9rocsparseL19gtsv_LBM_rhs_kernelILj256ELj128ELj1EfEEviiiPKT2_S3_S3_PS1_S3_PKi ; -- Begin function _ZN9rocsparseL19gtsv_LBM_rhs_kernelILj256ELj128ELj1EfEEviiiPKT2_S3_S3_PS1_S3_PKi
	.p2align	8
	.type	_ZN9rocsparseL19gtsv_LBM_rhs_kernelILj256ELj128ELj1EfEEviiiPKT2_S3_S3_PS1_S3_PKi,@function
_ZN9rocsparseL19gtsv_LBM_rhs_kernelILj256ELj128ELj1EfEEviiiPKT2_S3_S3_PS1_S3_PKi: ; @_ZN9rocsparseL19gtsv_LBM_rhs_kernelILj256ELj128ELj1EfEEviiiPKT2_S3_S3_PS1_S3_PKi
; %bb.0:
	s_load_dword s24, s[4:5], 0x0
	v_lshl_or_b32 v0, s6, 8, v0
	s_waitcnt lgkmcnt(0)
	s_lshr_b32 s22, s24, 7
	v_cmp_gt_i32_e32 vcc, s22, v0
	s_and_saveexec_b64 s[0:1], vcc
	s_cbranch_execz .LBB74_29
; %bb.1:
	s_load_dwordx4 s[8:11], s[4:5], 0x28
	s_load_dwordx2 s[16:17], s[4:5], 0x38
	s_cmp_lt_i32 s24, 1
	s_mul_i32 s23, s24, s7
	s_cbranch_scc1 .LBB74_21
; %bb.2:
	s_load_dwordx4 s[12:15], s[4:5], 0x10
	s_load_dwordx2 s[6:7], s[4:5], 0x20
	v_ashrrev_i32_e32 v1, 31, v0
	v_lshlrev_b64 v[1:2], 2, v[0:1]
	v_add_u32_e32 v9, s22, v0
	s_waitcnt lgkmcnt(0)
	v_mov_b32_e32 v3, s15
	v_add_co_u32_e32 v1, vcc, s14, v1
	v_addc_co_u32_e32 v2, vcc, v3, v2, vcc
	global_load_dword v13, v[1:2], off
	s_mul_i32 s25, s22, 0x7f
	s_mul_i32 s26, s22, 0x7e
	s_lshl_b32 s27, s22, 1
	v_add_u32_e32 v10, s22, v9
	v_add_u32_e32 v11, s23, v9
	v_mov_b32_e32 v2, 0
	s_mov_b64 s[18:19], 0
	v_mov_b32_e32 v12, s7
	v_mov_b32_e32 v8, 0
	s_branch .LBB74_5
.LBB74_3:                               ;   in Loop: Header=BB74_5 Depth=1
	s_or_b64 exec, exec, s[4:5]
	v_fma_f32 v13, -v6, v5, v16
	v_mov_b32_e32 v6, s22
.LBB74_4:                               ;   in Loop: Header=BB74_5 Depth=1
	s_or_b64 exec, exec, s[2:3]
	v_add_u32_e32 v8, v6, v8
	v_cmp_le_i32_e32 vcc, s24, v8
	s_or_b64 s[18:19], vcc, s[18:19]
	s_andn2_b64 exec, exec, s[18:19]
	s_cbranch_execz .LBB74_20
.LBB74_5:                               ; =>This Inner Loop Header: Depth=1
	v_add_u32_e32 v3, v8, v0
	v_ashrrev_i32_e32 v4, 31, v3
	v_lshlrev_b64 v[4:5], 2, v[3:4]
	v_cmp_gt_u32_e64 s[0:1], s25, v8
	v_add_co_u32_e32 v6, vcc, s6, v4
	v_addc_co_u32_e32 v7, vcc, v12, v5, vcc
	global_load_dword v17, v[6:7], off
	v_add_u32_e32 v6, v9, v8
	v_mov_b32_e32 v14, 0
	s_and_saveexec_b64 s[2:3], s[0:1]
	s_cbranch_execz .LBB74_7
; %bb.6:                                ;   in Loop: Header=BB74_5 Depth=1
	v_ashrrev_i32_e32 v7, 31, v6
	v_lshlrev_b64 v[14:15], 2, v[6:7]
	s_waitcnt vmcnt(1)
	v_mov_b32_e32 v1, s13
	v_add_co_u32_e32 v14, vcc, s12, v14
	v_addc_co_u32_e32 v15, vcc, v1, v15, vcc
	global_load_dword v14, v[14:15], off
.LBB74_7:                               ;   in Loop: Header=BB74_5 Depth=1
	s_or_b64 exec, exec, s[2:3]
	v_mov_b32_e32 v15, 0
	v_mov_b32_e32 v16, 0
	s_and_saveexec_b64 s[2:3], s[0:1]
	s_cbranch_execz .LBB74_9
; %bb.8:                                ;   in Loop: Header=BB74_5 Depth=1
	v_ashrrev_i32_e32 v7, 31, v6
	v_lshlrev_b64 v[18:19], 2, v[6:7]
	s_waitcnt vmcnt(1)
	v_mov_b32_e32 v1, s15
	v_add_co_u32_e32 v18, vcc, s14, v18
	v_addc_co_u32_e32 v19, vcc, v1, v19, vcc
	global_load_dword v16, v[18:19], off
.LBB74_9:                               ;   in Loop: Header=BB74_5 Depth=1
	s_or_b64 exec, exec, s[2:3]
	s_and_saveexec_b64 s[2:3], s[0:1]
	s_cbranch_execz .LBB74_11
; %bb.10:                               ;   in Loop: Header=BB74_5 Depth=1
	v_ashrrev_i32_e32 v7, 31, v6
	v_lshlrev_b64 v[6:7], 2, v[6:7]
	s_waitcnt vmcnt(1)
	v_mov_b32_e32 v1, s7
	v_add_co_u32_e32 v6, vcc, s6, v6
	v_addc_co_u32_e32 v7, vcc, v1, v7, vcc
	global_load_dword v15, v[6:7], off
.LBB74_11:                              ;   in Loop: Header=BB74_5 Depth=1
	s_or_b64 exec, exec, s[2:3]
	v_cmp_gt_u32_e64 s[2:3], s26, v8
	v_mov_b32_e32 v6, 0
	s_and_saveexec_b64 s[4:5], s[2:3]
	s_cbranch_execz .LBB74_13
; %bb.12:                               ;   in Loop: Header=BB74_5 Depth=1
	v_add_u32_e32 v6, v10, v8
	v_ashrrev_i32_e32 v7, 31, v6
	v_lshlrev_b64 v[6:7], 2, v[6:7]
	s_waitcnt vmcnt(1)
	v_mov_b32_e32 v1, s13
	v_add_co_u32_e32 v6, vcc, s12, v6
	v_addc_co_u32_e32 v7, vcc, v1, v7, vcc
	global_load_dword v6, v[6:7], off
.LBB74_13:                              ;   in Loop: Header=BB74_5 Depth=1
	s_or_b64 exec, exec, s[4:5]
	s_waitcnt vmcnt(1)
	v_mov_b32_e32 v1, s17
	v_add_co_u32_e32 v4, vcc, s16, v4
	v_addc_co_u32_e32 v5, vcc, v1, v5, vcc
	v_add_u32_e32 v1, s23, v3
	global_load_dword v5, v[4:5], off
	v_lshlrev_b64 v[3:4], 2, v[1:2]
	v_mov_b32_e32 v1, s9
	v_add_co_u32_e32 v3, vcc, s8, v3
	v_addc_co_u32_e32 v4, vcc, v1, v4, vcc
	global_load_dword v1, v[3:4], off
	v_cmp_ne_u32_e32 vcc, s25, v8
	s_waitcnt vmcnt(1)
	v_cmp_ne_u32_e64 s[4:5], 1, v5
	s_and_b64 s[4:5], vcc, s[4:5]
	v_mul_f32_e32 v5, v17, v14
	s_and_saveexec_b64 s[20:21], s[4:5]
	s_xor_b64 s[4:5], exec, s[20:21]
	s_cbranch_execz .LBB74_17
; %bb.14:                               ;   in Loop: Header=BB74_5 Depth=1
	v_fma_f32 v5, v13, v16, -v5
	v_div_scale_f32 v7, s[20:21], v5, v5, 1.0
	v_rcp_f32_e32 v18, v7
	v_fma_f32 v19, -v7, v18, 1.0
	v_fmac_f32_e32 v18, v19, v18
	v_div_scale_f32 v19, vcc, 1.0, v5, 1.0
	v_mul_f32_e32 v20, v19, v18
	v_fma_f32 v21, -v7, v20, v19
	v_fmac_f32_e32 v20, v21, v18
	v_fma_f32 v7, -v7, v20, v19
	v_div_fmas_f32 v7, v7, v18, v20
	v_div_fixup_f32 v5, v7, v5, 1.0
	s_waitcnt vmcnt(0)
	v_mul_f32_e32 v7, v5, v1
	v_add_u32_e32 v1, v11, v8
	v_lshlrev_b64 v[18:19], 2, v[1:2]
	v_mov_b32_e32 v1, s9
	v_add_co_u32_e32 v20, vcc, s8, v18
	v_addc_co_u32_e32 v21, vcc, v1, v19, vcc
	global_load_dword v1, v[20:21], off
	s_waitcnt vmcnt(0)
	v_mul_f32_e32 v18, v5, v1
	v_mul_f32_e32 v1, v17, v18
	v_fma_f32 v1, v16, v7, -v1
	global_store_dword v[3:4], v1, off
	v_mul_f32_e32 v1, v14, v7
	v_fma_f32 v1, v13, v18, -v1
	global_store_dword v[20:21], v1, off
	v_mov_b32_e32 v1, 0
	s_and_saveexec_b64 s[20:21], s[2:3]
	s_cbranch_execz .LBB74_16
; %bb.15:                               ;   in Loop: Header=BB74_5 Depth=1
	v_add_u32_e32 v3, v10, v8
	v_add_u32_e32 v1, s23, v3
	v_lshlrev_b64 v[16:17], 2, v[1:2]
	v_ashrrev_i32_e32 v4, 31, v3
	v_mov_b32_e32 v1, s9
	v_add_co_u32_e32 v16, vcc, s8, v16
	v_lshlrev_b64 v[3:4], 2, v[3:4]
	v_addc_co_u32_e32 v17, vcc, v1, v17, vcc
	v_mov_b32_e32 v19, s15
	v_add_co_u32_e32 v3, vcc, s14, v3
	global_load_dword v1, v[16:17], off
	v_addc_co_u32_e32 v4, vcc, v19, v4, vcc
	global_load_dword v3, v[3:4], off
	v_mul_f32_e32 v4, v14, v6
	v_mul_f32_e32 v6, v13, v6
	;; [unrolled: 1-line block ×3, first 2 shown]
	v_fma_f32 v4, v4, v7, -v13
	v_mul_f32_e32 v6, v15, v6
	s_waitcnt vmcnt(1)
	v_add_f32_e32 v1, v4, v1
	global_store_dword v[16:17], v1, off
	s_waitcnt vmcnt(1)
	v_fma_f32 v1, -v5, v6, v3
.LBB74_16:                              ;   in Loop: Header=BB74_5 Depth=1
	s_or_b64 exec, exec, s[20:21]
	v_mov_b32_e32 v13, v1
                                        ; implicit-def: $vgpr5
                                        ; implicit-def: $vgpr16
                                        ; implicit-def: $vgpr1
                                        ; implicit-def: $vgpr3_vgpr4
                                        ; implicit-def: $vgpr14
.LBB74_17:                              ;   in Loop: Header=BB74_5 Depth=1
	s_or_saveexec_b64 s[2:3], s[4:5]
	v_mov_b32_e32 v6, s27
	s_xor_b64 exec, exec, s[2:3]
	s_cbranch_execz .LBB74_4
; %bb.18:                               ;   in Loop: Header=BB74_5 Depth=1
	v_div_scale_f32 v6, s[4:5], v13, v13, 1.0
	v_div_scale_f32 v7, vcc, 1.0, v13, 1.0
	v_rcp_f32_e32 v15, v6
	v_fma_f32 v17, -v6, v15, 1.0
	v_fmac_f32_e32 v15, v17, v15
	v_mul_f32_e32 v17, v7, v15
	v_fma_f32 v18, -v6, v17, v7
	v_fmac_f32_e32 v17, v18, v15
	v_fma_f32 v6, -v6, v17, v7
	v_div_fmas_f32 v6, v6, v15, v17
	v_div_fixup_f32 v6, v6, v13, 1.0
	s_waitcnt vmcnt(0)
	v_mul_f32_e32 v7, v6, v1
	global_store_dword v[3:4], v7, off
	s_and_saveexec_b64 s[4:5], s[0:1]
	s_cbranch_execz .LBB74_3
; %bb.19:                               ;   in Loop: Header=BB74_5 Depth=1
	v_add_u32_e32 v1, v11, v8
	v_lshlrev_b64 v[3:4], 2, v[1:2]
	v_mov_b32_e32 v1, s9
	v_add_co_u32_e32 v3, vcc, s8, v3
	v_addc_co_u32_e32 v4, vcc, v1, v4, vcc
	global_load_dword v1, v[3:4], off
	s_waitcnt vmcnt(0)
	v_fma_f32 v1, -v14, v7, v1
	global_store_dword v[3:4], v1, off
	s_branch .LBB74_3
.LBB74_20:
	s_or_b64 exec, exec, s[18:19]
	s_branch .LBB74_22
.LBB74_21:
	v_mov_b32_e32 v8, 0
.LBB74_22:
	v_subrev_u32_e32 v3, s22, v8
	s_waitcnt vmcnt(0)
	v_add_u32_e32 v1, v3, v0
	v_ashrrev_i32_e32 v2, 31, v1
	v_lshlrev_b64 v[1:2], 2, v[1:2]
	s_waitcnt lgkmcnt(0)
	v_mov_b32_e32 v4, s17
	v_add_co_u32_e32 v1, vcc, s16, v1
	v_addc_co_u32_e32 v2, vcc, v4, v2, vcc
	buffer_wbinvl1_vol
	global_load_dword v1, v[1:2], off
	s_waitcnt vmcnt(0)
	v_mul_lo_u32 v1, v1, s22
	v_sub_u32_e32 v5, v3, v1
	v_cmp_lt_i32_e32 vcc, -1, v5
	s_and_b64 exec, exec, vcc
	s_cbranch_execz .LBB74_29
; %bb.23:
	s_add_i32 s0, s23, s22
	v_add_u32_e32 v6, s0, v0
	s_lshl_b32 s4, s22, 1
	s_mov_b64 s[0:1], 0
	v_mov_b32_e32 v7, s17
	v_mov_b32_e32 v8, s11
	;; [unrolled: 1-line block ×3, first 2 shown]
	s_branch .LBB74_25
.LBB74_24:                              ;   in Loop: Header=BB74_25 Depth=1
	s_or_b64 exec, exec, s[2:3]
	v_sub_u32_e32 v5, v5, v1
	v_cmp_gt_i32_e32 vcc, 0, v5
	s_or_b64 s[0:1], vcc, s[0:1]
	s_andn2_b64 exec, exec, s[0:1]
	s_cbranch_execz .LBB74_29
.LBB74_25:                              ; =>This Inner Loop Header: Depth=1
	v_add_u32_e32 v3, v5, v0
	s_waitcnt vmcnt(0)
	v_ashrrev_i32_e32 v4, 31, v3
	v_lshlrev_b64 v[9:10], 2, v[3:4]
	v_add_co_u32_e32 v11, vcc, s16, v9
	v_addc_co_u32_e32 v12, vcc, v7, v10, vcc
	v_add_co_u32_e32 v9, vcc, s10, v9
	global_load_dword v1, v[11:12], off
	v_addc_co_u32_e32 v10, vcc, v8, v10, vcc
	global_load_dword v4, v[9:10], off
	s_waitcnt vmcnt(1)
	v_cmp_ne_u32_e32 vcc, 1, v1
	s_and_saveexec_b64 s[2:3], vcc
	s_xor_b64 s[2:3], exec, s[2:3]
	s_cbranch_execz .LBB74_27
; %bb.26:                               ;   in Loop: Header=BB74_25 Depth=1
	v_add_u32_e32 v1, v6, v5
	v_lshlrev_b64 v[9:10], 2, v[1:2]
	v_mov_b32_e32 v1, s9
	v_add_co_u32_e32 v9, vcc, s8, v9
	v_addc_co_u32_e32 v10, vcc, v1, v10, vcc
	v_add_u32_e32 v1, s23, v3
	v_lshlrev_b64 v[11:12], 2, v[1:2]
	v_mov_b32_e32 v1, s9
	v_add_co_u32_e32 v11, vcc, s8, v11
	v_addc_co_u32_e32 v12, vcc, v1, v12, vcc
	global_load_dword v15, v[9:10], off
	global_load_dword v3, v[11:12], off
	v_subrev_u32_e32 v1, s22, v5
	v_add_u32_e32 v9, v1, v0
	v_ashrrev_i32_e32 v10, 31, v9
	v_add_u32_e32 v1, s23, v9
	v_lshlrev_b64 v[9:10], 2, v[9:10]
	v_lshlrev_b64 v[13:14], 2, v[1:2]
	v_add_co_u32_e32 v9, vcc, s10, v9
	v_addc_co_u32_e32 v10, vcc, v8, v10, vcc
	v_mov_b32_e32 v16, s9
	global_load_dword v1, v[9:10], off
	s_waitcnt vmcnt(1)
	v_fma_f32 v3, -v4, v15, v3
	global_store_dword v[11:12], v3, off
	v_add_co_u32_e32 v3, vcc, s8, v13
	v_addc_co_u32_e32 v4, vcc, v16, v14, vcc
	global_load_dword v9, v[3:4], off
	s_waitcnt vmcnt(0)
	v_fma_f32 v1, -v1, v15, v9
	global_store_dword v[3:4], v1, off
                                        ; implicit-def: $vgpr3
                                        ; implicit-def: $vgpr4
.LBB74_27:                              ;   in Loop: Header=BB74_25 Depth=1
	s_or_saveexec_b64 s[2:3], s[2:3]
	v_mov_b32_e32 v1, s4
	s_xor_b64 exec, exec, s[2:3]
	s_cbranch_execz .LBB74_24
; %bb.28:                               ;   in Loop: Header=BB74_25 Depth=1
	v_add_u32_e32 v1, v6, v5
	v_lshlrev_b64 v[9:10], 2, v[1:2]
	v_mov_b32_e32 v1, s9
	v_add_co_u32_e32 v9, vcc, s8, v9
	v_addc_co_u32_e32 v10, vcc, v1, v10, vcc
	v_add_u32_e32 v1, s23, v3
	v_lshlrev_b64 v[11:12], 2, v[1:2]
	v_mov_b32_e32 v1, s9
	v_add_co_u32_e32 v11, vcc, s8, v11
	v_addc_co_u32_e32 v12, vcc, v1, v12, vcc
	global_load_dword v1, v[9:10], off
	global_load_dword v3, v[11:12], off
	s_waitcnt vmcnt(0)
	v_fma_f32 v1, -v4, v1, v3
	global_store_dword v[11:12], v1, off
	v_mov_b32_e32 v1, s22
	s_branch .LBB74_24
.LBB74_29:
	s_endpgm
	.section	.rodata,"a",@progbits
	.p2align	6, 0x0
	.amdhsa_kernel _ZN9rocsparseL19gtsv_LBM_rhs_kernelILj256ELj128ELj1EfEEviiiPKT2_S3_S3_PS1_S3_PKi
		.amdhsa_group_segment_fixed_size 0
		.amdhsa_private_segment_fixed_size 0
		.amdhsa_kernarg_size 64
		.amdhsa_user_sgpr_count 6
		.amdhsa_user_sgpr_private_segment_buffer 1
		.amdhsa_user_sgpr_dispatch_ptr 0
		.amdhsa_user_sgpr_queue_ptr 0
		.amdhsa_user_sgpr_kernarg_segment_ptr 1
		.amdhsa_user_sgpr_dispatch_id 0
		.amdhsa_user_sgpr_flat_scratch_init 0
		.amdhsa_user_sgpr_private_segment_size 0
		.amdhsa_uses_dynamic_stack 0
		.amdhsa_system_sgpr_private_segment_wavefront_offset 0
		.amdhsa_system_sgpr_workgroup_id_x 1
		.amdhsa_system_sgpr_workgroup_id_y 1
		.amdhsa_system_sgpr_workgroup_id_z 0
		.amdhsa_system_sgpr_workgroup_info 0
		.amdhsa_system_vgpr_workitem_id 0
		.amdhsa_next_free_vgpr 22
		.amdhsa_next_free_sgpr 28
		.amdhsa_reserve_vcc 1
		.amdhsa_reserve_flat_scratch 0
		.amdhsa_float_round_mode_32 0
		.amdhsa_float_round_mode_16_64 0
		.amdhsa_float_denorm_mode_32 3
		.amdhsa_float_denorm_mode_16_64 3
		.amdhsa_dx10_clamp 1
		.amdhsa_ieee_mode 1
		.amdhsa_fp16_overflow 0
		.amdhsa_exception_fp_ieee_invalid_op 0
		.amdhsa_exception_fp_denorm_src 0
		.amdhsa_exception_fp_ieee_div_zero 0
		.amdhsa_exception_fp_ieee_overflow 0
		.amdhsa_exception_fp_ieee_underflow 0
		.amdhsa_exception_fp_ieee_inexact 0
		.amdhsa_exception_int_div_zero 0
	.end_amdhsa_kernel
	.section	.text._ZN9rocsparseL19gtsv_LBM_rhs_kernelILj256ELj128ELj1EfEEviiiPKT2_S3_S3_PS1_S3_PKi,"axG",@progbits,_ZN9rocsparseL19gtsv_LBM_rhs_kernelILj256ELj128ELj1EfEEviiiPKT2_S3_S3_PS1_S3_PKi,comdat
.Lfunc_end74:
	.size	_ZN9rocsparseL19gtsv_LBM_rhs_kernelILj256ELj128ELj1EfEEviiiPKT2_S3_S3_PS1_S3_PKi, .Lfunc_end74-_ZN9rocsparseL19gtsv_LBM_rhs_kernelILj256ELj128ELj1EfEEviiiPKT2_S3_S3_PS1_S3_PKi
                                        ; -- End function
	.set _ZN9rocsparseL19gtsv_LBM_rhs_kernelILj256ELj128ELj1EfEEviiiPKT2_S3_S3_PS1_S3_PKi.num_vgpr, 22
	.set _ZN9rocsparseL19gtsv_LBM_rhs_kernelILj256ELj128ELj1EfEEviiiPKT2_S3_S3_PS1_S3_PKi.num_agpr, 0
	.set _ZN9rocsparseL19gtsv_LBM_rhs_kernelILj256ELj128ELj1EfEEviiiPKT2_S3_S3_PS1_S3_PKi.numbered_sgpr, 28
	.set _ZN9rocsparseL19gtsv_LBM_rhs_kernelILj256ELj128ELj1EfEEviiiPKT2_S3_S3_PS1_S3_PKi.num_named_barrier, 0
	.set _ZN9rocsparseL19gtsv_LBM_rhs_kernelILj256ELj128ELj1EfEEviiiPKT2_S3_S3_PS1_S3_PKi.private_seg_size, 0
	.set _ZN9rocsparseL19gtsv_LBM_rhs_kernelILj256ELj128ELj1EfEEviiiPKT2_S3_S3_PS1_S3_PKi.uses_vcc, 1
	.set _ZN9rocsparseL19gtsv_LBM_rhs_kernelILj256ELj128ELj1EfEEviiiPKT2_S3_S3_PS1_S3_PKi.uses_flat_scratch, 0
	.set _ZN9rocsparseL19gtsv_LBM_rhs_kernelILj256ELj128ELj1EfEEviiiPKT2_S3_S3_PS1_S3_PKi.has_dyn_sized_stack, 0
	.set _ZN9rocsparseL19gtsv_LBM_rhs_kernelILj256ELj128ELj1EfEEviiiPKT2_S3_S3_PS1_S3_PKi.has_recursion, 0
	.set _ZN9rocsparseL19gtsv_LBM_rhs_kernelILj256ELj128ELj1EfEEviiiPKT2_S3_S3_PS1_S3_PKi.has_indirect_call, 0
	.section	.AMDGPU.csdata,"",@progbits
; Kernel info:
; codeLenInByte = 1548
; TotalNumSgprs: 32
; NumVgprs: 22
; ScratchSize: 0
; MemoryBound: 0
; FloatMode: 240
; IeeeMode: 1
; LDSByteSize: 0 bytes/workgroup (compile time only)
; SGPRBlocks: 3
; VGPRBlocks: 5
; NumSGPRsForWavesPerEU: 32
; NumVGPRsForWavesPerEU: 22
; Occupancy: 10
; WaveLimiterHint : 0
; COMPUTE_PGM_RSRC2:SCRATCH_EN: 0
; COMPUTE_PGM_RSRC2:USER_SGPR: 6
; COMPUTE_PGM_RSRC2:TRAP_HANDLER: 0
; COMPUTE_PGM_RSRC2:TGID_X_EN: 1
; COMPUTE_PGM_RSRC2:TGID_Y_EN: 1
; COMPUTE_PGM_RSRC2:TGID_Z_EN: 0
; COMPUTE_PGM_RSRC2:TIDIG_COMP_CNT: 0
	.section	.text._ZN9rocsparseL29gtsv_spike_block_level_kernelILj256ELj128EfEEviiiPT1_PKS1_S4_S2_S2_S2_S2_S2_,"axG",@progbits,_ZN9rocsparseL29gtsv_spike_block_level_kernelILj256ELj128EfEEviiiPT1_PKS1_S4_S2_S2_S2_S2_S2_,comdat
	.globl	_ZN9rocsparseL29gtsv_spike_block_level_kernelILj256ELj128EfEEviiiPT1_PKS1_S4_S2_S2_S2_S2_S2_ ; -- Begin function _ZN9rocsparseL29gtsv_spike_block_level_kernelILj256ELj128EfEEviiiPT1_PKS1_S4_S2_S2_S2_S2_S2_
	.p2align	8
	.type	_ZN9rocsparseL29gtsv_spike_block_level_kernelILj256ELj128EfEEviiiPT1_PKS1_S4_S2_S2_S2_S2_S2_,@function
_ZN9rocsparseL29gtsv_spike_block_level_kernelILj256ELj128EfEEviiiPT1_PKS1_S4_S2_S2_S2_S2_S2_: ; @_ZN9rocsparseL29gtsv_spike_block_level_kernelILj256ELj128EfEEviiiPT1_PKS1_S4_S2_S2_S2_S2_S2_
; %bb.0:
	s_load_dword s14, s[4:5], 0x0
	s_load_dwordx2 s[8:9], s[4:5], 0x18
	v_lshl_or_b32 v1, s6, 8, v0
	v_mov_b32_e32 v3, 0
	v_mov_b32_e32 v2, 0
	s_waitcnt lgkmcnt(0)
	s_lshr_b32 s19, s14, 7
	v_cmp_gt_i32_e64 s[0:1], s19, v1
	s_and_saveexec_b64 s[2:3], s[0:1]
	s_cbranch_execz .LBB75_2
; %bb.1:
	v_ashrrev_i32_e32 v2, 31, v1
	v_lshlrev_b64 v[4:5], 2, v[1:2]
	v_mov_b32_e32 v2, s9
	v_add_co_u32_e32 v4, vcc, s8, v4
	v_addc_co_u32_e32 v5, vcc, v2, v5, vcc
	global_load_dword v2, v[4:5], off
.LBB75_2:
	s_or_b64 exec, exec, s[2:3]
	s_load_dwordx2 s[2:3], s[4:5], 0x20
	v_lshlrev_b32_e32 v5, 2, v0
	v_or_b32_e32 v6, 0x800, v5
	s_mul_i32 s18, s19, 0x7f
	s_waitcnt vmcnt(0)
	ds_write_b32 v5, v2 offset:2048
	s_and_saveexec_b64 s[10:11], s[0:1]
	s_cbranch_execz .LBB75_4
; %bb.3:
	s_mul_i32 s12, s19, 0x7f
	v_add_u32_e32 v2, s12, v1
	v_mov_b32_e32 v3, 0
	v_lshlrev_b64 v[2:3], 2, v[2:3]
	v_mov_b32_e32 v4, s9
	v_add_co_u32_e32 v2, vcc, s8, v2
	v_addc_co_u32_e32 v3, vcc, v4, v3, vcc
	global_load_dword v3, v[2:3], off
.LBB75_4:
	s_or_b64 exec, exec, s[10:11]
	s_waitcnt vmcnt(0)
	ds_write_b32 v6, v3 offset:1024
	v_mov_b32_e32 v3, 0
	v_mov_b32_e32 v2, 0
	s_and_saveexec_b64 s[8:9], s[0:1]
	s_cbranch_execz .LBB75_6
; %bb.5:
	v_ashrrev_i32_e32 v2, 31, v1
	v_lshlrev_b64 v[7:8], 2, v[1:2]
	s_waitcnt lgkmcnt(0)
	v_mov_b32_e32 v2, s3
	v_add_co_u32_e32 v7, vcc, s2, v7
	v_addc_co_u32_e32 v8, vcc, v2, v8, vcc
	global_load_dword v2, v[7:8], off
.LBB75_6:
	s_or_b64 exec, exec, s[8:9]
	s_load_dwordx2 s[12:13], s[4:5], 0x10
	s_waitcnt vmcnt(0)
	ds_write_b32 v5, v2
	s_and_saveexec_b64 s[8:9], s[0:1]
	s_cbranch_execz .LBB75_8
; %bb.7:
	s_mul_i32 s10, s19, 0x7f
	v_add_u32_e32 v2, s10, v1
	v_mov_b32_e32 v3, 0
	v_lshlrev_b64 v[2:3], 2, v[2:3]
	s_waitcnt lgkmcnt(0)
	v_mov_b32_e32 v4, s3
	v_add_co_u32_e32 v2, vcc, s2, v2
	v_addc_co_u32_e32 v3, vcc, v4, v3, vcc
	global_load_dword v3, v[2:3], off
.LBB75_8:
	s_or_b64 exec, exec, s[8:9]
	s_mul_i32 s14, s14, s7
	s_waitcnt vmcnt(0)
	ds_write_b32 v5, v3 offset:1024
	v_mov_b32_e32 v2, 0
	v_add_u32_e32 v3, s14, v1
	v_mov_b32_e32 v7, 0
	s_waitcnt lgkmcnt(0)
	s_and_saveexec_b64 s[2:3], s[0:1]
	s_cbranch_execz .LBB75_10
; %bb.9:
	v_ashrrev_i32_e32 v4, 31, v3
	v_lshlrev_b64 v[7:8], 2, v[3:4]
	v_mov_b32_e32 v4, s13
	v_add_co_u32_e32 v7, vcc, s12, v7
	v_addc_co_u32_e32 v8, vcc, v4, v8, vcc
	global_load_dword v7, v[7:8], off
.LBB75_10:
	s_or_b64 exec, exec, s[2:3]
	v_or_b32_e32 v4, 0x1000, v5
	s_waitcnt vmcnt(0)
	ds_write_b32 v5, v7 offset:4096
	s_and_saveexec_b64 s[2:3], s[0:1]
	s_cbranch_execz .LBB75_12
; %bb.11:
	s_mul_i32 s8, s19, 0x7f
	s_add_i32 s8, s8, s14
	v_add_u32_e32 v7, s8, v1
	v_mov_b32_e32 v8, 0
	v_lshlrev_b64 v[7:8], 2, v[7:8]
	v_mov_b32_e32 v2, s13
	v_add_co_u32_e32 v7, vcc, s12, v7
	v_addc_co_u32_e32 v8, vcc, v2, v8, vcc
	global_load_dword v2, v[7:8], off
.LBB75_12:
	s_or_b64 exec, exec, s[2:3]
	s_movk_i32 s2, 0x80
	v_cmp_gt_u32_e32 vcc, s2, v0
	s_waitcnt vmcnt(0)
	ds_write_b32 v4, v2 offset:1024
	s_waitcnt lgkmcnt(0)
	s_barrier
	s_and_saveexec_b64 s[2:3], vcc
	s_cbranch_execz .LBB75_14
; %bb.13:
	v_add_u32_e32 v2, v6, v5
	v_add_u32_e32 v21, v5, v5
	ds_read2st64_b64 v[7:10], v2 offset1:2
	ds_read2st64_b64 v[11:14], v21 offset1:2
	v_add_u32_e32 v22, v4, v5
	s_waitcnt lgkmcnt(0)
	v_fma_f32 v19, -v8, v13, 1.0
	v_div_scale_f32 v15, s[8:9], v19, v19, 1.0
	v_div_scale_f32 v16, vcc, 1.0, v19, 1.0
	v_rcp_f32_e32 v17, v15
	v_fma_f32 v18, -v15, v17, 1.0
	v_fmac_f32_e32 v17, v18, v17
	v_mul_f32_e32 v18, v16, v17
	v_fma_f32 v20, -v15, v18, v16
	v_fmac_f32_e32 v18, v20, v17
	v_fma_f32 v15, -v15, v18, v16
	v_div_fmas_f32 v20, v15, v17, v18
	ds_read2st64_b64 v[15:18], v22 offset1:2
	v_div_fixup_f32 v23, v20, v19, 1.0
	s_waitcnt lgkmcnt(0)
	v_fma_f32 v19, -v8, v17, v16
	v_mul_f32_e32 v20, v19, v23
	v_fma_f32 v19, -v20, v11, v15
	v_fma_f32 v15, -v13, v16, v17
	v_mul_f32_e32 v15, v23, v15
	v_mul_f32_e32 v8, v8, v9
	v_fma_f32 v16, -v10, v15, v18
	v_mul_f32_e64 v8, v8, -v23
	v_mul_f32_e32 v18, v23, v12
	v_fma_f32 v7, -v8, v11, v7
	v_mul_f32_e64 v17, v18, -v11
	v_mul_f32_e32 v11, v13, v12
	v_mul_f32_e64 v11, v11, -v23
	v_mul_f32_e32 v9, v23, v9
	v_fma_f32 v12, -v11, v10, v14
	v_mul_f32_e64 v10, v9, -v10
	ds_write2st64_b64 v22, v[19:20], v[15:16] offset1:2
	ds_write2st64_b64 v21, v[17:18], v[11:12] offset1:2
	;; [unrolled: 1-line block ×3, first 2 shown]
.LBB75_14:
	s_or_b64 exec, exec, s[2:3]
	v_cmp_gt_u32_e32 vcc, 64, v0
	s_waitcnt lgkmcnt(0)
	s_barrier
	s_and_saveexec_b64 s[2:3], vcc
	s_cbranch_execz .LBB75_16
; %bb.15:
	v_lshlrev_b32_e32 v2, 4, v0
	v_add_u32_e32 v18, 0x800, v2
	v_add_u32_e32 v19, 0x400, v2
	ds_read2_b32 v[7:8], v18 offset1:2
	ds_read2_b32 v[9:10], v19 offset0:1 offset1:3
	s_waitcnt lgkmcnt(0)
	v_fma_f32 v11, -v8, v9, 1.0
	v_div_scale_f32 v12, s[8:9], v11, v11, 1.0
	v_rcp_f32_e32 v13, v12
	v_fma_f32 v14, -v12, v13, 1.0
	v_fmac_f32_e32 v13, v14, v13
	v_div_scale_f32 v14, vcc, 1.0, v11, 1.0
	v_mul_f32_e32 v15, v14, v13
	v_fma_f32 v16, -v12, v15, v14
	v_fmac_f32_e32 v15, v16, v13
	v_fma_f32 v12, -v12, v15, v14
	v_div_fmas_f32 v12, v12, v13, v15
	v_mad_u32_u24 v16, v0, 12, v4
	v_add_u32_e32 v21, 0x400, v16
	v_div_fixup_f32 v20, v12, v11, 1.0
	ds_read2_b32 v[11:12], v21 offset0:1 offset1:3
	ds_read2_b32 v[13:14], v16 offset1:2
	s_waitcnt lgkmcnt(0)
	v_fma_f32 v15, -v9, v14, v11
	v_mul_f32_e32 v22, v20, v15
	v_fma_f32 v11, -v8, v11, v14
	ds_read2_b32 v[14:15], v2 offset1:2
	v_mul_f32_e32 v11, v11, v20
	s_waitcnt lgkmcnt(0)
	v_fma_f32 v13, -v11, v14, v13
	ds_write2_b32 v16, v13, v11 offset1:2
	v_add_u32_e32 v11, 0xc00, v2
	ds_read2_b32 v[16:17], v11 offset0:1 offset1:3
	v_mul_f32_e32 v9, v9, v15
	v_mul_f32_e64 v9, v9, -v20
	s_waitcnt lgkmcnt(0)
	v_mul_f32_e32 v8, v8, v16
	v_fma_f32 v12, -v17, v22, v12
	v_mul_f32_e64 v8, v8, -v20
	ds_write2_b32 v21, v22, v12 offset0:1 offset1:3
	v_mul_f32_e32 v12, v20, v15
	v_fma_f32 v7, -v8, v14, v7
	ds_write2_b32 v18, v7, v8 offset1:2
	v_mul_f32_e64 v7, v12, -v14
	v_mul_f32_e32 v13, v20, v16
	ds_write2_b32 v2, v7, v12 offset1:2
	v_fma_f32 v2, -v9, v17, v10
	ds_write2_b32 v19, v9, v2 offset0:1 offset1:3
	v_mul_f32_e64 v2, v13, -v17
	ds_write2_b32 v11, v13, v2 offset0:1 offset1:3
.LBB75_16:
	s_or_b64 exec, exec, s[2:3]
	v_cmp_gt_u32_e32 vcc, 32, v0
	s_waitcnt lgkmcnt(0)
	s_barrier
	s_and_saveexec_b64 s[2:3], vcc
	s_cbranch_execz .LBB75_18
; %bb.17:
	v_lshlrev_b32_e32 v2, 5, v0
	v_add_u32_e32 v18, 0x800, v2
	v_add_u32_e32 v19, 0x400, v2
	ds_read2_b32 v[7:8], v18 offset1:4
	ds_read2_b32 v[9:10], v19 offset0:3 offset1:7
	v_add_u32_e32 v21, 0x1400, v2
	s_waitcnt lgkmcnt(0)
	v_fma_f32 v11, -v8, v9, 1.0
	v_div_scale_f32 v12, s[8:9], v11, v11, 1.0
	v_rcp_f32_e32 v13, v12
	v_fma_f32 v14, -v12, v13, 1.0
	v_fmac_f32_e32 v13, v14, v13
	v_div_scale_f32 v14, vcc, 1.0, v11, 1.0
	v_mul_f32_e32 v15, v14, v13
	v_fma_f32 v16, -v12, v15, v14
	v_fmac_f32_e32 v15, v16, v13
	v_fma_f32 v12, -v12, v15, v14
	v_div_fmas_f32 v12, v12, v13, v15
	v_add_u32_e32 v16, 0x1000, v2
	ds_read2_b32 v[13:14], v16 offset1:4
	v_div_fixup_f32 v20, v12, v11, 1.0
	ds_read2_b32 v[11:12], v21 offset0:3 offset1:7
	s_waitcnt lgkmcnt(0)
	v_fma_f32 v15, -v9, v14, v11
	v_mul_f32_e32 v22, v20, v15
	v_fma_f32 v11, -v8, v11, v14
	ds_read2_b32 v[14:15], v2 offset1:4
	v_mul_f32_e32 v11, v11, v20
	s_waitcnt lgkmcnt(0)
	v_fma_f32 v13, -v11, v14, v13
	ds_write2_b32 v16, v13, v11 offset1:4
	v_add_u32_e32 v11, 0xc00, v2
	ds_read2_b32 v[16:17], v11 offset0:3 offset1:7
	v_mul_f32_e32 v9, v9, v15
	v_mul_f32_e64 v9, v9, -v20
	s_waitcnt lgkmcnt(0)
	v_mul_f32_e32 v8, v8, v16
	v_fma_f32 v12, -v17, v22, v12
	v_mul_f32_e64 v8, v8, -v20
	ds_write2_b32 v21, v22, v12 offset0:3 offset1:7
	v_mul_f32_e32 v12, v20, v15
	v_fma_f32 v7, -v8, v14, v7
	ds_write2_b32 v18, v7, v8 offset1:4
	v_mul_f32_e64 v7, v12, -v14
	v_mul_f32_e32 v13, v20, v16
	ds_write2_b32 v2, v7, v12 offset1:4
	v_fma_f32 v2, -v9, v17, v10
	ds_write2_b32 v19, v9, v2 offset0:3 offset1:7
	v_mul_f32_e64 v2, v13, -v17
	ds_write2_b32 v11, v13, v2 offset0:3 offset1:7
.LBB75_18:
	s_or_b64 exec, exec, s[2:3]
	v_cmp_gt_u32_e32 vcc, 16, v0
	s_waitcnt lgkmcnt(0)
	s_barrier
	s_and_saveexec_b64 s[2:3], vcc
	s_cbranch_execz .LBB75_20
; %bb.19:
	v_lshlrev_b32_e32 v2, 6, v0
	v_add_u32_e32 v18, 0x800, v2
	v_add_u32_e32 v19, 0x400, v2
	ds_read2_b32 v[7:8], v18 offset1:8
	ds_read2_b32 v[9:10], v19 offset0:7 offset1:15
	v_add_u32_e32 v21, 0x1400, v2
	s_waitcnt lgkmcnt(0)
	v_fma_f32 v11, -v8, v9, 1.0
	v_div_scale_f32 v12, s[8:9], v11, v11, 1.0
	v_rcp_f32_e32 v13, v12
	v_fma_f32 v14, -v12, v13, 1.0
	v_fmac_f32_e32 v13, v14, v13
	v_div_scale_f32 v14, vcc, 1.0, v11, 1.0
	v_mul_f32_e32 v15, v14, v13
	v_fma_f32 v16, -v12, v15, v14
	v_fmac_f32_e32 v15, v16, v13
	v_fma_f32 v12, -v12, v15, v14
	v_div_fmas_f32 v12, v12, v13, v15
	v_add_u32_e32 v16, 0x1000, v2
	ds_read2_b32 v[13:14], v16 offset1:8
	v_div_fixup_f32 v20, v12, v11, 1.0
	ds_read2_b32 v[11:12], v21 offset0:7 offset1:15
	s_waitcnt lgkmcnt(0)
	v_fma_f32 v15, -v9, v14, v11
	v_mul_f32_e32 v22, v20, v15
	v_fma_f32 v11, -v8, v11, v14
	ds_read2_b32 v[14:15], v2 offset1:8
	v_mul_f32_e32 v11, v11, v20
	s_waitcnt lgkmcnt(0)
	v_fma_f32 v13, -v11, v14, v13
	ds_write2_b32 v16, v13, v11 offset1:8
	v_add_u32_e32 v11, 0xc00, v2
	ds_read2_b32 v[16:17], v11 offset0:7 offset1:15
	v_mul_f32_e32 v9, v9, v15
	v_mul_f32_e64 v9, v9, -v20
	s_waitcnt lgkmcnt(0)
	v_mul_f32_e32 v8, v8, v16
	v_fma_f32 v12, -v17, v22, v12
	v_mul_f32_e64 v8, v8, -v20
	ds_write2_b32 v21, v22, v12 offset0:7 offset1:15
	v_mul_f32_e32 v12, v20, v15
	v_fma_f32 v7, -v8, v14, v7
	ds_write2_b32 v18, v7, v8 offset1:8
	v_mul_f32_e64 v7, v12, -v14
	v_mul_f32_e32 v13, v20, v16
	ds_write2_b32 v2, v7, v12 offset1:8
	v_fma_f32 v2, -v9, v17, v10
	ds_write2_b32 v19, v9, v2 offset0:7 offset1:15
	v_mul_f32_e64 v2, v13, -v17
	ds_write2_b32 v11, v13, v2 offset0:7 offset1:15
.LBB75_20:
	;; [unrolled: 58-line block ×4, first 2 shown]
	s_or_b64 exec, exec, s[2:3]
	v_cmp_gt_u32_e32 vcc, 2, v0
	s_waitcnt lgkmcnt(0)
	s_barrier
	s_and_saveexec_b64 s[2:3], vcc
	s_cbranch_execz .LBB75_26
; %bb.25:
	v_lshlrev_b32_e32 v2, 9, v0
	v_add_u32_e32 v19, 0xfc, v2
	ds_read2st64_b32 v[7:8], v19 offset0:4 offset1:5
	ds_read2st64_b32 v[9:10], v2 offset0:8 offset1:9
	;; [unrolled: 1-line block ×3, first 2 shown]
	ds_read2st64_b32 v[13:14], v2 offset1:1
	ds_read2st64_b32 v[15:16], v19 offset0:12 offset1:13
	s_waitcnt lgkmcnt(3)
	v_fma_f32 v20, -v10, v7, 1.0
	v_div_scale_f32 v17, s[8:9], v20, v20, 1.0
	v_div_scale_f32 v18, vcc, 1.0, v20, 1.0
	v_rcp_f32_e32 v21, v17
	v_fma_f32 v22, -v17, v21, 1.0
	v_fmac_f32_e32 v21, v22, v21
	v_mul_f32_e32 v22, v18, v21
	v_fma_f32 v23, -v17, v22, v18
	v_fmac_f32_e32 v22, v23, v21
	v_fma_f32 v17, -v17, v22, v18
	v_div_fmas_f32 v21, v17, v21, v22
	ds_read2st64_b32 v[17:18], v19 offset0:20 offset1:21
	s_waitcnt lgkmcnt(0)
	v_fma_f32 v22, -v7, v12, v17
	v_fma_f32 v12, -v10, v17, v12
	v_mul_f32_e32 v7, v7, v14
	v_mul_f32_e32 v10, v10, v15
	v_div_fixup_f32 v17, v21, v20, 1.0
	v_mul_f32_e32 v12, v12, v17
	v_mul_f32_e32 v20, v17, v22
	v_mul_f32_e64 v7, v7, -v17
	v_fma_f32 v11, -v12, v13, v11
	v_mul_f32_e32 v14, v17, v14
	v_mul_f32_e64 v10, v10, -v17
	v_mul_f32_e32 v15, v17, v15
	v_fma_f32 v17, -v16, v20, v18
	v_fma_f32 v9, -v10, v13, v9
	v_mul_f32_e64 v13, v14, -v13
	v_fma_f32 v8, -v7, v16, v8
	v_mul_f32_e64 v16, v15, -v16
	ds_write2st64_b32 v2, v11, v12 offset0:16 offset1:17
	ds_write2st64_b32 v19, v20, v17 offset0:20 offset1:21
	;; [unrolled: 1-line block ×3, first 2 shown]
	ds_write2st64_b32 v2, v13, v14 offset1:1
	ds_write2st64_b32 v19, v7, v8 offset0:4 offset1:5
	ds_write2st64_b32 v19, v15, v16 offset0:12 offset1:13
.LBB75_26:
	s_or_b64 exec, exec, s[2:3]
	v_cmp_eq_u32_e64 s[2:3], 0, v0
	s_waitcnt lgkmcnt(0)
	s_barrier
	s_and_saveexec_b64 s[8:9], s[2:3]
	s_cbranch_execz .LBB75_28
; %bb.27:
	s_movk_i32 s10, 0xa00
	v_add_u32_e64 v2, s10, 0
	v_mov_b32_e32 v0, 0
	ds_read2_b32 v[7:8], v2 offset1:255
	ds_read_b32 v13, v0 offset:1532
	v_mov_b32_e32 v17, 0xffc
	s_waitcnt lgkmcnt(0)
	v_fma_f32 v9, -v7, v13, 1.0
	v_div_scale_f32 v10, s[10:11], v9, v9, 1.0
	s_movk_i32 s10, 0x1200
	v_rcp_f32_e32 v11, v10
	v_fma_f32 v12, -v10, v11, 1.0
	v_fmac_f32_e32 v11, v12, v11
	v_div_scale_f32 v12, vcc, 1.0, v9, 1.0
	v_mul_f32_e32 v14, v12, v11
	v_fma_f32 v15, -v10, v14, v12
	v_fmac_f32_e32 v14, v15, v11
	v_fma_f32 v10, -v10, v14, v12
	v_div_fmas_f32 v10, v10, v11, v14
	v_add_u32_e64 v11, s10, 0
	v_div_fixup_f32 v14, v10, v9, 1.0
	ds_read2_b32 v[9:10], v11 offset1:255
	s_waitcnt lgkmcnt(0)
	v_fma_f32 v12, -v13, v9, v10
	v_fma_f32 v9, -v7, v10, v9
	v_mul_f32_e32 v15, v14, v12
	v_mul_f32_e32 v16, v9, v14
	ds_write2_b32 v11, v16, v15 offset1:255
	ds_read2_b32 v[9:10], v17 offset1:1
	ds_read2st64_b32 v[11:12], v0 offset1:2
	v_mul_f32_e32 v7, v7, v8
	s_waitcnt lgkmcnt(0)
	v_fma_f32 v10, -v16, v11, v10
	ds_read_b32 v16, v0 offset:6140
	v_mul_f32_e32 v13, v13, v12
	v_mul_f32_e64 v13, v13, -v14
	v_mul_f32_e32 v12, v14, v12
	ds_write_b32 v0, v13 offset:1532
	s_waitcnt lgkmcnt(1)
	v_fma_f32 v15, -v9, v15, v16
	ds_write_b32 v0, v15 offset:6140
	v_mul_f32_e64 v15, v7, -v14
	v_mul_f32_e32 v14, v14, v8
	ds_write2_b32 v2, v15, v14 offset1:255
	v_mov_b32_e32 v2, 0x7fc
	ds_read2_b32 v[7:8], v2 offset1:1
	s_waitcnt lgkmcnt(0)
	v_fma_f32 v8, -v15, v11, v8
	v_mul_f32_e64 v11, v12, -v11
	ds_write2st64_b32 v0, v11, v12 offset1:2
	v_fma_f32 v0, -v13, v9, v7
	ds_write2_b32 v2, v0, v8 offset1:1
	v_mul_f32_e64 v0, v14, -v9
	ds_write2_b32 v17, v0, v10 offset1:1
.LBB75_28:
	s_or_b64 exec, exec, s[8:9]
	s_load_dwordx2 s[14:15], s[4:5], 0x48
	s_load_dwordx4 s[8:11], s[4:5], 0x38
	s_waitcnt lgkmcnt(0)
	s_barrier
	s_and_saveexec_b64 s[16:17], s[0:1]
	s_cbranch_execnz .LBB75_31
; %bb.29:
	s_or_b64 exec, exec, s[16:17]
	s_and_saveexec_b64 s[0:1], s[2:3]
	s_cbranch_execnz .LBB75_35
.LBB75_30:
	s_endpgm
.LBB75_31:
	s_cmp_eq_u32 s7, 0
	s_cbranch_scc1 .LBB75_39
; %bb.32:
	s_mulk_i32 s19, 0x7f
	s_cbranch_execnz .LBB75_34
.LBB75_33:
	s_load_dwordx4 s[20:23], s[4:5], 0x28
	v_ashrrev_i32_e32 v2, 31, v1
	v_lshlrev_b64 v[8:9], 2, v[1:2]
	ds_read2st64_b32 v[6:7], v6 offset1:4
	s_mov_b32 s19, s18
	s_waitcnt lgkmcnt(0)
	v_mov_b32_e32 v0, s21
	v_add_co_u32_e32 v10, vcc, s20, v8
	v_addc_co_u32_e32 v11, vcc, v0, v9, vcc
	v_add_u32_e32 v0, s18, v1
	v_mov_b32_e32 v1, 0
	v_lshlrev_b64 v[0:1], 2, v[0:1]
	global_store_dword v[10:11], v6, off
	v_mov_b32_e32 v2, s21
	v_add_co_u32_e32 v10, vcc, s20, v0
	v_addc_co_u32_e32 v11, vcc, v2, v1, vcc
	ds_read2st64_b32 v[5:6], v5 offset1:4
	global_store_dword v[10:11], v7, off
	v_mov_b32_e32 v2, s23
	v_add_co_u32_e32 v7, vcc, s22, v8
	v_addc_co_u32_e32 v8, vcc, v2, v9, vcc
	v_add_co_u32_e32 v0, vcc, s22, v0
	v_addc_co_u32_e32 v1, vcc, v2, v1, vcc
	s_waitcnt lgkmcnt(0)
	global_store_dword v[7:8], v5, off
	global_store_dword v[0:1], v6, off
.LBB75_34:
	ds_read2st64_b32 v[0:1], v4 offset1:4
	v_ashrrev_i32_e32 v4, 31, v3
	v_lshlrev_b64 v[4:5], 2, v[3:4]
	v_mov_b32_e32 v2, s13
	v_add_co_u32_e32 v4, vcc, s12, v4
	v_addc_co_u32_e32 v5, vcc, v2, v5, vcc
	v_add_u32_e32 v2, s19, v3
	v_mov_b32_e32 v3, 0
	v_lshlrev_b64 v[2:3], 2, v[2:3]
	s_waitcnt lgkmcnt(0)
	global_store_dword v[4:5], v0, off
	v_mov_b32_e32 v0, s13
	v_add_co_u32_e32 v2, vcc, s12, v2
	v_addc_co_u32_e32 v3, vcc, v0, v3, vcc
	global_store_dword v[2:3], v1, off
	s_or_b64 exec, exec, s[16:17]
	s_and_saveexec_b64 s[0:1], s[2:3]
	s_cbranch_execz .LBB75_30
.LBB75_35:
	s_cmp_eq_u32 s7, 0
	s_cbranch_scc1 .LBB75_40
; %bb.36:
	s_load_dword s2, s[4:5], 0x50
	s_cbranch_execnz .LBB75_38
.LBB75_37:
	v_mov_b32_e32 v0, 0x7fc
	ds_read2_b32 v[0:1], v0 offset1:1
	s_waitcnt lgkmcnt(0)
	s_load_dword s2, s[4:5], 0x50
	s_mov_b32 s0, s7
	s_ashr_i32 s7, s6, 31
	s_lshl_b64 s[12:13], s[6:7], 2
	s_mov_b32 s7, s0
	s_add_u32 s0, s10, s12
	s_addc_u32 s1, s11, s13
	v_mov_b32_e32 v2, 0
	ds_read_b32 v3, v2 offset:4092
	ds_read_b32 v4, v2
	global_store_dword v2, v1, s[0:1]
	s_waitcnt lgkmcnt(0)
	s_add_i32 s0, s2, s6
	s_mov_b32 s1, 0
	s_lshl_b64 s[0:1], s[0:1], 2
	s_add_u32 s4, s10, s0
	s_addc_u32 s5, s11, s1
	global_store_dword v2, v3, s[4:5]
	s_add_u32 s4, s14, s12
	s_addc_u32 s5, s15, s13
	s_add_u32 s0, s14, s0
	s_addc_u32 s1, s15, s1
	global_store_dword v2, v4, s[4:5]
	global_store_dword v2, v0, s[0:1]
.LBB75_38:
	s_waitcnt lgkmcnt(0)
	s_mul_i32 s0, s2, s7
	s_lshl_b32 s0, s0, 1
	s_add_i32 s0, s0, s6
	s_mov_b32 s1, 0
	v_mov_b32_e32 v0, 0
	s_lshl_b64 s[4:5], s[0:1], 2
	ds_read_b32 v1, v0 offset:4096
	ds_read_b32 v2, v0 offset:6140
	s_add_u32 s4, s8, s4
	s_addc_u32 s5, s9, s5
	s_add_i32 s0, s0, s2
	s_lshl_b64 s[0:1], s[0:1], 2
	s_add_u32 s0, s8, s0
	s_addc_u32 s1, s9, s1
	s_waitcnt lgkmcnt(1)
	global_store_dword v0, v1, s[4:5]
	s_waitcnt lgkmcnt(0)
	global_store_dword v0, v2, s[0:1]
	s_endpgm
.LBB75_39:
                                        ; implicit-def: $sgpr19
	s_branch .LBB75_33
.LBB75_40:
                                        ; implicit-def: $sgpr2
	s_branch .LBB75_37
	.section	.rodata,"a",@progbits
	.p2align	6, 0x0
	.amdhsa_kernel _ZN9rocsparseL29gtsv_spike_block_level_kernelILj256ELj128EfEEviiiPT1_PKS1_S4_S2_S2_S2_S2_S2_
		.amdhsa_group_segment_fixed_size 6144
		.amdhsa_private_segment_fixed_size 0
		.amdhsa_kernarg_size 336
		.amdhsa_user_sgpr_count 6
		.amdhsa_user_sgpr_private_segment_buffer 1
		.amdhsa_user_sgpr_dispatch_ptr 0
		.amdhsa_user_sgpr_queue_ptr 0
		.amdhsa_user_sgpr_kernarg_segment_ptr 1
		.amdhsa_user_sgpr_dispatch_id 0
		.amdhsa_user_sgpr_flat_scratch_init 0
		.amdhsa_user_sgpr_private_segment_size 0
		.amdhsa_uses_dynamic_stack 0
		.amdhsa_system_sgpr_private_segment_wavefront_offset 0
		.amdhsa_system_sgpr_workgroup_id_x 1
		.amdhsa_system_sgpr_workgroup_id_y 1
		.amdhsa_system_sgpr_workgroup_id_z 0
		.amdhsa_system_sgpr_workgroup_info 0
		.amdhsa_system_vgpr_workitem_id 0
		.amdhsa_next_free_vgpr 24
		.amdhsa_next_free_sgpr 24
		.amdhsa_reserve_vcc 1
		.amdhsa_reserve_flat_scratch 0
		.amdhsa_float_round_mode_32 0
		.amdhsa_float_round_mode_16_64 0
		.amdhsa_float_denorm_mode_32 3
		.amdhsa_float_denorm_mode_16_64 3
		.amdhsa_dx10_clamp 1
		.amdhsa_ieee_mode 1
		.amdhsa_fp16_overflow 0
		.amdhsa_exception_fp_ieee_invalid_op 0
		.amdhsa_exception_fp_denorm_src 0
		.amdhsa_exception_fp_ieee_div_zero 0
		.amdhsa_exception_fp_ieee_overflow 0
		.amdhsa_exception_fp_ieee_underflow 0
		.amdhsa_exception_fp_ieee_inexact 0
		.amdhsa_exception_int_div_zero 0
	.end_amdhsa_kernel
	.section	.text._ZN9rocsparseL29gtsv_spike_block_level_kernelILj256ELj128EfEEviiiPT1_PKS1_S4_S2_S2_S2_S2_S2_,"axG",@progbits,_ZN9rocsparseL29gtsv_spike_block_level_kernelILj256ELj128EfEEviiiPT1_PKS1_S4_S2_S2_S2_S2_S2_,comdat
.Lfunc_end75:
	.size	_ZN9rocsparseL29gtsv_spike_block_level_kernelILj256ELj128EfEEviiiPT1_PKS1_S4_S2_S2_S2_S2_S2_, .Lfunc_end75-_ZN9rocsparseL29gtsv_spike_block_level_kernelILj256ELj128EfEEviiiPT1_PKS1_S4_S2_S2_S2_S2_S2_
                                        ; -- End function
	.set _ZN9rocsparseL29gtsv_spike_block_level_kernelILj256ELj128EfEEviiiPT1_PKS1_S4_S2_S2_S2_S2_S2_.num_vgpr, 24
	.set _ZN9rocsparseL29gtsv_spike_block_level_kernelILj256ELj128EfEEviiiPT1_PKS1_S4_S2_S2_S2_S2_S2_.num_agpr, 0
	.set _ZN9rocsparseL29gtsv_spike_block_level_kernelILj256ELj128EfEEviiiPT1_PKS1_S4_S2_S2_S2_S2_S2_.numbered_sgpr, 24
	.set _ZN9rocsparseL29gtsv_spike_block_level_kernelILj256ELj128EfEEviiiPT1_PKS1_S4_S2_S2_S2_S2_S2_.num_named_barrier, 0
	.set _ZN9rocsparseL29gtsv_spike_block_level_kernelILj256ELj128EfEEviiiPT1_PKS1_S4_S2_S2_S2_S2_S2_.private_seg_size, 0
	.set _ZN9rocsparseL29gtsv_spike_block_level_kernelILj256ELj128EfEEviiiPT1_PKS1_S4_S2_S2_S2_S2_S2_.uses_vcc, 1
	.set _ZN9rocsparseL29gtsv_spike_block_level_kernelILj256ELj128EfEEviiiPT1_PKS1_S4_S2_S2_S2_S2_S2_.uses_flat_scratch, 0
	.set _ZN9rocsparseL29gtsv_spike_block_level_kernelILj256ELj128EfEEviiiPT1_PKS1_S4_S2_S2_S2_S2_S2_.has_dyn_sized_stack, 0
	.set _ZN9rocsparseL29gtsv_spike_block_level_kernelILj256ELj128EfEEviiiPT1_PKS1_S4_S2_S2_S2_S2_S2_.has_recursion, 0
	.set _ZN9rocsparseL29gtsv_spike_block_level_kernelILj256ELj128EfEEviiiPT1_PKS1_S4_S2_S2_S2_S2_S2_.has_indirect_call, 0
	.section	.AMDGPU.csdata,"",@progbits
; Kernel info:
; codeLenInByte = 3880
; TotalNumSgprs: 28
; NumVgprs: 24
; ScratchSize: 0
; MemoryBound: 0
; FloatMode: 240
; IeeeMode: 1
; LDSByteSize: 6144 bytes/workgroup (compile time only)
; SGPRBlocks: 3
; VGPRBlocks: 5
; NumSGPRsForWavesPerEU: 28
; NumVGPRsForWavesPerEU: 24
; Occupancy: 10
; WaveLimiterHint : 0
; COMPUTE_PGM_RSRC2:SCRATCH_EN: 0
; COMPUTE_PGM_RSRC2:USER_SGPR: 6
; COMPUTE_PGM_RSRC2:TRAP_HANDLER: 0
; COMPUTE_PGM_RSRC2:TGID_X_EN: 1
; COMPUTE_PGM_RSRC2:TGID_Y_EN: 1
; COMPUTE_PGM_RSRC2:TGID_Z_EN: 0
; COMPUTE_PGM_RSRC2:TIDIG_COMP_CNT: 0
	.section	.text._ZN9rocsparseL33gtsv_solve_spike_propagate_kernelILj256ELj128EfEEviiiPT1_PKS1_S4_S4_,"axG",@progbits,_ZN9rocsparseL33gtsv_solve_spike_propagate_kernelILj256ELj128EfEEviiiPT1_PKS1_S4_S4_,comdat
	.globl	_ZN9rocsparseL33gtsv_solve_spike_propagate_kernelILj256ELj128EfEEviiiPT1_PKS1_S4_S4_ ; -- Begin function _ZN9rocsparseL33gtsv_solve_spike_propagate_kernelILj256ELj128EfEEviiiPT1_PKS1_S4_S4_
	.p2align	8
	.type	_ZN9rocsparseL33gtsv_solve_spike_propagate_kernelILj256ELj128EfEEviiiPT1_PKS1_S4_S4_,@function
_ZN9rocsparseL33gtsv_solve_spike_propagate_kernelILj256ELj128EfEEviiiPT1_PKS1_S4_S4_: ; @_ZN9rocsparseL33gtsv_solve_spike_propagate_kernelILj256ELj128EfEEviiiPT1_PKS1_S4_S4_
; %bb.0:
	s_load_dword s10, s[4:5], 0x0
	v_lshl_or_b32 v1, s6, 8, v0
	v_mov_b32_e32 v4, 0
	v_ashrrev_i32_e32 v2, 31, v1
	v_mov_b32_e32 v5, 0
	s_waitcnt lgkmcnt(0)
	s_lshr_b32 s12, s10, 7
	v_cmp_le_i32_e64 s[0:1], s12, v1
	v_cmp_gt_i32_e32 vcc, s12, v1
	s_mulk_i32 s12, 0x7f
	s_and_saveexec_b64 s[8:9], vcc
	s_cbranch_execz .LBB76_2
; %bb.1:
	s_load_dwordx2 s[14:15], s[4:5], 0x18
	v_lshlrev_b64 v[3:4], 2, v[1:2]
	s_waitcnt lgkmcnt(0)
	v_mov_b32_e32 v5, s15
	v_add_co_u32_e64 v6, s[2:3], s14, v3
	v_addc_co_u32_e64 v7, s[2:3], v5, v4, s[2:3]
	v_add_u32_e32 v3, s12, v1
	v_mov_b32_e32 v4, 0
	v_lshlrev_b64 v[3:4], 2, v[3:4]
	v_add_co_u32_e64 v8, s[2:3], s14, v3
	v_addc_co_u32_e64 v9, s[2:3], v5, v4, s[2:3]
	global_load_dword v4, v[6:7], off
	global_load_dword v5, v[8:9], off
.LBB76_2:
	s_or_b64 exec, exec, s[8:9]
	s_load_dwordx2 s[2:3], s[4:5], 0x10
	v_lshlrev_b32_e32 v3, 2, v0
	v_add_u32_e32 v6, 16, v3
	s_waitcnt vmcnt(0)
	ds_write2st64_b32 v6, v4, v5 offset0:16 offset1:20
	s_and_saveexec_b64 s[8:9], s[0:1]
	s_xor_b64 s[0:1], exec, s[8:9]
; %bb.3:
	v_mov_b32_e32 v2, 0
	ds_write2st64_b32 v6, v2, v2 offset0:8 offset1:12
; %bb.4:
	s_or_saveexec_b64 s[8:9], s[0:1]
	v_mov_b32_e32 v4, 0
	s_mul_i32 s10, s10, s7
	v_mov_b32_e32 v5, 0
	s_xor_b64 exec, exec, s[8:9]
	s_cbranch_execz .LBB76_6
; %bb.5:
	s_load_dwordx2 s[14:15], s[4:5], 0x20
	v_lshlrev_b64 v[5:6], 2, v[1:2]
	v_add_u32_e32 v7, s12, v1
	v_mov_b32_e32 v8, 0
	v_lshlrev_b64 v[9:10], 2, v[7:8]
	s_waitcnt lgkmcnt(0)
	v_mov_b32_e32 v2, s15
	v_add_co_u32_e64 v5, s[0:1], s14, v5
	v_addc_co_u32_e64 v6, s[0:1], v2, v6, s[0:1]
	v_add_co_u32_e64 v9, s[0:1], s14, v9
	v_add_u32_e32 v7, s10, v7
	v_addc_co_u32_e64 v10, s[0:1], v2, v10, s[0:1]
	global_load_dword v2, v[5:6], off
	global_load_dword v11, v[9:10], off
	v_lshlrev_b64 v[5:6], 2, v[7:8]
	v_mov_b32_e32 v7, s3
	v_add_co_u32_e64 v5, s[0:1], s2, v5
	v_addc_co_u32_e64 v6, s[0:1], v7, v6, s[0:1]
	global_load_dword v5, v[5:6], off
	v_add_u32_e32 v6, 16, v3
	s_waitcnt vmcnt(1)
	ds_write2st64_b32 v6, v2, v11 offset0:8 offset1:12
.LBB76_6:
	s_or_b64 exec, exec, s[8:9]
	v_add_u32_e32 v1, s10, v1
	s_waitcnt vmcnt(0)
	ds_write_b32 v3, v5 offset:4
	s_and_saveexec_b64 s[8:9], vcc
	s_cbranch_execz .LBB76_8
; %bb.7:
	v_ashrrev_i32_e32 v2, 31, v1
	v_lshlrev_b64 v[4:5], 2, v[1:2]
	s_waitcnt lgkmcnt(0)
	v_mov_b32_e32 v2, s3
	v_add_co_u32_e64 v4, s[0:1], s2, v4
	v_addc_co_u32_e64 v5, s[0:1], v2, v5, s[0:1]
	global_load_dword v4, v[4:5], off
.LBB76_8:
	s_or_b64 exec, exec, s[8:9]
	s_mov_b32 s14, 0
	v_cmp_eq_u32_e64 s[0:1], 0, v0
	s_waitcnt vmcnt(0)
	ds_write_b32 v3, v4 offset:1028
	s_waitcnt lgkmcnt(0)
	s_barrier
	s_and_saveexec_b64 s[8:9], s[0:1]
	s_cbranch_execz .LBB76_14
; %bb.9:
	s_load_dword s13, s[4:5], 0x30
	s_load_dwordx2 s[10:11], s[4:5], 0x28
	s_cmp_lt_i32 s6, 1
	s_waitcnt lgkmcnt(0)
	s_mul_i32 s7, s7, s13
	s_cbranch_scc1 .LBB76_11
; %bb.10:
	s_lshl_b32 s4, s7, 1
	s_add_i32 s5, s6, s13
	s_add_i32 s4, s5, s4
	s_add_i32 s4, s4, -1
	s_mov_b32 s5, 0
	s_lshl_b64 s[4:5], s[4:5], 2
	s_add_u32 s4, s10, s4
	s_addc_u32 s5, s11, s5
	s_load_dword s14, s[4:5], 0x0
.LBB76_11:
	s_add_i32 s4, s13, -1
	v_mov_b32_e32 v2, 0
	s_waitcnt lgkmcnt(0)
	v_mov_b32_e32 v4, s14
	s_mov_b32 s5, 0
	s_cmp_ge_u32 s6, s4
	s_mov_b32 s14, 0
	ds_write_b32 v2, v4
	s_cbranch_scc1 .LBB76_13
; %bb.12:
	s_lshl_b32 s4, s7, 1
	s_add_i32 s4, s6, s4
	s_add_i32 s14, s4, 1
	s_mov_b32 s15, 0
	s_lshl_b64 s[14:15], s[14:15], 2
	s_add_u32 s14, s10, s14
	s_addc_u32 s15, s11, s15
	s_load_dword s14, s[14:15], 0x0
.LBB76_13:
	s_lshl_b32 s4, s7, 1
	s_add_i32 s4, s4, s6
	s_lshl_b64 s[6:7], s[4:5], 2
	s_add_u32 s6, s10, s6
	s_addc_u32 s7, s11, s7
	s_add_i32 s4, s4, s13
	s_lshl_b64 s[4:5], s[4:5], 2
	s_add_u32 s4, s10, s4
	s_addc_u32 s5, s11, s5
	s_load_dword s10, s[4:5], 0x0
	s_load_dword s11, s[6:7], 0x0
	s_waitcnt lgkmcnt(0)
	v_mov_b32_e32 v4, s14
	ds_write_b32 v2, v4 offset:2052
	v_mov_b32_e32 v4, s10
	v_mov_b32_e32 v5, s11
	ds_write_b64 v2, v[4:5] offset:1024
.LBB76_14:
	s_or_b64 exec, exec, s[8:9]
	s_waitcnt lgkmcnt(0)
	s_barrier
	s_and_saveexec_b64 s[4:5], s[0:1]
	s_cbranch_execz .LBB76_16
; %bb.15:
	s_movk_i32 s0, 0xa10
	v_mov_b32_e32 v2, 0
	v_add_u32_e64 v6, s0, 0
	v_add_u32_e64 v8, 4, 0
	s_movk_i32 s0, 0x1210
	ds_read2st64_b32 v[4:5], v2 offset1:2
	ds_read2_b32 v[6:7], v6 offset1:255
	ds_read2st64_b32 v[8:9], v8 offset0:6 offset1:8
	v_add_u32_e64 v10, s0, 0
	ds_read2_b32 v[10:11], v10 offset1:255
	s_waitcnt lgkmcnt(1)
	v_fma_f32 v5, -v7, v9, v5
	s_waitcnt lgkmcnt(0)
	v_fma_f32 v5, -v11, v4, v5
	ds_write_b32 v2, v5 offset:512
	v_fma_f32 v5, -v6, v9, v8
	v_fma_f32 v4, -v10, v4, v5
	ds_write_b32 v2, v4 offset:1540
.LBB76_16:
	s_or_b64 exec, exec, s[4:5]
	v_cmp_gt_u32_e64 s[0:1], 2, v0
	s_waitcnt lgkmcnt(0)
	s_barrier
	s_and_saveexec_b64 s[4:5], s[0:1]
	s_cbranch_execz .LBB76_18
; %bb.17:
	s_movk_i32 s0, 0x1fc
	v_mad_u32_u24 v2, v0, s0, v3
	v_lshlrev_b32_e32 v10, 9, v0
	v_add_u32_e32 v6, 0x910, v10
	v_add_u32_e32 v8, 4, v2
	ds_read2st64_b32 v[4:5], v2 offset1:1
	ds_read2_b32 v[6:7], v6 offset1:255
	ds_read2st64_b32 v[8:9], v8 offset0:5 offset1:6
	v_add_u32_e32 v10, 0x1110, v10
	ds_read2_b32 v[10:11], v10 offset1:255
	s_waitcnt lgkmcnt(1)
	v_fma_f32 v5, -v7, v9, v5
	s_waitcnt lgkmcnt(0)
	v_fma_f32 v5, -v11, v4, v5
	ds_write_b32 v2, v5 offset:256
	v_fma_f32 v5, -v6, v9, v8
	v_fma_f32 v4, -v10, v4, v5
	ds_write_b32 v2, v4 offset:1284
.LBB76_18:
	s_or_b64 exec, exec, s[4:5]
	v_cmp_gt_u32_e64 s[0:1], 4, v0
	s_waitcnt lgkmcnt(0)
	s_barrier
	s_and_saveexec_b64 s[4:5], s[0:1]
	s_cbranch_execz .LBB76_20
; %bb.19:
	v_lshlrev_b32_e32 v2, 8, v0
	v_add_u32_e32 v6, 0x890, v2
	v_add_u32_e32 v8, 0x400, v2
	ds_read2_b32 v[4:5], v2 offset1:32
	ds_read2_b32 v[6:7], v6 offset1:255
	ds_read2_b32 v[8:9], v8 offset0:33 offset1:65
	v_add_u32_e32 v10, 0x1090, v2
	ds_read2_b32 v[10:11], v10 offset1:255
	s_waitcnt lgkmcnt(1)
	v_fma_f32 v5, -v7, v9, v5
	s_waitcnt lgkmcnt(0)
	v_fma_f32 v5, -v11, v4, v5
	ds_write_b32 v2, v5 offset:128
	v_fma_f32 v5, -v6, v9, v8
	v_fma_f32 v4, -v10, v4, v5
	ds_write_b32 v2, v4 offset:1156
.LBB76_20:
	s_or_b64 exec, exec, s[4:5]
	v_cmp_gt_u32_e64 s[0:1], 8, v0
	s_waitcnt lgkmcnt(0)
	s_barrier
	s_and_saveexec_b64 s[4:5], s[0:1]
	s_cbranch_execz .LBB76_22
; %bb.21:
	v_lshlrev_b32_e32 v2, 7, v0
	v_add_u32_e32 v6, 0x850, v2
	v_add_u32_e32 v8, 0x400, v2
	ds_read2_b32 v[4:5], v2 offset1:16
	ds_read2_b32 v[6:7], v6 offset1:255
	ds_read2_b32 v[8:9], v8 offset0:17 offset1:33
	v_add_u32_e32 v10, 0x1050, v2
	ds_read2_b32 v[10:11], v10 offset1:255
	s_waitcnt lgkmcnt(1)
	v_fma_f32 v5, -v7, v9, v5
	s_waitcnt lgkmcnt(0)
	v_fma_f32 v5, -v11, v4, v5
	ds_write_b32 v2, v5 offset:64
	v_fma_f32 v5, -v6, v9, v8
	v_fma_f32 v4, -v10, v4, v5
	ds_write_b32 v2, v4 offset:1092
.LBB76_22:
	;; [unrolled: 24-line block ×5, first 2 shown]
	s_or_b64 exec, exec, s[4:5]
	s_movk_i32 s0, 0x80
	v_cmp_gt_u32_e64 s[0:1], s0, v0
	s_waitcnt lgkmcnt(0)
	s_barrier
	s_and_saveexec_b64 s[4:5], s[0:1]
	s_cbranch_execz .LBB76_30
; %bb.29:
	v_lshlrev_b32_e32 v0, 3, v0
	v_add_u32_e32 v2, 0x814, v0
	ds_read2_b64 v[4:7], v0 offset1:129
	ds_read2_b32 v[8:9], v2 offset1:255
	v_add_u32_e32 v2, 0x1014, v0
	ds_read2_b32 v[10:11], v2 offset1:255
	s_waitcnt lgkmcnt(1)
	v_fma_f32 v2, -v9, v7, v5
	v_fma_f32 v5, -v8, v7, v6
	s_waitcnt lgkmcnt(0)
	v_fma_f32 v2, -v11, v4, v2
	ds_write_b32 v0, v2 offset:4
	v_fma_f32 v2, -v10, v4, v5
	ds_write_b32 v0, v2 offset:1032
.LBB76_30:
	s_or_b64 exec, exec, s[4:5]
	s_waitcnt lgkmcnt(0)
	s_barrier
	s_and_saveexec_b64 s[0:1], vcc
	s_cbranch_execz .LBB76_32
; %bb.31:
	v_ashrrev_i32_e32 v2, 31, v1
	v_lshlrev_b64 v[5:6], 2, v[1:2]
	v_add_u32_e32 v0, 4, v3
	ds_read2st64_b32 v[3:4], v0 offset1:4
	v_mov_b32_e32 v0, s3
	v_add_co_u32_e32 v5, vcc, s2, v5
	v_addc_co_u32_e32 v6, vcc, v0, v6, vcc
	v_add_u32_e32 v0, s12, v1
	v_mov_b32_e32 v1, 0
	v_lshlrev_b64 v[0:1], 2, v[0:1]
	v_mov_b32_e32 v2, s3
	v_add_co_u32_e32 v0, vcc, s2, v0
	v_addc_co_u32_e32 v1, vcc, v2, v1, vcc
	s_waitcnt lgkmcnt(0)
	global_store_dword v[5:6], v4, off
	global_store_dword v[0:1], v3, off
.LBB76_32:
	s_endpgm
	.section	.rodata,"a",@progbits
	.p2align	6, 0x0
	.amdhsa_kernel _ZN9rocsparseL33gtsv_solve_spike_propagate_kernelILj256ELj128EfEEviiiPT1_PKS1_S4_S4_
		.amdhsa_group_segment_fixed_size 6160
		.amdhsa_private_segment_fixed_size 0
		.amdhsa_kernarg_size 304
		.amdhsa_user_sgpr_count 6
		.amdhsa_user_sgpr_private_segment_buffer 1
		.amdhsa_user_sgpr_dispatch_ptr 0
		.amdhsa_user_sgpr_queue_ptr 0
		.amdhsa_user_sgpr_kernarg_segment_ptr 1
		.amdhsa_user_sgpr_dispatch_id 0
		.amdhsa_user_sgpr_flat_scratch_init 0
		.amdhsa_user_sgpr_private_segment_size 0
		.amdhsa_uses_dynamic_stack 0
		.amdhsa_system_sgpr_private_segment_wavefront_offset 0
		.amdhsa_system_sgpr_workgroup_id_x 1
		.amdhsa_system_sgpr_workgroup_id_y 1
		.amdhsa_system_sgpr_workgroup_id_z 0
		.amdhsa_system_sgpr_workgroup_info 0
		.amdhsa_system_vgpr_workitem_id 0
		.amdhsa_next_free_vgpr 12
		.amdhsa_next_free_sgpr 16
		.amdhsa_reserve_vcc 1
		.amdhsa_reserve_flat_scratch 0
		.amdhsa_float_round_mode_32 0
		.amdhsa_float_round_mode_16_64 0
		.amdhsa_float_denorm_mode_32 3
		.amdhsa_float_denorm_mode_16_64 3
		.amdhsa_dx10_clamp 1
		.amdhsa_ieee_mode 1
		.amdhsa_fp16_overflow 0
		.amdhsa_exception_fp_ieee_invalid_op 0
		.amdhsa_exception_fp_denorm_src 0
		.amdhsa_exception_fp_ieee_div_zero 0
		.amdhsa_exception_fp_ieee_overflow 0
		.amdhsa_exception_fp_ieee_underflow 0
		.amdhsa_exception_fp_ieee_inexact 0
		.amdhsa_exception_int_div_zero 0
	.end_amdhsa_kernel
	.section	.text._ZN9rocsparseL33gtsv_solve_spike_propagate_kernelILj256ELj128EfEEviiiPT1_PKS1_S4_S4_,"axG",@progbits,_ZN9rocsparseL33gtsv_solve_spike_propagate_kernelILj256ELj128EfEEviiiPT1_PKS1_S4_S4_,comdat
.Lfunc_end76:
	.size	_ZN9rocsparseL33gtsv_solve_spike_propagate_kernelILj256ELj128EfEEviiiPT1_PKS1_S4_S4_, .Lfunc_end76-_ZN9rocsparseL33gtsv_solve_spike_propagate_kernelILj256ELj128EfEEviiiPT1_PKS1_S4_S4_
                                        ; -- End function
	.set _ZN9rocsparseL33gtsv_solve_spike_propagate_kernelILj256ELj128EfEEviiiPT1_PKS1_S4_S4_.num_vgpr, 12
	.set _ZN9rocsparseL33gtsv_solve_spike_propagate_kernelILj256ELj128EfEEviiiPT1_PKS1_S4_S4_.num_agpr, 0
	.set _ZN9rocsparseL33gtsv_solve_spike_propagate_kernelILj256ELj128EfEEviiiPT1_PKS1_S4_S4_.numbered_sgpr, 16
	.set _ZN9rocsparseL33gtsv_solve_spike_propagate_kernelILj256ELj128EfEEviiiPT1_PKS1_S4_S4_.num_named_barrier, 0
	.set _ZN9rocsparseL33gtsv_solve_spike_propagate_kernelILj256ELj128EfEEviiiPT1_PKS1_S4_S4_.private_seg_size, 0
	.set _ZN9rocsparseL33gtsv_solve_spike_propagate_kernelILj256ELj128EfEEviiiPT1_PKS1_S4_S4_.uses_vcc, 1
	.set _ZN9rocsparseL33gtsv_solve_spike_propagate_kernelILj256ELj128EfEEviiiPT1_PKS1_S4_S4_.uses_flat_scratch, 0
	.set _ZN9rocsparseL33gtsv_solve_spike_propagate_kernelILj256ELj128EfEEviiiPT1_PKS1_S4_S4_.has_dyn_sized_stack, 0
	.set _ZN9rocsparseL33gtsv_solve_spike_propagate_kernelILj256ELj128EfEEviiiPT1_PKS1_S4_S4_.has_recursion, 0
	.set _ZN9rocsparseL33gtsv_solve_spike_propagate_kernelILj256ELj128EfEEviiiPT1_PKS1_S4_S4_.has_indirect_call, 0
	.section	.AMDGPU.csdata,"",@progbits
; Kernel info:
; codeLenInByte = 1972
; TotalNumSgprs: 20
; NumVgprs: 12
; ScratchSize: 0
; MemoryBound: 0
; FloatMode: 240
; IeeeMode: 1
; LDSByteSize: 6160 bytes/workgroup (compile time only)
; SGPRBlocks: 2
; VGPRBlocks: 2
; NumSGPRsForWavesPerEU: 20
; NumVGPRsForWavesPerEU: 12
; Occupancy: 10
; WaveLimiterHint : 0
; COMPUTE_PGM_RSRC2:SCRATCH_EN: 0
; COMPUTE_PGM_RSRC2:USER_SGPR: 6
; COMPUTE_PGM_RSRC2:TRAP_HANDLER: 0
; COMPUTE_PGM_RSRC2:TGID_X_EN: 1
; COMPUTE_PGM_RSRC2:TGID_Y_EN: 1
; COMPUTE_PGM_RSRC2:TGID_Z_EN: 0
; COMPUTE_PGM_RSRC2:TIDIG_COMP_CNT: 0
	.section	.text._ZN9rocsparseL39gtsv_spike_backward_substitution_kernelILj256ELj128EfEEviiiPT1_PKS1_S4_,"axG",@progbits,_ZN9rocsparseL39gtsv_spike_backward_substitution_kernelILj256ELj128EfEEviiiPT1_PKS1_S4_,comdat
	.globl	_ZN9rocsparseL39gtsv_spike_backward_substitution_kernelILj256ELj128EfEEviiiPT1_PKS1_S4_ ; -- Begin function _ZN9rocsparseL39gtsv_spike_backward_substitution_kernelILj256ELj128EfEEviiiPT1_PKS1_S4_
	.p2align	8
	.type	_ZN9rocsparseL39gtsv_spike_backward_substitution_kernelILj256ELj128EfEEviiiPT1_PKS1_S4_,@function
_ZN9rocsparseL39gtsv_spike_backward_substitution_kernelILj256ELj128EfEEviiiPT1_PKS1_S4_: ; @_ZN9rocsparseL39gtsv_spike_backward_substitution_kernelILj256ELj128EfEEviiiPT1_PKS1_S4_
; %bb.0:
	s_load_dword s12, s[4:5], 0x0
	s_lshl_b32 s6, s6, 8
	v_or_b32_e32 v3, s6, v0
	s_waitcnt lgkmcnt(0)
	s_lshr_b32 s10, s12, 7
	v_cmp_gt_i32_e32 vcc, s10, v3
	s_and_saveexec_b64 s[0:1], vcc
	s_cbranch_execz .LBB77_9
; %bb.1:
	s_load_dwordx2 s[8:9], s[4:5], 0x10
	v_cmp_lt_i32_e32 vcc, 0, v3
	v_mov_b32_e32 v1, 0
	s_mul_i32 s11, s12, s7
	s_and_saveexec_b64 s[0:1], vcc
	s_cbranch_execz .LBB77_3
; %bb.2:
	s_mul_i32 s2, s10, 0x7f
	s_mul_i32 s3, s12, s7
	s_add_i32 s2, s2, s3
	v_add3_u32 v1, v3, s2, -1
	v_mov_b32_e32 v2, 0
	v_lshlrev_b64 v[1:2], 2, v[1:2]
	s_waitcnt lgkmcnt(0)
	v_mov_b32_e32 v4, s9
	v_add_co_u32_e32 v1, vcc, s8, v1
	v_addc_co_u32_e32 v2, vcc, v4, v2, vcc
	global_load_dword v1, v[1:2], off
.LBB77_3:
	s_or_b64 exec, exec, s[0:1]
	s_load_dwordx4 s[0:3], s[4:5], 0x18
	v_add_u32_e32 v2, 0x80, v3
	v_cmp_le_u32_e32 vcc, s12, v2
	s_and_saveexec_b64 s[4:5], vcc
	s_xor_b64 s[4:5], exec, s[4:5]
; %bb.4:
                                        ; implicit-def: $vgpr3
; %bb.5:
	s_or_saveexec_b64 s[4:5], s[4:5]
	v_mov_b32_e32 v2, 0
	v_mov_b32_e32 v15, s11
	s_xor_b64 exec, exec, s[4:5]
	s_cbranch_execz .LBB77_7
; %bb.6:
	s_ashr_i32 s7, s11, 31
	v_ashrrev_i32_e32 v4, 31, v3
	v_mov_b32_e32 v5, s7
	v_add_co_u32_e32 v2, vcc, s11, v3
	v_addc_co_u32_e32 v3, vcc, v4, v5, vcc
	v_lshlrev_b64 v[2:3], 2, v[2:3]
	s_waitcnt lgkmcnt(0)
	v_mov_b32_e32 v4, s9
	v_add_co_u32_e32 v2, vcc, s8, v2
	v_addc_co_u32_e32 v3, vcc, v4, v3, vcc
	global_load_dword v2, v[2:3], off offset:4
	v_mov_b32_e32 v15, s11
.LBB77_7:
	s_or_b64 exec, exec, s[4:5]
	v_add_u32_e32 v13, v0, v15
	s_lshl_b32 s5, s10, 1
	v_add_u32_e32 v3, s5, v13
	v_add_u32_e32 v4, s5, v0
	s_mul_i32 s5, s10, 3
	v_add_u32_e32 v5, s5, v13
	v_add_u32_e32 v6, s5, v0
	s_lshl_b32 s5, s10, 2
	v_add_u32_e32 v7, s5, v13
	v_add_u32_e32 v8, s5, v0
	s_mul_i32 s5, s10, 5
	s_mul_i32 s4, s10, 7
	v_add_u32_e32 v9, s5, v13
	v_add_u32_e32 v10, s5, v0
	s_mul_i32 s5, s10, 6
	v_add_u32_e32 v12, s5, v0
	v_add_u32_e32 v14, s4, v0
	;; [unrolled: 1-line block ×6, first 2 shown]
	s_movk_i32 s5, 0x7e
	s_waitcnt lgkmcnt(0)
	v_mov_b32_e32 v16, s9
	v_mov_b32_e32 v17, s1
	;; [unrolled: 1-line block ×3, first 2 shown]
.LBB77_8:                               ; =>This Inner Loop Header: Depth=1
	v_add_u32_e32 v19, s6, v15
	v_ashrrev_i32_e32 v20, 31, v19
	v_lshlrev_b64 v[19:20], 2, v[19:20]
	v_add_u32_e32 v21, s6, v0
	v_ashrrev_i32_e32 v22, 31, v21
	v_add_co_u32_e32 v19, vcc, s8, v19
	v_lshlrev_b64 v[21:22], 2, v[21:22]
	v_addc_co_u32_e32 v20, vcc, v16, v20, vcc
	v_add_co_u32_e32 v23, vcc, s0, v21
	v_addc_co_u32_e32 v24, vcc, v17, v22, vcc
	v_add_co_u32_e32 v21, vcc, s2, v21
	v_addc_co_u32_e32 v22, vcc, v18, v22, vcc
	global_load_dword v25, v[23:24], off
	global_load_dword v26, v[21:22], off
	;; [unrolled: 1-line block ×3, first 2 shown]
	s_add_i32 s5, s5, -7
	v_add_u32_e32 v0, s4, v0
	s_cmp_lg_u32 s5, 0
	v_add_u32_e32 v15, s4, v15
	s_waitcnt vmcnt(0)
	v_fma_f32 v21, -v1, v25, v27
	v_fma_f32 v21, -v2, v26, v21
	global_store_dword v[19:20], v21, off
	v_add_u32_e32 v19, s6, v3
	v_ashrrev_i32_e32 v20, 31, v19
	v_lshlrev_b64 v[19:20], 2, v[19:20]
	v_add_u32_e32 v21, s6, v4
	v_ashrrev_i32_e32 v22, 31, v21
	v_add_co_u32_e32 v19, vcc, s8, v19
	v_lshlrev_b64 v[21:22], 2, v[21:22]
	v_addc_co_u32_e32 v20, vcc, v16, v20, vcc
	v_add_co_u32_e32 v23, vcc, s0, v21
	v_addc_co_u32_e32 v24, vcc, v17, v22, vcc
	v_add_co_u32_e32 v21, vcc, s2, v21
	v_addc_co_u32_e32 v22, vcc, v18, v22, vcc
	global_load_dword v25, v[23:24], off
	global_load_dword v26, v[21:22], off
	global_load_dword v27, v[19:20], off
	v_add_u32_e32 v3, s4, v3
	v_add_u32_e32 v4, s4, v4
	s_waitcnt vmcnt(0)
	v_fma_f32 v21, -v1, v25, v27
	v_fma_f32 v21, -v2, v26, v21
	global_store_dword v[19:20], v21, off
	v_add_u32_e32 v19, s6, v5
	v_ashrrev_i32_e32 v20, 31, v19
	v_lshlrev_b64 v[19:20], 2, v[19:20]
	v_add_u32_e32 v21, s6, v6
	v_ashrrev_i32_e32 v22, 31, v21
	v_add_co_u32_e32 v19, vcc, s8, v19
	v_lshlrev_b64 v[21:22], 2, v[21:22]
	v_addc_co_u32_e32 v20, vcc, v16, v20, vcc
	v_add_co_u32_e32 v23, vcc, s0, v21
	v_addc_co_u32_e32 v24, vcc, v17, v22, vcc
	v_add_co_u32_e32 v21, vcc, s2, v21
	v_addc_co_u32_e32 v22, vcc, v18, v22, vcc
	global_load_dword v25, v[23:24], off
	global_load_dword v26, v[21:22], off
	global_load_dword v27, v[19:20], off
	v_add_u32_e32 v5, s4, v5
	;; [unrolled: 21-line block ×6, first 2 shown]
	v_add_u32_e32 v14, s4, v14
	s_waitcnt vmcnt(0)
	v_fma_f32 v21, -v1, v25, v27
	v_fma_f32 v21, -v2, v26, v21
	global_store_dword v[19:20], v21, off
	s_cbranch_scc1 .LBB77_8
.LBB77_9:
	s_endpgm
	.section	.rodata,"a",@progbits
	.p2align	6, 0x0
	.amdhsa_kernel _ZN9rocsparseL39gtsv_spike_backward_substitution_kernelILj256ELj128EfEEviiiPT1_PKS1_S4_
		.amdhsa_group_segment_fixed_size 0
		.amdhsa_private_segment_fixed_size 0
		.amdhsa_kernarg_size 40
		.amdhsa_user_sgpr_count 6
		.amdhsa_user_sgpr_private_segment_buffer 1
		.amdhsa_user_sgpr_dispatch_ptr 0
		.amdhsa_user_sgpr_queue_ptr 0
		.amdhsa_user_sgpr_kernarg_segment_ptr 1
		.amdhsa_user_sgpr_dispatch_id 0
		.amdhsa_user_sgpr_flat_scratch_init 0
		.amdhsa_user_sgpr_private_segment_size 0
		.amdhsa_uses_dynamic_stack 0
		.amdhsa_system_sgpr_private_segment_wavefront_offset 0
		.amdhsa_system_sgpr_workgroup_id_x 1
		.amdhsa_system_sgpr_workgroup_id_y 1
		.amdhsa_system_sgpr_workgroup_id_z 0
		.amdhsa_system_sgpr_workgroup_info 0
		.amdhsa_system_vgpr_workitem_id 0
		.amdhsa_next_free_vgpr 28
		.amdhsa_next_free_sgpr 13
		.amdhsa_reserve_vcc 1
		.amdhsa_reserve_flat_scratch 0
		.amdhsa_float_round_mode_32 0
		.amdhsa_float_round_mode_16_64 0
		.amdhsa_float_denorm_mode_32 3
		.amdhsa_float_denorm_mode_16_64 3
		.amdhsa_dx10_clamp 1
		.amdhsa_ieee_mode 1
		.amdhsa_fp16_overflow 0
		.amdhsa_exception_fp_ieee_invalid_op 0
		.amdhsa_exception_fp_denorm_src 0
		.amdhsa_exception_fp_ieee_div_zero 0
		.amdhsa_exception_fp_ieee_overflow 0
		.amdhsa_exception_fp_ieee_underflow 0
		.amdhsa_exception_fp_ieee_inexact 0
		.amdhsa_exception_int_div_zero 0
	.end_amdhsa_kernel
	.section	.text._ZN9rocsparseL39gtsv_spike_backward_substitution_kernelILj256ELj128EfEEviiiPT1_PKS1_S4_,"axG",@progbits,_ZN9rocsparseL39gtsv_spike_backward_substitution_kernelILj256ELj128EfEEviiiPT1_PKS1_S4_,comdat
.Lfunc_end77:
	.size	_ZN9rocsparseL39gtsv_spike_backward_substitution_kernelILj256ELj128EfEEviiiPT1_PKS1_S4_, .Lfunc_end77-_ZN9rocsparseL39gtsv_spike_backward_substitution_kernelILj256ELj128EfEEviiiPT1_PKS1_S4_
                                        ; -- End function
	.set _ZN9rocsparseL39gtsv_spike_backward_substitution_kernelILj256ELj128EfEEviiiPT1_PKS1_S4_.num_vgpr, 28
	.set _ZN9rocsparseL39gtsv_spike_backward_substitution_kernelILj256ELj128EfEEviiiPT1_PKS1_S4_.num_agpr, 0
	.set _ZN9rocsparseL39gtsv_spike_backward_substitution_kernelILj256ELj128EfEEviiiPT1_PKS1_S4_.numbered_sgpr, 13
	.set _ZN9rocsparseL39gtsv_spike_backward_substitution_kernelILj256ELj128EfEEviiiPT1_PKS1_S4_.num_named_barrier, 0
	.set _ZN9rocsparseL39gtsv_spike_backward_substitution_kernelILj256ELj128EfEEviiiPT1_PKS1_S4_.private_seg_size, 0
	.set _ZN9rocsparseL39gtsv_spike_backward_substitution_kernelILj256ELj128EfEEviiiPT1_PKS1_S4_.uses_vcc, 1
	.set _ZN9rocsparseL39gtsv_spike_backward_substitution_kernelILj256ELj128EfEEviiiPT1_PKS1_S4_.uses_flat_scratch, 0
	.set _ZN9rocsparseL39gtsv_spike_backward_substitution_kernelILj256ELj128EfEEviiiPT1_PKS1_S4_.has_dyn_sized_stack, 0
	.set _ZN9rocsparseL39gtsv_spike_backward_substitution_kernelILj256ELj128EfEEviiiPT1_PKS1_S4_.has_recursion, 0
	.set _ZN9rocsparseL39gtsv_spike_backward_substitution_kernelILj256ELj128EfEEviiiPT1_PKS1_S4_.has_indirect_call, 0
	.section	.AMDGPU.csdata,"",@progbits
; Kernel info:
; codeLenInByte = 1168
; TotalNumSgprs: 17
; NumVgprs: 28
; ScratchSize: 0
; MemoryBound: 0
; FloatMode: 240
; IeeeMode: 1
; LDSByteSize: 0 bytes/workgroup (compile time only)
; SGPRBlocks: 2
; VGPRBlocks: 6
; NumSGPRsForWavesPerEU: 17
; NumVGPRsForWavesPerEU: 28
; Occupancy: 9
; WaveLimiterHint : 0
; COMPUTE_PGM_RSRC2:SCRATCH_EN: 0
; COMPUTE_PGM_RSRC2:USER_SGPR: 6
; COMPUTE_PGM_RSRC2:TRAP_HANDLER: 0
; COMPUTE_PGM_RSRC2:TGID_X_EN: 1
; COMPUTE_PGM_RSRC2:TGID_Y_EN: 1
; COMPUTE_PGM_RSRC2:TGID_Z_EN: 0
; COMPUTE_PGM_RSRC2:TIDIG_COMP_CNT: 0
	.section	.text._ZN9rocsparseL32gtsv_transpose_back_array_kernelILj256ELj128EfEEviiiPKT1_PS1_,"axG",@progbits,_ZN9rocsparseL32gtsv_transpose_back_array_kernelILj256ELj128EfEEviiiPKT1_PS1_,comdat
	.globl	_ZN9rocsparseL32gtsv_transpose_back_array_kernelILj256ELj128EfEEviiiPKT1_PS1_ ; -- Begin function _ZN9rocsparseL32gtsv_transpose_back_array_kernelILj256ELj128EfEEviiiPKT1_PS1_
	.p2align	8
	.type	_ZN9rocsparseL32gtsv_transpose_back_array_kernelILj256ELj128EfEEviiiPKT1_PS1_,@function
_ZN9rocsparseL32gtsv_transpose_back_array_kernelILj256ELj128EfEEviiiPKT1_PS1_: ; @_ZN9rocsparseL32gtsv_transpose_back_array_kernelILj256ELj128EfEEviiiPKT1_PS1_
; %bb.0:
	s_load_dwordx4 s[0:3], s[4:5], 0x0
	v_lshl_or_b32 v0, s6, 8, v0
	v_lshlrev_b32_e32 v3, 7, v0
	s_waitcnt lgkmcnt(0)
	v_cvt_f32_u32_e32 v1, s1
	s_sub_i32 s3, 0, s1
	v_rcp_iflag_f32_e32 v1, v1
	v_mul_f32_e32 v1, 0x4f7ffffe, v1
	v_cvt_u32_f32_e32 v1, v1
	v_mul_lo_u32 v2, s3, v1
	v_mul_hi_u32 v2, v1, v2
	v_add_u32_e32 v1, v1, v2
	v_mul_hi_u32 v1, v3, v1
	v_mul_lo_u32 v2, v1, s1
	v_add_u32_e32 v4, 1, v1
	v_sub_u32_e32 v2, v3, v2
	v_cmp_le_u32_e32 vcc, s1, v2
	v_cndmask_b32_e32 v1, v1, v4, vcc
	v_subrev_u32_e32 v4, s1, v2
	v_cndmask_b32_e32 v2, v2, v4, vcc
	v_add_u32_e32 v4, 1, v1
	v_cmp_le_u32_e32 vcc, s1, v2
	v_cndmask_b32_e32 v1, v1, v4, vcc
	v_mul_lo_u32 v2, v1, s1
	v_sub_u32_e32 v2, v3, v2
	v_add_u32_e32 v1, v1, v2
	v_cmp_gt_i32_e32 vcc, s0, v1
	s_and_saveexec_b64 s[8:9], vcc
	s_cbranch_execz .LBB78_2
; %bb.1:
	s_load_dwordx4 s[8:11], s[4:5], 0x10
	s_mul_i32 s0, s1, s7
	v_add_u32_e32 v2, s0, v0
	v_ashrrev_i32_e32 v3, 31, v2
	v_lshlrev_b64 v[2:3], 2, v[2:3]
	s_waitcnt lgkmcnt(0)
	v_mov_b32_e32 v0, s9
	v_add_co_u32_e32 v2, vcc, s8, v2
	v_addc_co_u32_e32 v3, vcc, v0, v3, vcc
	global_load_dword v2, v[2:3], off
	s_mul_i32 s0, s2, s7
	v_add_u32_e32 v0, s0, v1
	v_ashrrev_i32_e32 v1, 31, v0
	v_lshlrev_b64 v[0:1], 2, v[0:1]
	v_mov_b32_e32 v3, s11
	v_add_co_u32_e32 v0, vcc, s10, v0
	v_addc_co_u32_e32 v1, vcc, v3, v1, vcc
	s_waitcnt vmcnt(0)
	global_store_dword v[0:1], v2, off
.LBB78_2:
	s_endpgm
	.section	.rodata,"a",@progbits
	.p2align	6, 0x0
	.amdhsa_kernel _ZN9rocsparseL32gtsv_transpose_back_array_kernelILj256ELj128EfEEviiiPKT1_PS1_
		.amdhsa_group_segment_fixed_size 0
		.amdhsa_private_segment_fixed_size 0
		.amdhsa_kernarg_size 32
		.amdhsa_user_sgpr_count 6
		.amdhsa_user_sgpr_private_segment_buffer 1
		.amdhsa_user_sgpr_dispatch_ptr 0
		.amdhsa_user_sgpr_queue_ptr 0
		.amdhsa_user_sgpr_kernarg_segment_ptr 1
		.amdhsa_user_sgpr_dispatch_id 0
		.amdhsa_user_sgpr_flat_scratch_init 0
		.amdhsa_user_sgpr_private_segment_size 0
		.amdhsa_uses_dynamic_stack 0
		.amdhsa_system_sgpr_private_segment_wavefront_offset 0
		.amdhsa_system_sgpr_workgroup_id_x 1
		.amdhsa_system_sgpr_workgroup_id_y 1
		.amdhsa_system_sgpr_workgroup_id_z 0
		.amdhsa_system_sgpr_workgroup_info 0
		.amdhsa_system_vgpr_workitem_id 0
		.amdhsa_next_free_vgpr 5
		.amdhsa_next_free_sgpr 12
		.amdhsa_reserve_vcc 1
		.amdhsa_reserve_flat_scratch 0
		.amdhsa_float_round_mode_32 0
		.amdhsa_float_round_mode_16_64 0
		.amdhsa_float_denorm_mode_32 3
		.amdhsa_float_denorm_mode_16_64 3
		.amdhsa_dx10_clamp 1
		.amdhsa_ieee_mode 1
		.amdhsa_fp16_overflow 0
		.amdhsa_exception_fp_ieee_invalid_op 0
		.amdhsa_exception_fp_denorm_src 0
		.amdhsa_exception_fp_ieee_div_zero 0
		.amdhsa_exception_fp_ieee_overflow 0
		.amdhsa_exception_fp_ieee_underflow 0
		.amdhsa_exception_fp_ieee_inexact 0
		.amdhsa_exception_int_div_zero 0
	.end_amdhsa_kernel
	.section	.text._ZN9rocsparseL32gtsv_transpose_back_array_kernelILj256ELj128EfEEviiiPKT1_PS1_,"axG",@progbits,_ZN9rocsparseL32gtsv_transpose_back_array_kernelILj256ELj128EfEEviiiPKT1_PS1_,comdat
.Lfunc_end78:
	.size	_ZN9rocsparseL32gtsv_transpose_back_array_kernelILj256ELj128EfEEviiiPKT1_PS1_, .Lfunc_end78-_ZN9rocsparseL32gtsv_transpose_back_array_kernelILj256ELj128EfEEviiiPKT1_PS1_
                                        ; -- End function
	.set _ZN9rocsparseL32gtsv_transpose_back_array_kernelILj256ELj128EfEEviiiPKT1_PS1_.num_vgpr, 5
	.set _ZN9rocsparseL32gtsv_transpose_back_array_kernelILj256ELj128EfEEviiiPKT1_PS1_.num_agpr, 0
	.set _ZN9rocsparseL32gtsv_transpose_back_array_kernelILj256ELj128EfEEviiiPKT1_PS1_.numbered_sgpr, 12
	.set _ZN9rocsparseL32gtsv_transpose_back_array_kernelILj256ELj128EfEEviiiPKT1_PS1_.num_named_barrier, 0
	.set _ZN9rocsparseL32gtsv_transpose_back_array_kernelILj256ELj128EfEEviiiPKT1_PS1_.private_seg_size, 0
	.set _ZN9rocsparseL32gtsv_transpose_back_array_kernelILj256ELj128EfEEviiiPKT1_PS1_.uses_vcc, 1
	.set _ZN9rocsparseL32gtsv_transpose_back_array_kernelILj256ELj128EfEEviiiPKT1_PS1_.uses_flat_scratch, 0
	.set _ZN9rocsparseL32gtsv_transpose_back_array_kernelILj256ELj128EfEEviiiPKT1_PS1_.has_dyn_sized_stack, 0
	.set _ZN9rocsparseL32gtsv_transpose_back_array_kernelILj256ELj128EfEEviiiPKT1_PS1_.has_recursion, 0
	.set _ZN9rocsparseL32gtsv_transpose_back_array_kernelILj256ELj128EfEEviiiPKT1_PS1_.has_indirect_call, 0
	.section	.AMDGPU.csdata,"",@progbits
; Kernel info:
; codeLenInByte = 248
; TotalNumSgprs: 16
; NumVgprs: 5
; ScratchSize: 0
; MemoryBound: 0
; FloatMode: 240
; IeeeMode: 1
; LDSByteSize: 0 bytes/workgroup (compile time only)
; SGPRBlocks: 1
; VGPRBlocks: 1
; NumSGPRsForWavesPerEU: 16
; NumVGPRsForWavesPerEU: 5
; Occupancy: 10
; WaveLimiterHint : 0
; COMPUTE_PGM_RSRC2:SCRATCH_EN: 0
; COMPUTE_PGM_RSRC2:USER_SGPR: 6
; COMPUTE_PGM_RSRC2:TRAP_HANDLER: 0
; COMPUTE_PGM_RSRC2:TGID_X_EN: 1
; COMPUTE_PGM_RSRC2:TGID_Y_EN: 1
; COMPUTE_PGM_RSRC2:TGID_Z_EN: 0
; COMPUTE_PGM_RSRC2:TIDIG_COMP_CNT: 0
	.section	.text._ZN9rocsparseL42gtsv_transpose_and_pad_array_shared_kernelILj256ELj256EfEEviiiPKT1_PS1_S1_,"axG",@progbits,_ZN9rocsparseL42gtsv_transpose_and_pad_array_shared_kernelILj256ELj256EfEEviiiPKT1_PS1_S1_,comdat
	.globl	_ZN9rocsparseL42gtsv_transpose_and_pad_array_shared_kernelILj256ELj256EfEEviiiPKT1_PS1_S1_ ; -- Begin function _ZN9rocsparseL42gtsv_transpose_and_pad_array_shared_kernelILj256ELj256EfEEviiiPKT1_PS1_S1_
	.p2align	8
	.type	_ZN9rocsparseL42gtsv_transpose_and_pad_array_shared_kernelILj256ELj256EfEEviiiPKT1_PS1_S1_,@function
_ZN9rocsparseL42gtsv_transpose_and_pad_array_shared_kernelILj256ELj256EfEEviiiPKT1_PS1_S1_: ; @_ZN9rocsparseL42gtsv_transpose_and_pad_array_shared_kernelILj256ELj256EfEEviiiPKT1_PS1_S1_
; %bb.0:
	s_load_dwordx4 s[0:3], s[4:5], 0x0
	s_waitcnt lgkmcnt(0)
	s_load_dword s3, s[4:5], 0x20
	v_lshl_or_b32 v1, s6, 8, v0
	v_cmp_gt_i32_e32 vcc, s0, v1
	s_waitcnt lgkmcnt(0)
	v_mov_b32_e32 v2, s3
	s_and_saveexec_b64 s[8:9], vcc
	s_cbranch_execz .LBB79_2
; %bb.1:
	s_load_dwordx2 s[10:11], s[4:5], 0x10
	s_mul_i32 s0, s2, s7
	v_add_u32_e32 v1, s0, v1
	v_ashrrev_i32_e32 v2, 31, v1
	v_lshlrev_b64 v[1:2], 2, v[1:2]
	s_waitcnt lgkmcnt(0)
	v_mov_b32_e32 v3, s11
	v_add_co_u32_e32 v1, vcc, s10, v1
	v_addc_co_u32_e32 v2, vcc, v3, v2, vcc
	global_load_dword v2, v[1:2], off
.LBB79_2:
	s_or_b64 exec, exec, s[8:9]
	v_lshlrev_b32_e32 v1, 2, v0
	s_waitcnt vmcnt(0)
	ds_write_b32 v1, v2
	s_lshr_b32 s0, s1, 8
	v_mov_b32_e32 v2, s6
	v_mad_u32_u24 v0, s0, v0, v2
	v_cmp_gt_i32_e32 vcc, s1, v0
	s_waitcnt lgkmcnt(0)
	s_barrier
	s_and_saveexec_b64 s[2:3], vcc
	s_cbranch_execz .LBB79_4
; %bb.3:
	s_load_dwordx2 s[2:3], s[4:5], 0x18
	s_mul_i32 s0, s1, s7
	v_add_u32_e32 v0, s0, v0
	ds_read_b32 v2, v1
	v_ashrrev_i32_e32 v1, 31, v0
	v_lshlrev_b64 v[0:1], 2, v[0:1]
	s_waitcnt lgkmcnt(0)
	v_mov_b32_e32 v3, s3
	v_add_co_u32_e32 v0, vcc, s2, v0
	v_addc_co_u32_e32 v1, vcc, v3, v1, vcc
	global_store_dword v[0:1], v2, off
.LBB79_4:
	s_endpgm
	.section	.rodata,"a",@progbits
	.p2align	6, 0x0
	.amdhsa_kernel _ZN9rocsparseL42gtsv_transpose_and_pad_array_shared_kernelILj256ELj256EfEEviiiPKT1_PS1_S1_
		.amdhsa_group_segment_fixed_size 1024
		.amdhsa_private_segment_fixed_size 0
		.amdhsa_kernarg_size 36
		.amdhsa_user_sgpr_count 6
		.amdhsa_user_sgpr_private_segment_buffer 1
		.amdhsa_user_sgpr_dispatch_ptr 0
		.amdhsa_user_sgpr_queue_ptr 0
		.amdhsa_user_sgpr_kernarg_segment_ptr 1
		.amdhsa_user_sgpr_dispatch_id 0
		.amdhsa_user_sgpr_flat_scratch_init 0
		.amdhsa_user_sgpr_private_segment_size 0
		.amdhsa_uses_dynamic_stack 0
		.amdhsa_system_sgpr_private_segment_wavefront_offset 0
		.amdhsa_system_sgpr_workgroup_id_x 1
		.amdhsa_system_sgpr_workgroup_id_y 1
		.amdhsa_system_sgpr_workgroup_id_z 0
		.amdhsa_system_sgpr_workgroup_info 0
		.amdhsa_system_vgpr_workitem_id 0
		.amdhsa_next_free_vgpr 4
		.amdhsa_next_free_sgpr 12
		.amdhsa_reserve_vcc 1
		.amdhsa_reserve_flat_scratch 0
		.amdhsa_float_round_mode_32 0
		.amdhsa_float_round_mode_16_64 0
		.amdhsa_float_denorm_mode_32 3
		.amdhsa_float_denorm_mode_16_64 3
		.amdhsa_dx10_clamp 1
		.amdhsa_ieee_mode 1
		.amdhsa_fp16_overflow 0
		.amdhsa_exception_fp_ieee_invalid_op 0
		.amdhsa_exception_fp_denorm_src 0
		.amdhsa_exception_fp_ieee_div_zero 0
		.amdhsa_exception_fp_ieee_overflow 0
		.amdhsa_exception_fp_ieee_underflow 0
		.amdhsa_exception_fp_ieee_inexact 0
		.amdhsa_exception_int_div_zero 0
	.end_amdhsa_kernel
	.section	.text._ZN9rocsparseL42gtsv_transpose_and_pad_array_shared_kernelILj256ELj256EfEEviiiPKT1_PS1_S1_,"axG",@progbits,_ZN9rocsparseL42gtsv_transpose_and_pad_array_shared_kernelILj256ELj256EfEEviiiPKT1_PS1_S1_,comdat
.Lfunc_end79:
	.size	_ZN9rocsparseL42gtsv_transpose_and_pad_array_shared_kernelILj256ELj256EfEEviiiPKT1_PS1_S1_, .Lfunc_end79-_ZN9rocsparseL42gtsv_transpose_and_pad_array_shared_kernelILj256ELj256EfEEviiiPKT1_PS1_S1_
                                        ; -- End function
	.set _ZN9rocsparseL42gtsv_transpose_and_pad_array_shared_kernelILj256ELj256EfEEviiiPKT1_PS1_S1_.num_vgpr, 4
	.set _ZN9rocsparseL42gtsv_transpose_and_pad_array_shared_kernelILj256ELj256EfEEviiiPKT1_PS1_S1_.num_agpr, 0
	.set _ZN9rocsparseL42gtsv_transpose_and_pad_array_shared_kernelILj256ELj256EfEEviiiPKT1_PS1_S1_.numbered_sgpr, 12
	.set _ZN9rocsparseL42gtsv_transpose_and_pad_array_shared_kernelILj256ELj256EfEEviiiPKT1_PS1_S1_.num_named_barrier, 0
	.set _ZN9rocsparseL42gtsv_transpose_and_pad_array_shared_kernelILj256ELj256EfEEviiiPKT1_PS1_S1_.private_seg_size, 0
	.set _ZN9rocsparseL42gtsv_transpose_and_pad_array_shared_kernelILj256ELj256EfEEviiiPKT1_PS1_S1_.uses_vcc, 1
	.set _ZN9rocsparseL42gtsv_transpose_and_pad_array_shared_kernelILj256ELj256EfEEviiiPKT1_PS1_S1_.uses_flat_scratch, 0
	.set _ZN9rocsparseL42gtsv_transpose_and_pad_array_shared_kernelILj256ELj256EfEEviiiPKT1_PS1_S1_.has_dyn_sized_stack, 0
	.set _ZN9rocsparseL42gtsv_transpose_and_pad_array_shared_kernelILj256ELj256EfEEviiiPKT1_PS1_S1_.has_recursion, 0
	.set _ZN9rocsparseL42gtsv_transpose_and_pad_array_shared_kernelILj256ELj256EfEEviiiPKT1_PS1_S1_.has_indirect_call, 0
	.section	.AMDGPU.csdata,"",@progbits
; Kernel info:
; codeLenInByte = 220
; TotalNumSgprs: 16
; NumVgprs: 4
; ScratchSize: 0
; MemoryBound: 0
; FloatMode: 240
; IeeeMode: 1
; LDSByteSize: 1024 bytes/workgroup (compile time only)
; SGPRBlocks: 1
; VGPRBlocks: 0
; NumSGPRsForWavesPerEU: 16
; NumVGPRsForWavesPerEU: 4
; Occupancy: 10
; WaveLimiterHint : 0
; COMPUTE_PGM_RSRC2:SCRATCH_EN: 0
; COMPUTE_PGM_RSRC2:USER_SGPR: 6
; COMPUTE_PGM_RSRC2:TRAP_HANDLER: 0
; COMPUTE_PGM_RSRC2:TGID_X_EN: 1
; COMPUTE_PGM_RSRC2:TGID_Y_EN: 1
; COMPUTE_PGM_RSRC2:TGID_Z_EN: 0
; COMPUTE_PGM_RSRC2:TIDIG_COMP_CNT: 0
	.section	.text._ZN9rocsparseL18gtsv_LBM_wv_kernelILj256ELj256EfEEviiiPKT1_S3_S3_PS1_S4_S4_Pi,"axG",@progbits,_ZN9rocsparseL18gtsv_LBM_wv_kernelILj256ELj256EfEEviiiPKT1_S3_S3_PS1_S4_S4_Pi,comdat
	.globl	_ZN9rocsparseL18gtsv_LBM_wv_kernelILj256ELj256EfEEviiiPKT1_S3_S3_PS1_S4_S4_Pi ; -- Begin function _ZN9rocsparseL18gtsv_LBM_wv_kernelILj256ELj256EfEEviiiPKT1_S3_S3_PS1_S4_S4_Pi
	.p2align	8
	.type	_ZN9rocsparseL18gtsv_LBM_wv_kernelILj256ELj256EfEEviiiPKT1_S3_S3_PS1_S4_S4_Pi,@function
_ZN9rocsparseL18gtsv_LBM_wv_kernelILj256ELj256EfEEviiiPKT1_S3_S3_PS1_S4_S4_Pi: ; @_ZN9rocsparseL18gtsv_LBM_wv_kernelILj256ELj256EfEEviiiPKT1_S3_S3_PS1_S4_S4_Pi
; %bb.0:
	s_load_dword s27, s[4:5], 0x0
	v_lshl_or_b32 v0, s6, 8, v0
	s_waitcnt lgkmcnt(0)
	s_lshr_b32 s26, s27, 8
	v_cmp_gt_i32_e32 vcc, s26, v0
	s_and_saveexec_b64 s[0:1], vcc
	s_cbranch_execz .LBB80_30
; %bb.1:
	s_load_dwordx2 s[16:17], s[4:5], 0x10
	s_load_dwordx8 s[8:15], s[4:5], 0x20
	v_ashrrev_i32_e32 v1, 31, v0
	v_lshlrev_b64 v[4:5], 2, v[0:1]
	s_mul_i32 s28, s26, 0xff
	s_waitcnt lgkmcnt(0)
	v_mov_b32_e32 v2, s17
	v_add_co_u32_e32 v1, vcc, s16, v4
	v_addc_co_u32_e32 v2, vcc, v2, v5, vcc
	global_load_dword v8, v[1:2], off
	v_add_u32_e32 v2, s28, v0
	v_mov_b32_e32 v3, 0
	v_lshlrev_b64 v[6:7], 2, v[2:3]
	v_mov_b32_e32 v2, s9
	v_add_co_u32_e32 v1, vcc, s8, v6
	v_addc_co_u32_e32 v2, vcc, v2, v7, vcc
	global_load_dword v9, v[1:2], off
	s_load_dwordx2 s[6:7], s[4:5], 0x40
	v_mov_b32_e32 v2, s11
	v_add_co_u32_e32 v1, vcc, s10, v4
	v_addc_co_u32_e32 v2, vcc, v2, v5, vcc
	s_cmp_lt_i32 s27, 1
	v_add_u32_e32 v10, s26, v0
	v_mov_b32_e32 v11, s13
	v_add_co_u32_e32 v6, vcc, s12, v6
	v_addc_co_u32_e32 v7, vcc, v11, v7, vcc
	s_waitcnt vmcnt(1)
	global_store_dword v[1:2], v8, off
	s_waitcnt vmcnt(1)
	global_store_dword v[6:7], v9, off
	s_cbranch_scc1 .LBB80_23
; %bb.2:
	s_load_dwordx2 s[18:19], s[4:5], 0x18
	s_mov_b32 s22, 0x372fe950
	s_mul_i32 s29, s26, 0xfe
	s_lshl_b32 s30, s26, 1
	v_add_u32_e32 v11, s26, v10
	s_waitcnt lgkmcnt(0)
	v_mov_b32_e32 v6, s19
	v_add_co_u32_e32 v3, vcc, s18, v4
	v_addc_co_u32_e32 v4, vcc, v6, v5, vcc
	global_load_dword v15, v[3:4], off
	v_mov_b32_e32 v3, 0
	s_mov_b64 s[20:21], 0
	s_mov_b32 s23, 0x3fe3c6ef
	v_mov_b32_e32 v12, 2
	v_mov_b32_e32 v13, 1
	;; [unrolled: 1-line block ×3, first 2 shown]
	s_branch .LBB80_5
.LBB80_3:                               ;   in Loop: Header=BB80_5 Depth=1
	s_or_b64 exec, exec, s[4:5]
	v_fma_f32 v15, -v5, v7, v17
	v_mov_b32_e32 v4, s26
.LBB80_4:                               ;   in Loop: Header=BB80_5 Depth=1
	s_or_b64 exec, exec, s[2:3]
	v_add_u32_e32 v3, v4, v3
	v_cmp_le_i32_e32 vcc, s27, v3
	s_or_b64 s[20:21], vcc, s[20:21]
	s_andn2_b64 exec, exec, s[20:21]
	s_cbranch_execz .LBB80_22
.LBB80_5:                               ; =>This Inner Loop Header: Depth=1
	v_add_u32_e32 v4, v3, v0
	v_ashrrev_i32_e32 v5, 31, v4
	v_lshlrev_b64 v[5:6], 2, v[4:5]
	v_cmp_gt_u32_e64 s[0:1], s28, v3
	v_add_co_u32_e32 v7, vcc, s8, v5
	v_addc_co_u32_e32 v8, vcc, v14, v6, vcc
	global_load_dword v18, v[7:8], off
	v_mov_b32_e32 v16, 0
	s_and_saveexec_b64 s[2:3], s[0:1]
	s_cbranch_execz .LBB80_7
; %bb.6:                                ;   in Loop: Header=BB80_5 Depth=1
	v_add_u32_e32 v7, v10, v3
	v_ashrrev_i32_e32 v8, 31, v7
	v_lshlrev_b64 v[7:8], 2, v[7:8]
	v_mov_b32_e32 v4, s17
	v_add_co_u32_e32 v7, vcc, s16, v7
	v_addc_co_u32_e32 v8, vcc, v4, v8, vcc
	global_load_dword v16, v[7:8], off
.LBB80_7:                               ;   in Loop: Header=BB80_5 Depth=1
	s_or_b64 exec, exec, s[2:3]
	v_mov_b32_e32 v19, 0
	v_mov_b32_e32 v17, 0
	s_and_saveexec_b64 s[2:3], s[0:1]
	s_cbranch_execz .LBB80_9
; %bb.8:                                ;   in Loop: Header=BB80_5 Depth=1
	v_add_u32_e32 v7, v10, v3
	v_ashrrev_i32_e32 v8, 31, v7
	v_lshlrev_b64 v[7:8], 2, v[7:8]
	v_mov_b32_e32 v4, s19
	v_add_co_u32_e32 v7, vcc, s18, v7
	v_addc_co_u32_e32 v8, vcc, v4, v8, vcc
	global_load_dword v17, v[7:8], off
.LBB80_9:                               ;   in Loop: Header=BB80_5 Depth=1
	s_or_b64 exec, exec, s[2:3]
	s_and_saveexec_b64 s[2:3], s[0:1]
	s_cbranch_execz .LBB80_11
; %bb.10:                               ;   in Loop: Header=BB80_5 Depth=1
	v_add_u32_e32 v7, v10, v3
	v_ashrrev_i32_e32 v8, 31, v7
	v_lshlrev_b64 v[7:8], 2, v[7:8]
	v_mov_b32_e32 v4, s9
	v_add_co_u32_e32 v7, vcc, s8, v7
	v_addc_co_u32_e32 v8, vcc, v4, v8, vcc
	global_load_dword v19, v[7:8], off
.LBB80_11:                              ;   in Loop: Header=BB80_5 Depth=1
	s_or_b64 exec, exec, s[2:3]
	v_cmp_gt_u32_e64 s[2:3], s29, v3
	v_mov_b32_e32 v20, 0
	s_and_saveexec_b64 s[4:5], s[2:3]
	s_cbranch_execz .LBB80_13
; %bb.12:                               ;   in Loop: Header=BB80_5 Depth=1
	v_add_u32_e32 v7, v11, v3
	v_ashrrev_i32_e32 v8, 31, v7
	v_lshlrev_b64 v[7:8], 2, v[7:8]
	v_mov_b32_e32 v4, s17
	v_add_co_u32_e32 v7, vcc, s16, v7
	v_addc_co_u32_e32 v8, vcc, v4, v8, vcc
	global_load_dword v20, v[7:8], off
.LBB80_13:                              ;   in Loop: Header=BB80_5 Depth=1
	s_or_b64 exec, exec, s[4:5]
	s_waitcnt vmcnt(0)
	v_cmp_gt_f32_e32 vcc, 0, v16
	v_cndmask_b32_e64 v4, v16, -v16, vcc
	v_cmp_gt_f32_e32 vcc, 0, v20
	v_cndmask_b32_e64 v7, v20, -v20, vcc
	v_cmp_lt_f32_e32 vcc, v4, v7
	v_cndmask_b32_e32 v4, v4, v7, vcc
	v_cmp_gt_f32_e32 vcc, 0, v17
	v_cndmask_b32_e64 v7, v17, -v17, vcc
	v_cmp_lt_f32_e32 vcc, v7, v4
	v_cndmask_b32_e32 v4, v7, v4, vcc
	;; [unrolled: 4-line block ×4, first 2 shown]
	v_cmp_gt_f32_e32 vcc, 0, v15
	v_cvt_f64_f32_e32 v[7:8], v4
	v_cndmask_b32_e64 v4, v15, -v15, vcc
	v_cvt_f64_f32_e32 v[21:22], v4
	v_cmp_ne_u32_e64 s[4:5], s28, v3
	v_mul_f64 v[8:9], v[21:22], v[7:8]
	v_mul_f32_e32 v7, v18, v16
	v_cmp_gt_f32_e32 vcc, 0, v7
	v_cndmask_b32_e64 v4, v7, -v7, vcc
	v_cvt_f64_f32_e32 v[21:22], v4
	v_mul_f64 v[21:22], v[21:22], s[22:23]
	v_cmp_nge_f64_e32 vcc, v[8:9], v[21:22]
	s_and_b64 s[4:5], s[4:5], vcc
	s_and_saveexec_b64 s[24:25], s[4:5]
	s_xor_b64 s[4:5], exec, s[24:25]
	s_cbranch_execz .LBB80_19
; %bb.14:                               ;   in Loop: Header=BB80_5 Depth=1
	v_mov_b32_e32 v4, s13
	v_add_co_u32_e32 v25, vcc, s12, v5
	v_addc_co_u32_e32 v26, vcc, v4, v6, vcc
	v_mov_b32_e32 v4, s15
	v_add_co_u32_e32 v8, vcc, s14, v5
	v_addc_co_u32_e32 v9, vcc, v4, v6, vcc
	;; [unrolled: 3-line block ×3, first 2 shown]
	v_fma_f32 v4, v15, v17, -v7
	v_div_scale_f32 v5, s[24:25], v4, v4, 1.0
	v_rcp_f32_e32 v6, v5
	v_fma_f32 v7, -v5, v6, 1.0
	v_fmac_f32_e32 v6, v7, v6
	v_div_scale_f32 v7, vcc, 1.0, v4, 1.0
	v_mul_f32_e32 v21, v7, v6
	v_fma_f32 v22, -v5, v21, v7
	v_fmac_f32_e32 v21, v22, v6
	v_fma_f32 v5, -v5, v21, v7
	v_div_fmas_f32 v5, v5, v6, v21
	v_mov_b32_e32 v7, s11
	v_div_fixup_f32 v21, v5, v4, 1.0
	v_mul_f32_e64 v4, v19, -v18
	v_mul_f32_e32 v4, v21, v4
	global_store_dword v[8:9], v4, off
	v_ashrrev_i32_e32 v4, 31, v3
	v_lshlrev_b64 v[4:5], 2, v[3:4]
	v_add_co_u32_e32 v8, vcc, v1, v4
	v_add_u32_e32 v4, v10, v3
	v_addc_co_u32_e32 v9, vcc, v2, v5, vcc
	v_ashrrev_i32_e32 v5, 31, v4
	v_lshlrev_b64 v[4:5], 2, v[4:5]
	v_add_co_u32_e32 v6, vcc, s10, v4
	v_addc_co_u32_e32 v7, vcc, v7, v5, vcc
	global_load_dword v23, v[6:7], off
	global_load_dword v22, v[8:9], off
	s_waitcnt vmcnt(1)
	v_mul_f32_e32 v24, v18, v23
	s_waitcnt vmcnt(0)
	v_fma_f32 v24, v17, v22, -v24
	v_mul_f32_e32 v24, v21, v24
	global_store_dword v[8:9], v24, off
	v_mov_b32_e32 v9, s13
	v_add_co_u32_e32 v8, vcc, s12, v4
	v_addc_co_u32_e32 v9, vcc, v9, v5, vcc
	global_load_dword v24, v[8:9], off
	s_waitcnt vmcnt(0)
	v_mul_f32_e32 v29, v18, v24
	global_load_dword v18, v[25:26], off
	s_waitcnt vmcnt(0)
	v_fma_f32 v17, v17, v18, -v29
	v_mul_f32_e32 v17, v21, v17
	global_store_dword v[25:26], v17, off
	global_store_dword v[27:28], v12, off
	s_and_saveexec_b64 s[24:25], s[0:1]
	s_cbranch_execz .LBB80_16
; %bb.15:                               ;   in Loop: Header=BB80_5 Depth=1
	v_mul_f32_e32 v17, v16, v22
	v_fma_f32 v17, v15, v23, -v17
	v_mul_f32_e32 v17, v21, v17
	global_store_dword v[6:7], v17, off
	v_mul_f32_e32 v6, v16, v18
	v_fma_f32 v6, v15, v24, -v6
	v_mul_f32_e32 v6, v21, v6
	global_store_dword v[8:9], v6, off
	v_mul_f32_e32 v6, v15, v19
	v_mul_f32_e32 v8, v21, v6
	v_mov_b32_e32 v7, s15
	v_add_co_u32_e32 v6, vcc, s14, v4
	v_addc_co_u32_e32 v7, vcc, v7, v5, vcc
	global_store_dword v[6:7], v8, off
	v_mov_b32_e32 v6, s7
	v_add_co_u32_e32 v4, vcc, s6, v4
	v_addc_co_u32_e32 v5, vcc, v6, v5, vcc
	global_store_dword v[4:5], v12, off
.LBB80_16:                              ;   in Loop: Header=BB80_5 Depth=1
	s_or_b64 exec, exec, s[24:25]
	v_mov_b32_e32 v4, 0
	s_and_saveexec_b64 s[24:25], s[2:3]
	s_cbranch_execz .LBB80_18
; %bb.17:                               ;   in Loop: Header=BB80_5 Depth=1
	v_add_u32_e32 v4, v11, v3
	v_ashrrev_i32_e32 v5, 31, v4
	v_lshlrev_b64 v[4:5], 2, v[4:5]
	v_mov_b32_e32 v7, s11
	v_add_co_u32_e32 v6, vcc, s10, v4
	v_addc_co_u32_e32 v7, vcc, v7, v5, vcc
	v_mov_b32_e32 v9, s19
	v_add_co_u32_e32 v4, vcc, s18, v4
	v_addc_co_u32_e32 v5, vcc, v9, v5, vcc
	global_load_dword v8, v[6:7], off
	v_mul_f32_e32 v9, v15, v20
	global_load_dword v4, v[4:5], off
	v_mul_f32_e32 v5, v20, v16
	v_mul_f32_e32 v15, v21, v9
	;; [unrolled: 1-line block ×5, first 2 shown]
	v_fma_f32 v5, v5, v22, -v15
	s_waitcnt vmcnt(1)
	v_add_f32_e32 v5, v5, v8
	global_store_dword v[6:7], v5, off
	s_waitcnt vmcnt(1)
	v_fma_f32 v4, -v21, v9, v4
.LBB80_18:                              ;   in Loop: Header=BB80_5 Depth=1
	s_or_b64 exec, exec, s[24:25]
	v_mov_b32_e32 v15, v4
                                        ; implicit-def: $vgpr7
                                        ; implicit-def: $vgpr17
                                        ; implicit-def: $vgpr18
                                        ; implicit-def: $vgpr5_vgpr6
                                        ; implicit-def: $vgpr16
.LBB80_19:                              ;   in Loop: Header=BB80_5 Depth=1
	s_or_saveexec_b64 s[2:3], s[4:5]
	v_mov_b32_e32 v4, s30
	s_xor_b64 exec, exec, s[2:3]
	s_cbranch_execz .LBB80_4
; %bb.20:                               ;   in Loop: Header=BB80_5 Depth=1
	v_ashrrev_i32_e32 v4, 31, v3
	v_lshlrev_b64 v[8:9], 2, v[3:4]
	v_mov_b32_e32 v4, s13
	v_add_co_u32_e32 v19, vcc, s12, v5
	v_addc_co_u32_e32 v20, vcc, v4, v6, vcc
	v_add_co_u32_e32 v8, vcc, v1, v8
	global_load_dword v25, v[19:20], off
	v_addc_co_u32_e32 v9, vcc, v2, v9, vcc
	global_load_dword v4, v[8:9], off
	v_div_scale_f32 v21, s[4:5], v15, v15, 1.0
	v_div_scale_f32 v22, vcc, 1.0, v15, 1.0
	v_rcp_f32_e32 v23, v21
	v_fma_f32 v24, -v21, v23, 1.0
	v_fmac_f32_e32 v23, v24, v23
	v_mul_f32_e32 v24, v22, v23
	v_fma_f32 v26, -v21, v24, v22
	v_fmac_f32_e32 v24, v26, v23
	v_fma_f32 v21, -v21, v24, v22
	v_div_fmas_f32 v26, v21, v23, v24
	v_mov_b32_e32 v22, s15
	v_add_co_u32_e32 v21, vcc, s14, v5
	v_addc_co_u32_e32 v22, vcc, v22, v6, vcc
	v_mov_b32_e32 v24, s7
	v_add_co_u32_e32 v23, vcc, s6, v5
	v_addc_co_u32_e32 v24, vcc, v24, v6, vcc
	v_div_fixup_f32 v5, v26, v15, 1.0
	v_mul_f32_e32 v6, v5, v18
	global_store_dword v[21:22], v6, off
	s_waitcnt vmcnt(2)
	v_mul_f32_e32 v6, v5, v25
	global_store_dword v[19:20], v6, off
	s_waitcnt vmcnt(2)
	v_mul_f32_e32 v6, v5, v4
	global_store_dword v[8:9], v6, off
	global_store_dword v[23:24], v13, off
	s_and_saveexec_b64 s[4:5], s[0:1]
	s_cbranch_execz .LBB80_3
; %bb.21:                               ;   in Loop: Header=BB80_5 Depth=1
	v_add_u32_e32 v8, v10, v3
	v_ashrrev_i32_e32 v9, 31, v8
	v_lshlrev_b64 v[8:9], 2, v[8:9]
	v_mov_b32_e32 v6, s11
	v_add_co_u32_e32 v8, vcc, s10, v8
	v_addc_co_u32_e32 v9, vcc, v6, v9, vcc
	global_load_dword v6, v[8:9], off
	v_mul_f32_e32 v15, v16, v5
	s_waitcnt vmcnt(0)
	v_fma_f32 v4, -v15, v4, v6
	global_store_dword v[8:9], v4, off
	s_branch .LBB80_3
.LBB80_22:
	s_or_b64 exec, exec, s[20:21]
.LBB80_23:
	v_subrev_u32_e32 v5, s26, v3
	v_add_u32_e32 v3, v5, v0
	v_ashrrev_i32_e32 v4, 31, v3
	v_lshlrev_b64 v[3:4], 2, v[3:4]
	s_waitcnt lgkmcnt(0)
	v_mov_b32_e32 v6, s7
	v_add_co_u32_e32 v3, vcc, s6, v3
	v_addc_co_u32_e32 v4, vcc, v6, v4, vcc
	s_waitcnt vmcnt(0)
	buffer_wbinvl1_vol
	global_load_dword v3, v[3:4], off
	s_waitcnt vmcnt(0)
	v_mul_lo_u32 v3, v3, s26
	v_sub_u32_e32 v3, v5, v3
	v_cmp_lt_i32_e32 vcc, -1, v3
	s_and_b64 exec, exec, vcc
	s_cbranch_execz .LBB80_30
; %bb.24:
	v_subrev_u32_e32 v7, s26, v0
	s_lshl_b32 s4, s26, 1
	s_mov_b64 s[0:1], 0
	v_mov_b32_e32 v8, s7
	v_mov_b32_e32 v9, s15
	s_branch .LBB80_26
.LBB80_25:                              ;   in Loop: Header=BB80_26 Depth=1
	s_or_b64 exec, exec, s[2:3]
	v_sub_u32_e32 v3, v3, v4
	v_cmp_gt_i32_e32 vcc, 0, v3
	s_or_b64 s[0:1], vcc, s[0:1]
	s_andn2_b64 exec, exec, s[0:1]
	s_cbranch_execz .LBB80_30
.LBB80_26:                              ; =>This Inner Loop Header: Depth=1
	v_add_u32_e32 v4, v3, v0
	v_ashrrev_i32_e32 v5, 31, v4
	v_lshlrev_b64 v[5:6], 2, v[4:5]
	s_waitcnt vmcnt(0)
	v_add_co_u32_e32 v11, vcc, s6, v5
	v_addc_co_u32_e32 v12, vcc, v8, v6, vcc
	global_load_dword v4, v[11:12], off
	v_add_co_u32_e32 v11, vcc, s14, v5
	v_addc_co_u32_e32 v12, vcc, v9, v6, vcc
	global_load_dword v11, v[11:12], off
	s_waitcnt vmcnt(1)
	v_cmp_ne_u32_e32 vcc, 1, v4
	s_and_saveexec_b64 s[2:3], vcc
	s_xor_b64 s[2:3], exec, s[2:3]
	s_cbranch_execz .LBB80_28
; %bb.27:                               ;   in Loop: Header=BB80_26 Depth=1
	v_add_u32_e32 v12, v10, v3
	v_ashrrev_i32_e32 v13, 31, v12
	v_lshlrev_b64 v[12:13], 2, v[12:13]
	v_mov_b32_e32 v4, s11
	v_add_co_u32_e32 v14, vcc, s10, v12
	v_addc_co_u32_e32 v15, vcc, v4, v13, vcc
	v_ashrrev_i32_e32 v4, 31, v3
	v_lshlrev_b64 v[16:17], 2, v[3:4]
	v_mov_b32_e32 v4, s13
	v_add_co_u32_e32 v16, vcc, v1, v16
	v_addc_co_u32_e32 v17, vcc, v2, v17, vcc
	v_add_co_u32_e32 v12, vcc, s12, v12
	v_addc_co_u32_e32 v13, vcc, v4, v13, vcc
	global_load_dword v24, v[14:15], off
	global_load_dword v25, v[16:17], off
	v_mov_b32_e32 v18, s13
	v_add_co_u32_e32 v4, vcc, s12, v5
	v_addc_co_u32_e32 v5, vcc, v18, v6, vcc
	global_load_dword v6, v[12:13], off
	global_load_dword v26, v[4:5], off
	v_add_u32_e32 v18, v7, v3
	v_ashrrev_i32_e32 v19, 31, v18
	v_lshlrev_b64 v[18:19], 2, v[18:19]
	v_mov_b32_e32 v21, s11
	v_add_co_u32_e32 v20, vcc, s10, v18
	v_addc_co_u32_e32 v21, vcc, v21, v19, vcc
	v_mov_b32_e32 v23, s13
	v_add_co_u32_e32 v22, vcc, s12, v18
	v_addc_co_u32_e32 v23, vcc, v23, v19, vcc
	v_add_co_u32_e32 v18, vcc, s14, v18
	v_addc_co_u32_e32 v19, vcc, v9, v19, vcc
	global_load_dword v18, v[18:19], off
	s_waitcnt vmcnt(3)
	v_fma_f32 v19, -v11, v24, v25
	s_waitcnt vmcnt(1)
	v_fma_f32 v6, -v11, v6, v26
	global_store_dword v[16:17], v19, off
	global_store_dword v[4:5], v6, off
	global_load_dword v4, v[14:15], off
	s_nop 0
	global_load_dword v5, v[20:21], off
	global_load_dword v6, v[12:13], off
	;; [unrolled: 1-line block ×3, first 2 shown]
	s_waitcnt vmcnt(2)
	v_fma_f32 v4, -v18, v4, v5
	s_waitcnt vmcnt(0)
	v_fma_f32 v5, -v18, v6, v11
	global_store_dword v[20:21], v4, off
	global_store_dword v[22:23], v5, off
                                        ; implicit-def: $vgpr11
                                        ; implicit-def: $vgpr5_vgpr6
.LBB80_28:                              ;   in Loop: Header=BB80_26 Depth=1
	s_or_saveexec_b64 s[2:3], s[2:3]
	v_mov_b32_e32 v4, s4
	s_xor_b64 exec, exec, s[2:3]
	s_cbranch_execz .LBB80_25
; %bb.29:                               ;   in Loop: Header=BB80_26 Depth=1
	v_add_u32_e32 v12, v10, v3
	v_ashrrev_i32_e32 v13, 31, v12
	v_lshlrev_b64 v[12:13], 2, v[12:13]
	v_mov_b32_e32 v4, s11
	v_add_co_u32_e32 v14, vcc, s10, v12
	v_addc_co_u32_e32 v15, vcc, v4, v13, vcc
	v_ashrrev_i32_e32 v4, 31, v3
	v_lshlrev_b64 v[16:17], 2, v[3:4]
	v_mov_b32_e32 v4, s13
	v_add_co_u32_e32 v16, vcc, v1, v16
	v_addc_co_u32_e32 v17, vcc, v2, v17, vcc
	v_add_co_u32_e32 v12, vcc, s12, v12
	v_addc_co_u32_e32 v13, vcc, v4, v13, vcc
	global_load_dword v18, v[14:15], off
	global_load_dword v19, v[16:17], off
	v_mov_b32_e32 v14, s13
	v_add_co_u32_e32 v4, vcc, s12, v5
	v_addc_co_u32_e32 v5, vcc, v14, v6, vcc
	global_load_dword v6, v[12:13], off
	global_load_dword v14, v[4:5], off
	s_waitcnt vmcnt(2)
	v_fma_f32 v12, -v11, v18, v19
	s_waitcnt vmcnt(0)
	v_fma_f32 v6, -v11, v6, v14
	global_store_dword v[16:17], v12, off
	global_store_dword v[4:5], v6, off
	v_mov_b32_e32 v4, s26
	s_branch .LBB80_25
.LBB80_30:
	s_endpgm
	.section	.rodata,"a",@progbits
	.p2align	6, 0x0
	.amdhsa_kernel _ZN9rocsparseL18gtsv_LBM_wv_kernelILj256ELj256EfEEviiiPKT1_S3_S3_PS1_S4_S4_Pi
		.amdhsa_group_segment_fixed_size 0
		.amdhsa_private_segment_fixed_size 0
		.amdhsa_kernarg_size 72
		.amdhsa_user_sgpr_count 6
		.amdhsa_user_sgpr_private_segment_buffer 1
		.amdhsa_user_sgpr_dispatch_ptr 0
		.amdhsa_user_sgpr_queue_ptr 0
		.amdhsa_user_sgpr_kernarg_segment_ptr 1
		.amdhsa_user_sgpr_dispatch_id 0
		.amdhsa_user_sgpr_flat_scratch_init 0
		.amdhsa_user_sgpr_private_segment_size 0
		.amdhsa_uses_dynamic_stack 0
		.amdhsa_system_sgpr_private_segment_wavefront_offset 0
		.amdhsa_system_sgpr_workgroup_id_x 1
		.amdhsa_system_sgpr_workgroup_id_y 0
		.amdhsa_system_sgpr_workgroup_id_z 0
		.amdhsa_system_sgpr_workgroup_info 0
		.amdhsa_system_vgpr_workitem_id 0
		.amdhsa_next_free_vgpr 30
		.amdhsa_next_free_sgpr 31
		.amdhsa_reserve_vcc 1
		.amdhsa_reserve_flat_scratch 0
		.amdhsa_float_round_mode_32 0
		.amdhsa_float_round_mode_16_64 0
		.amdhsa_float_denorm_mode_32 3
		.amdhsa_float_denorm_mode_16_64 3
		.amdhsa_dx10_clamp 1
		.amdhsa_ieee_mode 1
		.amdhsa_fp16_overflow 0
		.amdhsa_exception_fp_ieee_invalid_op 0
		.amdhsa_exception_fp_denorm_src 0
		.amdhsa_exception_fp_ieee_div_zero 0
		.amdhsa_exception_fp_ieee_overflow 0
		.amdhsa_exception_fp_ieee_underflow 0
		.amdhsa_exception_fp_ieee_inexact 0
		.amdhsa_exception_int_div_zero 0
	.end_amdhsa_kernel
	.section	.text._ZN9rocsparseL18gtsv_LBM_wv_kernelILj256ELj256EfEEviiiPKT1_S3_S3_PS1_S4_S4_Pi,"axG",@progbits,_ZN9rocsparseL18gtsv_LBM_wv_kernelILj256ELj256EfEEviiiPKT1_S3_S3_PS1_S4_S4_Pi,comdat
.Lfunc_end80:
	.size	_ZN9rocsparseL18gtsv_LBM_wv_kernelILj256ELj256EfEEviiiPKT1_S3_S3_PS1_S4_S4_Pi, .Lfunc_end80-_ZN9rocsparseL18gtsv_LBM_wv_kernelILj256ELj256EfEEviiiPKT1_S3_S3_PS1_S4_S4_Pi
                                        ; -- End function
	.set _ZN9rocsparseL18gtsv_LBM_wv_kernelILj256ELj256EfEEviiiPKT1_S3_S3_PS1_S4_S4_Pi.num_vgpr, 30
	.set _ZN9rocsparseL18gtsv_LBM_wv_kernelILj256ELj256EfEEviiiPKT1_S3_S3_PS1_S4_S4_Pi.num_agpr, 0
	.set _ZN9rocsparseL18gtsv_LBM_wv_kernelILj256ELj256EfEEviiiPKT1_S3_S3_PS1_S4_S4_Pi.numbered_sgpr, 31
	.set _ZN9rocsparseL18gtsv_LBM_wv_kernelILj256ELj256EfEEviiiPKT1_S3_S3_PS1_S4_S4_Pi.num_named_barrier, 0
	.set _ZN9rocsparseL18gtsv_LBM_wv_kernelILj256ELj256EfEEviiiPKT1_S3_S3_PS1_S4_S4_Pi.private_seg_size, 0
	.set _ZN9rocsparseL18gtsv_LBM_wv_kernelILj256ELj256EfEEviiiPKT1_S3_S3_PS1_S4_S4_Pi.uses_vcc, 1
	.set _ZN9rocsparseL18gtsv_LBM_wv_kernelILj256ELj256EfEEviiiPKT1_S3_S3_PS1_S4_S4_Pi.uses_flat_scratch, 0
	.set _ZN9rocsparseL18gtsv_LBM_wv_kernelILj256ELj256EfEEviiiPKT1_S3_S3_PS1_S4_S4_Pi.has_dyn_sized_stack, 0
	.set _ZN9rocsparseL18gtsv_LBM_wv_kernelILj256ELj256EfEEviiiPKT1_S3_S3_PS1_S4_S4_Pi.has_recursion, 0
	.set _ZN9rocsparseL18gtsv_LBM_wv_kernelILj256ELj256EfEEviiiPKT1_S3_S3_PS1_S4_S4_Pi.has_indirect_call, 0
	.section	.AMDGPU.csdata,"",@progbits
; Kernel info:
; codeLenInByte = 2248
; TotalNumSgprs: 35
; NumVgprs: 30
; ScratchSize: 0
; MemoryBound: 0
; FloatMode: 240
; IeeeMode: 1
; LDSByteSize: 0 bytes/workgroup (compile time only)
; SGPRBlocks: 4
; VGPRBlocks: 7
; NumSGPRsForWavesPerEU: 35
; NumVGPRsForWavesPerEU: 30
; Occupancy: 8
; WaveLimiterHint : 0
; COMPUTE_PGM_RSRC2:SCRATCH_EN: 0
; COMPUTE_PGM_RSRC2:USER_SGPR: 6
; COMPUTE_PGM_RSRC2:TRAP_HANDLER: 0
; COMPUTE_PGM_RSRC2:TGID_X_EN: 1
; COMPUTE_PGM_RSRC2:TGID_Y_EN: 0
; COMPUTE_PGM_RSRC2:TGID_Z_EN: 0
; COMPUTE_PGM_RSRC2:TIDIG_COMP_CNT: 0
	.section	.text._ZN9rocsparseL19gtsv_LBM_rhs_kernelILj256ELj256ELj8EfEEviiiPKT2_S3_S3_PS1_S3_PKi,"axG",@progbits,_ZN9rocsparseL19gtsv_LBM_rhs_kernelILj256ELj256ELj8EfEEviiiPKT2_S3_S3_PS1_S3_PKi,comdat
	.globl	_ZN9rocsparseL19gtsv_LBM_rhs_kernelILj256ELj256ELj8EfEEviiiPKT2_S3_S3_PS1_S3_PKi ; -- Begin function _ZN9rocsparseL19gtsv_LBM_rhs_kernelILj256ELj256ELj8EfEEviiiPKT2_S3_S3_PS1_S3_PKi
	.p2align	8
	.type	_ZN9rocsparseL19gtsv_LBM_rhs_kernelILj256ELj256ELj8EfEEviiiPKT2_S3_S3_PS1_S3_PKi,@function
_ZN9rocsparseL19gtsv_LBM_rhs_kernelILj256ELj256ELj8EfEEviiiPKT2_S3_S3_PS1_S3_PKi: ; @_ZN9rocsparseL19gtsv_LBM_rhs_kernelILj256ELj256ELj8EfEEviiiPKT2_S3_S3_PS1_S3_PKi
; %bb.0:
	s_load_dword s23, s[4:5], 0x0
	v_lshl_or_b32 v0, s6, 8, v0
	s_waitcnt lgkmcnt(0)
	s_lshr_b32 s22, s23, 8
	v_cmp_gt_i32_e32 vcc, s22, v0
	s_and_saveexec_b64 s[0:1], vcc
	s_cbranch_execz .LBB81_29
; %bb.1:
	s_load_dwordx4 s[8:11], s[4:5], 0x28
	s_load_dwordx2 s[16:17], s[4:5], 0x38
	s_cmp_lt_i32 s23, 1
	v_add_u32_e32 v19, s22, v0
	s_mul_i32 s24, s7, s23
	s_cbranch_scc1 .LBB81_21
; %bb.2:
	s_load_dwordx4 s[12:15], s[4:5], 0x10
	s_load_dwordx2 s[6:7], s[4:5], 0x20
	v_ashrrev_i32_e32 v1, 31, v0
	v_lshlrev_b64 v[1:2], 2, v[0:1]
	s_lshl_b32 s28, s24, 3
	s_waitcnt lgkmcnt(0)
	v_mov_b32_e32 v3, s15
	v_add_co_u32_e32 v1, vcc, s14, v1
	v_addc_co_u32_e32 v2, vcc, v3, v2, vcc
	global_load_dword v24, v[1:2], off
	s_add_i32 s29, s28, s23
	s_add_i32 s30, s29, s23
	s_add_i32 s31, s30, s23
	s_add_i32 s33, s31, s23
	s_add_i32 s34, s33, s23
	s_add_i32 s35, s34, s23
	s_mul_i32 s25, s22, 0xff
	s_mul_i32 s26, s22, 0xfe
	s_lshl_b32 s27, s22, 1
	v_add_u32_e32 v20, s22, v19
	s_add_i32 s36, s35, s23
	v_mov_b32_e32 v2, 0
	s_mov_b64 s[18:19], 0
	v_mov_b32_e32 v22, s7
	v_mov_b32_e32 v21, 0
	s_branch .LBB81_5
.LBB81_3:                               ;   in Loop: Header=BB81_5 Depth=1
	s_or_b64 exec, exec, s[4:5]
	v_fma_f32 v24, -v24, v29, v25
	v_mov_b32_e32 v1, s22
.LBB81_4:                               ;   in Loop: Header=BB81_5 Depth=1
	s_or_b64 exec, exec, s[2:3]
	v_add_u32_e32 v21, v1, v21
	v_cmp_le_i32_e32 vcc, s23, v21
	s_or_b64 s[18:19], vcc, s[18:19]
	s_andn2_b64 exec, exec, s[18:19]
	s_cbranch_execz .LBB81_20
.LBB81_5:                               ; =>This Inner Loop Header: Depth=1
	v_add_u32_e32 v15, v21, v0
	v_ashrrev_i32_e32 v16, 31, v15
	v_lshlrev_b64 v[3:4], 2, v[15:16]
	v_cmp_gt_u32_e64 s[0:1], s25, v21
	v_add_co_u32_e32 v5, vcc, s6, v3
	v_addc_co_u32_e32 v6, vcc, v22, v4, vcc
	global_load_dword v27, v[5:6], off
	v_mov_b32_e32 v23, 0
	s_and_saveexec_b64 s[2:3], s[0:1]
	s_cbranch_execz .LBB81_7
; %bb.6:                                ;   in Loop: Header=BB81_5 Depth=1
	v_add_u32_e32 v5, v19, v21
	v_ashrrev_i32_e32 v6, 31, v5
	v_lshlrev_b64 v[5:6], 2, v[5:6]
	v_mov_b32_e32 v1, s13
	v_add_co_u32_e32 v5, vcc, s12, v5
	v_addc_co_u32_e32 v6, vcc, v1, v6, vcc
	global_load_dword v23, v[5:6], off
.LBB81_7:                               ;   in Loop: Header=BB81_5 Depth=1
	s_or_b64 exec, exec, s[2:3]
	v_mov_b32_e32 v26, 0
	v_mov_b32_e32 v25, 0
	s_and_saveexec_b64 s[2:3], s[0:1]
	s_cbranch_execz .LBB81_9
; %bb.8:                                ;   in Loop: Header=BB81_5 Depth=1
	v_add_u32_e32 v5, v19, v21
	v_ashrrev_i32_e32 v6, 31, v5
	v_lshlrev_b64 v[5:6], 2, v[5:6]
	v_mov_b32_e32 v1, s15
	v_add_co_u32_e32 v5, vcc, s14, v5
	v_addc_co_u32_e32 v6, vcc, v1, v6, vcc
	global_load_dword v25, v[5:6], off
.LBB81_9:                               ;   in Loop: Header=BB81_5 Depth=1
	s_or_b64 exec, exec, s[2:3]
	s_and_saveexec_b64 s[2:3], s[0:1]
	s_cbranch_execz .LBB81_11
; %bb.10:                               ;   in Loop: Header=BB81_5 Depth=1
	v_add_u32_e32 v5, v19, v21
	v_ashrrev_i32_e32 v6, 31, v5
	v_lshlrev_b64 v[5:6], 2, v[5:6]
	v_mov_b32_e32 v1, s7
	v_add_co_u32_e32 v5, vcc, s6, v5
	v_addc_co_u32_e32 v6, vcc, v1, v6, vcc
	global_load_dword v26, v[5:6], off
.LBB81_11:                              ;   in Loop: Header=BB81_5 Depth=1
	s_or_b64 exec, exec, s[2:3]
	v_cmp_gt_u32_e64 s[2:3], s26, v21
	v_mov_b32_e32 v28, 0
	s_and_saveexec_b64 s[4:5], s[2:3]
	s_cbranch_execz .LBB81_13
; %bb.12:                               ;   in Loop: Header=BB81_5 Depth=1
	v_add_u32_e32 v5, v20, v21
	v_ashrrev_i32_e32 v6, 31, v5
	v_lshlrev_b64 v[5:6], 2, v[5:6]
	v_mov_b32_e32 v1, s13
	v_add_co_u32_e32 v5, vcc, s12, v5
	v_addc_co_u32_e32 v6, vcc, v1, v6, vcc
	global_load_dword v28, v[5:6], off
.LBB81_13:                              ;   in Loop: Header=BB81_5 Depth=1
	s_or_b64 exec, exec, s[4:5]
	v_mov_b32_e32 v1, s17
	v_add_co_u32_e32 v3, vcc, s16, v3
	v_addc_co_u32_e32 v4, vcc, v1, v4, vcc
	v_add_u32_e32 v1, s28, v15
	global_load_dword v29, v[3:4], off
	v_lshlrev_b64 v[3:4], 2, v[1:2]
	s_waitcnt vmcnt(2)
	v_mov_b32_e32 v30, s9
	v_add_co_u32_e32 v17, vcc, s8, v3
	v_add_u32_e32 v1, s29, v15
	v_addc_co_u32_e32 v18, vcc, v30, v4, vcc
	v_lshlrev_b64 v[3:4], 2, v[1:2]
	v_add_u32_e32 v1, s30, v15
	v_add_co_u32_e32 v7, vcc, s8, v3
	v_addc_co_u32_e32 v8, vcc, v30, v4, vcc
	v_lshlrev_b64 v[3:4], 2, v[1:2]
	v_add_u32_e32 v1, s31, v15
	v_add_co_u32_e32 v11, vcc, s8, v3
	;; [unrolled: 4-line block ×3, first 2 shown]
	v_lshlrev_b64 v[5:6], 2, v[1:2]
	v_addc_co_u32_e32 v4, vcc, v30, v4, vcc
	v_add_u32_e32 v1, s34, v15
	v_add_co_u32_e32 v5, vcc, s8, v5
	v_lshlrev_b64 v[9:10], 2, v[1:2]
	v_addc_co_u32_e32 v6, vcc, v30, v6, vcc
	v_add_u32_e32 v1, s35, v15
	v_add_co_u32_e32 v9, vcc, s8, v9
	v_lshlrev_b64 v[13:14], 2, v[1:2]
	v_addc_co_u32_e32 v10, vcc, v30, v10, vcc
	v_add_u32_e32 v1, s36, v15
	v_add_co_u32_e32 v13, vcc, s8, v13
	v_lshlrev_b64 v[15:16], 2, v[1:2]
	v_addc_co_u32_e32 v14, vcc, v30, v14, vcc
	v_add_co_u32_e32 v15, vcc, s8, v15
	v_addc_co_u32_e32 v16, vcc, v30, v16, vcc
	global_load_dword v37, v[17:18], off
	global_load_dword v36, v[7:8], off
	;; [unrolled: 1-line block ×8, first 2 shown]
	v_cmp_ne_u32_e64 s[4:5], s25, v21
	s_waitcnt vmcnt(8)
	v_cmp_ne_u32_e32 vcc, 1, v29
	s_and_b64 s[4:5], s[4:5], vcc
	v_mul_f32_e32 v29, v27, v23
	s_and_saveexec_b64 s[20:21], s[4:5]
	s_xor_b64 s[4:5], exec, s[20:21]
	s_cbranch_execz .LBB81_17
; %bb.14:                               ;   in Loop: Header=BB81_5 Depth=1
	v_add_u32_e32 v54, v19, v21
	v_add_u32_e32 v1, s28, v54
	v_lshlrev_b64 v[38:39], 2, v[1:2]
	v_mov_b32_e32 v55, s9
	v_add_co_u32_e32 v40, vcc, s8, v38
	v_add_u32_e32 v1, s29, v54
	v_addc_co_u32_e32 v41, vcc, v55, v39, vcc
	v_lshlrev_b64 v[38:39], 2, v[1:2]
	v_add_u32_e32 v1, s30, v54
	v_add_co_u32_e32 v42, vcc, s8, v38
	v_addc_co_u32_e32 v43, vcc, v55, v39, vcc
	v_lshlrev_b64 v[38:39], 2, v[1:2]
	v_add_u32_e32 v1, s31, v54
	v_add_co_u32_e32 v44, vcc, s8, v38
	;; [unrolled: 4-line block ×6, first 2 shown]
	v_addc_co_u32_e32 v53, vcc, v55, v39, vcc
	v_lshlrev_b64 v[38:39], 2, v[1:2]
	v_fma_f32 v1, v24, v25, -v29
	v_div_scale_f32 v29, s[20:21], v1, v1, 1.0
	v_add_co_u32_e32 v54, vcc, s8, v38
	v_addc_co_u32_e32 v55, vcc, v55, v39, vcc
	v_rcp_f32_e32 v38, v29
	v_fma_f32 v39, -v29, v38, 1.0
	v_fmac_f32_e32 v38, v39, v38
	v_div_scale_f32 v39, vcc, 1.0, v1, 1.0
	v_mul_f32_e32 v56, v39, v38
	v_fma_f32 v57, -v29, v56, v39
	v_fmac_f32_e32 v56, v57, v38
	v_fma_f32 v29, -v29, v56, v39
	v_div_fmas_f32 v29, v29, v38, v56
	v_div_fixup_f32 v29, v29, v1, 1.0
	global_load_dword v1, v[40:41], off
	global_load_dword v39, v[42:43], off
	global_load_dword v56, v[44:45], off
	global_load_dword v57, v[46:47], off
	global_load_dword v58, v[48:49], off
	global_load_dword v59, v[50:51], off
	global_load_dword v60, v[52:53], off
	global_load_dword v61, v[54:55], off
	s_waitcnt vmcnt(15)
	v_mul_f32_e32 v37, v29, v37
	s_waitcnt vmcnt(13)
	v_mul_f32_e32 v35, v29, v35
	;; [unrolled: 2-line block ×3, first 2 shown]
	v_mul_f32_e32 v1, v27, v38
	v_fma_f32 v1, v25, v37, -v1
	global_store_dword v[17:18], v1, off
	v_mul_f32_e32 v18, v29, v36
	s_waitcnt vmcnt(7)
	v_mul_f32_e32 v36, v29, v39
	v_mul_f32_e32 v1, v27, v36
	v_fma_f32 v1, v25, v18, -v1
	s_waitcnt vmcnt(6)
	v_mul_f32_e32 v39, v29, v56
	global_store_dword v[7:8], v1, off
	v_mul_f32_e32 v1, v27, v39
	v_fma_f32 v1, v25, v35, -v1
	global_store_dword v[11:12], v1, off
	s_waitcnt vmcnt(7)
	v_mul_f32_e32 v12, v29, v57
	v_mul_f32_e32 v7, v29, v34
	v_mul_f32_e32 v1, v27, v12
	v_fma_f32 v1, v25, v7, -v1
	v_mul_f32_e32 v17, v29, v33
	s_waitcnt vmcnt(6)
	v_mul_f32_e32 v33, v29, v58
	global_store_dword v[3:4], v1, off
	v_mul_f32_e32 v1, v27, v33
	v_fma_f32 v1, v25, v17, -v1
	s_waitcnt vmcnt(6)
	v_mul_f32_e32 v11, v29, v59
	global_store_dword v[5:6], v1, off
	v_mul_f32_e32 v8, v29, v32
	v_mul_f32_e32 v1, v27, v11
	v_fma_f32 v1, v25, v8, -v1
	s_waitcnt vmcnt(6)
	v_mul_f32_e32 v6, v29, v60
	global_store_dword v[9:10], v1, off
	v_mul_f32_e32 v5, v29, v31
	v_mul_f32_e32 v1, v27, v6
	v_fma_f32 v1, v25, v5, -v1
	s_waitcnt vmcnt(6)
	v_mul_f32_e32 v4, v29, v61
	global_store_dword v[13:14], v1, off
	v_mul_f32_e32 v3, v29, v30
	v_mul_f32_e32 v1, v27, v4
	v_fma_f32 v1, v25, v3, -v1
	global_store_dword v[15:16], v1, off
	v_mul_f32_e32 v1, v23, v37
	v_fma_f32 v1, v24, v38, -v1
	global_store_dword v[40:41], v1, off
	;; [unrolled: 3-line block ×9, first 2 shown]
	v_mov_b32_e32 v1, 0
	s_and_saveexec_b64 s[20:21], s[2:3]
	s_cbranch_execz .LBB81_16
; %bb.15:                               ;   in Loop: Header=BB81_5 Depth=1
	v_add_u32_e32 v9, v20, v21
	v_add_u32_e32 v1, s28, v9
	v_lshlrev_b64 v[13:14], 2, v[1:2]
	v_mov_b32_e32 v25, s9
	v_add_co_u32_e32 v13, vcc, s8, v13
	v_addc_co_u32_e32 v14, vcc, v25, v14, vcc
	global_load_dword v10, v[13:14], off
	v_mul_f32_e32 v31, v24, v28
	v_mul_f32_e32 v30, v23, v28
	;; [unrolled: 1-line block ×3, first 2 shown]
	v_fma_f32 v27, v30, v37, -v1
	v_add_u32_e32 v1, s29, v9
	v_lshlrev_b64 v[15:16], 2, v[1:2]
	v_add_u32_e32 v1, s30, v9
	v_lshlrev_b64 v[23:24], 2, v[1:2]
	v_add_co_u32_e32 v15, vcc, s8, v15
	v_addc_co_u32_e32 v16, vcc, v25, v16, vcc
	global_load_dword v32, v[15:16], off
	v_add_co_u32_e32 v23, vcc, s8, v23
	v_addc_co_u32_e32 v24, vcc, v25, v24, vcc
	v_mul_f32_e32 v4, v31, v4
	v_fma_f32 v3, v30, v3, -v4
	s_waitcnt vmcnt(1)
	v_add_f32_e32 v1, v27, v10
	global_store_dword v[13:14], v1, off
	global_load_dword v10, v[23:24], off
	v_mul_f32_e32 v1, v31, v36
	v_mul_f32_e32 v13, v31, v39
	v_fma_f32 v18, v30, v18, -v1
	v_add_u32_e32 v1, s31, v9
	v_fma_f32 v34, v30, v35, -v13
	v_lshlrev_b64 v[13:14], 2, v[1:2]
	v_add_u32_e32 v1, s33, v9
	v_lshlrev_b64 v[27:28], 2, v[1:2]
	v_add_co_u32_e32 v13, vcc, s8, v13
	s_waitcnt vmcnt(2)
	v_add_f32_e32 v1, v18, v32
	v_addc_co_u32_e32 v14, vcc, v25, v14, vcc
	global_store_dword v[15:16], v1, off
	v_add_co_u32_e32 v27, vcc, s8, v27
	global_load_dword v18, v[13:14], off
	v_addc_co_u32_e32 v28, vcc, v25, v28, vcc
	s_waitcnt vmcnt(2)
	v_add_f32_e32 v1, v34, v10
	global_store_dword v[23:24], v1, off
	global_load_dword v10, v[27:28], off
	v_mul_f32_e32 v1, v31, v12
	v_fma_f32 v7, v30, v7, -v1
	v_add_u32_e32 v1, s34, v9
	v_mul_f32_e32 v12, v31, v33
	v_lshlrev_b64 v[15:16], 2, v[1:2]
	v_fma_f32 v12, v30, v17, -v12
	v_add_co_u32_e32 v15, vcc, s8, v15
	v_addc_co_u32_e32 v16, vcc, v25, v16, vcc
	s_waitcnt vmcnt(2)
	v_add_f32_e32 v1, v7, v18
	global_store_dword v[13:14], v1, off
	s_waitcnt vmcnt(1)
	v_add_f32_e32 v1, v12, v10
	global_store_dword v[27:28], v1, off
	global_load_dword v10, v[15:16], off
	v_mul_f32_e32 v1, v31, v11
	v_fma_f32 v11, v30, v8, -v1
	v_add_u32_e32 v1, s35, v9
	v_lshlrev_b64 v[7:8], 2, v[1:2]
	v_mov_b32_e32 v12, s15
	v_add_co_u32_e32 v7, vcc, s8, v7
	v_addc_co_u32_e32 v8, vcc, v25, v8, vcc
	s_waitcnt vmcnt(0)
	v_add_f32_e32 v1, v11, v10
	global_store_dword v[15:16], v1, off
	global_load_dword v11, v[7:8], off
	v_mul_f32_e32 v1, v31, v6
	v_ashrrev_i32_e32 v10, 31, v9
	v_fma_f32 v13, v30, v5, -v1
	v_add_u32_e32 v1, s36, v9
	v_lshlrev_b64 v[5:6], 2, v[9:10]
	v_lshlrev_b64 v[9:10], 2, v[1:2]
	v_add_co_u32_e32 v9, vcc, s8, v9
	v_addc_co_u32_e32 v10, vcc, v25, v10, vcc
	v_add_co_u32_e32 v5, vcc, s14, v5
	v_addc_co_u32_e32 v6, vcc, v12, v6, vcc
	global_load_dword v5, v[5:6], off
	v_mul_f32_e32 v6, v26, v31
	s_waitcnt vmcnt(1)
	v_add_f32_e32 v1, v13, v11
	global_store_dword v[7:8], v1, off
	global_load_dword v1, v[9:10], off
	s_waitcnt vmcnt(0)
	v_add_f32_e32 v1, v3, v1
	global_store_dword v[9:10], v1, off
	v_fma_f32 v1, -v29, v6, v5
.LBB81_16:                              ;   in Loop: Header=BB81_5 Depth=1
	s_or_b64 exec, exec, s[20:21]
	v_mov_b32_e32 v24, v1
                                        ; implicit-def: $vgpr23
                                        ; implicit-def: $vgpr25
                                        ; implicit-def: $vgpr29
                                        ; implicit-def: $vgpr17_vgpr18
                                        ; implicit-def: $vgpr37
                                        ; implicit-def: $vgpr7_vgpr8
                                        ; implicit-def: $vgpr36
                                        ; implicit-def: $vgpr11_vgpr12
                                        ; implicit-def: $vgpr35
                                        ; implicit-def: $vgpr3_vgpr4
                                        ; implicit-def: $vgpr34
                                        ; implicit-def: $vgpr5_vgpr6
                                        ; implicit-def: $vgpr33
                                        ; implicit-def: $vgpr9_vgpr10
                                        ; implicit-def: $vgpr32
                                        ; implicit-def: $vgpr13_vgpr14
                                        ; implicit-def: $vgpr31
                                        ; implicit-def: $vgpr15_vgpr16
                                        ; implicit-def: $vgpr30
.LBB81_17:                              ;   in Loop: Header=BB81_5 Depth=1
	s_or_saveexec_b64 s[2:3], s[4:5]
	v_mov_b32_e32 v1, s27
	s_xor_b64 exec, exec, s[2:3]
	s_cbranch_execz .LBB81_4
; %bb.18:                               ;   in Loop: Header=BB81_5 Depth=1
	v_div_scale_f32 v1, s[4:5], v24, v24, 1.0
	v_div_scale_f32 v26, vcc, 1.0, v24, 1.0
	v_rcp_f32_e32 v27, v1
	v_fma_f32 v28, -v1, v27, 1.0
	v_fmac_f32_e32 v27, v28, v27
	v_mul_f32_e32 v28, v26, v27
	v_fma_f32 v38, -v1, v28, v26
	v_fmac_f32_e32 v28, v38, v27
	v_fma_f32 v1, -v1, v28, v26
	v_div_fmas_f32 v1, v1, v27, v28
	v_div_fixup_f32 v24, v1, v24, 1.0
	s_waitcnt vmcnt(7)
	v_mul_f32_e32 v37, v24, v37
	s_waitcnt vmcnt(6)
	v_mul_f32_e32 v36, v24, v36
	;; [unrolled: 2-line block ×8, first 2 shown]
	global_store_dword v[17:18], v37, off
	global_store_dword v[7:8], v36, off
	;; [unrolled: 1-line block ×8, first 2 shown]
	s_and_saveexec_b64 s[4:5], s[0:1]
	s_cbranch_execz .LBB81_3
; %bb.19:                               ;   in Loop: Header=BB81_5 Depth=1
	v_add_u32_e32 v11, v19, v21
	v_add_u32_e32 v1, s28, v11
	v_lshlrev_b64 v[3:4], 2, v[1:2]
	v_mov_b32_e32 v12, s9
	v_add_co_u32_e32 v3, vcc, s8, v3
	v_addc_co_u32_e32 v4, vcc, v12, v4, vcc
	global_load_dword v9, v[3:4], off
	v_add_u32_e32 v1, s29, v11
	v_lshlrev_b64 v[5:6], 2, v[1:2]
	v_add_u32_e32 v1, s30, v11
	v_lshlrev_b64 v[7:8], 2, v[1:2]
	v_add_co_u32_e32 v5, vcc, s8, v5
	v_addc_co_u32_e32 v6, vcc, v12, v6, vcc
	global_load_dword v13, v[5:6], off
	v_add_co_u32_e32 v7, vcc, s8, v7
	v_addc_co_u32_e32 v8, vcc, v12, v8, vcc
	s_waitcnt vmcnt(1)
	v_fma_f32 v1, -v23, v37, v9
	global_store_dword v[3:4], v1, off
	global_load_dword v14, v[7:8], off
	v_add_u32_e32 v1, s31, v11
	v_lshlrev_b64 v[3:4], 2, v[1:2]
	v_add_u32_e32 v1, s33, v11
	v_lshlrev_b64 v[9:10], 2, v[1:2]
	v_add_co_u32_e32 v3, vcc, s8, v3
	s_waitcnt vmcnt(2)
	v_fma_f32 v1, -v23, v36, v13
	v_addc_co_u32_e32 v4, vcc, v12, v4, vcc
	global_store_dword v[5:6], v1, off
	v_add_co_u32_e32 v9, vcc, s8, v9
	global_load_dword v13, v[3:4], off
	v_addc_co_u32_e32 v10, vcc, v12, v10, vcc
	s_waitcnt vmcnt(2)
	v_fma_f32 v1, -v23, v35, v14
	global_store_dword v[7:8], v1, off
	global_load_dword v7, v[9:10], off
	v_add_u32_e32 v1, s34, v11
	v_lshlrev_b64 v[5:6], 2, v[1:2]
	v_add_co_u32_e32 v5, vcc, s8, v5
	v_addc_co_u32_e32 v6, vcc, v12, v6, vcc
	s_waitcnt vmcnt(2)
	v_fma_f32 v1, -v23, v34, v13
	global_store_dword v[3:4], v1, off
	s_waitcnt vmcnt(1)
	v_fma_f32 v1, -v23, v33, v7
	global_store_dword v[9:10], v1, off
	global_load_dword v7, v[5:6], off
	v_add_u32_e32 v1, s35, v11
	v_lshlrev_b64 v[3:4], 2, v[1:2]
	v_add_co_u32_e32 v3, vcc, s8, v3
	v_addc_co_u32_e32 v4, vcc, v12, v4, vcc
	s_waitcnt vmcnt(0)
	v_fma_f32 v1, -v23, v28, v7
	global_store_dword v[5:6], v1, off
	global_load_dword v7, v[3:4], off
	v_add_u32_e32 v1, s36, v11
	v_lshlrev_b64 v[5:6], 2, v[1:2]
	s_waitcnt vmcnt(0)
	v_fma_f32 v1, -v23, v27, v7
	global_store_dword v[3:4], v1, off
	v_add_co_u32_e32 v3, vcc, s8, v5
	v_addc_co_u32_e32 v4, vcc, v12, v6, vcc
	global_load_dword v1, v[3:4], off
	s_waitcnt vmcnt(0)
	v_fma_f32 v1, -v23, v26, v1
	global_store_dword v[3:4], v1, off
	s_branch .LBB81_3
.LBB81_20:
	s_or_b64 exec, exec, s[18:19]
	s_branch .LBB81_22
.LBB81_21:
	v_mov_b32_e32 v21, 0
.LBB81_22:
	v_subrev_u32_e32 v3, s22, v21
	v_add_u32_e32 v1, v3, v0
	v_ashrrev_i32_e32 v2, 31, v1
	v_lshlrev_b64 v[1:2], 2, v[1:2]
	s_waitcnt lgkmcnt(0)
	v_mov_b32_e32 v4, s17
	v_add_co_u32_e32 v1, vcc, s16, v1
	v_addc_co_u32_e32 v2, vcc, v4, v2, vcc
	s_waitcnt vmcnt(0)
	buffer_wbinvl1_vol
	global_load_dword v1, v[1:2], off
	s_waitcnt vmcnt(0)
	v_mul_lo_u32 v1, v1, s22
	v_sub_u32_e32 v5, v3, v1
	v_cmp_lt_i32_e32 vcc, -1, v5
	s_and_b64 exec, exec, vcc
	s_cbranch_execz .LBB81_29
; %bb.23:
	s_lshl_b32 s4, s24, 3
	s_add_i32 s5, s4, s23
	s_add_i32 s6, s5, s23
	;; [unrolled: 1-line block ×7, first 2 shown]
	s_lshl_b32 s18, s22, 1
	s_mov_b64 s[0:1], 0
	v_mov_b32_e32 v6, s17
	v_mov_b32_e32 v7, s11
	;; [unrolled: 1-line block ×3, first 2 shown]
	s_branch .LBB81_25
.LBB81_24:                              ;   in Loop: Header=BB81_25 Depth=1
	s_or_b64 exec, exec, s[2:3]
	v_sub_u32_e32 v5, v5, v1
	v_cmp_gt_i32_e32 vcc, 0, v5
	s_or_b64 s[0:1], vcc, s[0:1]
	s_andn2_b64 exec, exec, s[0:1]
	s_cbranch_execz .LBB81_29
.LBB81_25:                              ; =>This Inner Loop Header: Depth=1
	v_add_u32_e32 v3, v5, v0
	s_waitcnt vmcnt(0)
	v_ashrrev_i32_e32 v4, 31, v3
	v_lshlrev_b64 v[8:9], 2, v[3:4]
	v_add_co_u32_e32 v10, vcc, s16, v8
	v_addc_co_u32_e32 v11, vcc, v6, v9, vcc
	v_add_co_u32_e32 v8, vcc, s10, v8
	global_load_dword v1, v[10:11], off
	v_addc_co_u32_e32 v9, vcc, v7, v9, vcc
	global_load_dword v4, v[8:9], off
	s_waitcnt vmcnt(1)
	v_cmp_ne_u32_e32 vcc, 1, v1
	s_and_saveexec_b64 s[2:3], vcc
	s_xor_b64 s[2:3], exec, s[2:3]
	s_cbranch_execz .LBB81_27
; %bb.26:                               ;   in Loop: Header=BB81_25 Depth=1
	v_add_u32_e32 v18, v19, v5
	v_add_u32_e32 v1, s4, v18
	v_lshlrev_b64 v[8:9], 2, v[1:2]
	v_mov_b32_e32 v1, s9
	v_add_co_u32_e32 v8, vcc, s8, v8
	v_addc_co_u32_e32 v9, vcc, v1, v9, vcc
	v_add_u32_e32 v1, s5, v18
	global_load_dword v28, v[8:9], off
	v_lshlrev_b64 v[8:9], 2, v[1:2]
	v_add_u32_e32 v1, s6, v18
	v_lshlrev_b64 v[10:11], 2, v[1:2]
	v_add_u32_e32 v1, s7, v18
	;; [unrolled: 2-line block ×7, first 2 shown]
	v_lshlrev_b64 v[24:25], 2, v[1:2]
	v_mov_b32_e32 v1, s9
	v_add_co_u32_e32 v24, vcc, s8, v24
	v_addc_co_u32_e32 v25, vcc, v1, v25, vcc
	global_load_dword v18, v[24:25], off
	v_add_co_u32_e32 v8, vcc, s8, v8
	v_addc_co_u32_e32 v9, vcc, v1, v9, vcc
	v_mov_b32_e32 v26, s9
	v_add_co_u32_e32 v10, vcc, s8, v10
	v_addc_co_u32_e32 v11, vcc, v26, v11, vcc
	v_mov_b32_e32 v27, s9
	;; [unrolled: 3-line block ×5, first 2 shown]
	v_add_co_u32_e32 v20, vcc, s8, v20
	v_addc_co_u32_e32 v21, vcc, v31, v21, vcc
	v_add_u32_e32 v1, s5, v3
	v_mov_b32_e32 v32, s9
	v_add_co_u32_e32 v22, vcc, s8, v22
	v_lshlrev_b64 v[26:27], 2, v[1:2]
	v_addc_co_u32_e32 v23, vcc, v32, v23, vcc
	v_mov_b32_e32 v33, s9
	global_load_dword v29, v[8:9], off
	global_load_dword v30, v[10:11], off
	;; [unrolled: 1-line block ×7, first 2 shown]
	v_add_co_u32_e32 v8, vcc, s8, v26
	v_addc_co_u32_e32 v9, vcc, v33, v27, vcc
	v_mov_b32_e32 v13, s9
	s_waitcnt vmcnt(7)
	v_fma_f32 v1, -v4, v28, v18
	global_store_dword v[24:25], v1, off
	global_load_dword v12, v[8:9], off
	v_add_u32_e32 v1, s6, v3
	v_lshlrev_b64 v[10:11], 2, v[1:2]
	v_add_co_u32_e32 v10, vcc, s8, v10
	v_addc_co_u32_e32 v11, vcc, v13, v11, vcc
	s_waitcnt vmcnt(0)
	v_fma_f32 v1, -v4, v29, v12
	global_store_dword v[8:9], v1, off
	global_load_dword v12, v[10:11], off
	v_add_u32_e32 v1, s7, v3
	v_lshlrev_b64 v[8:9], 2, v[1:2]
	v_add_co_u32_e32 v8, vcc, s8, v8
	v_addc_co_u32_e32 v9, vcc, v13, v9, vcc
	;; [unrolled: 8-line block ×6, first 2 shown]
	s_waitcnt vmcnt(0)
	v_fma_f32 v1, -v4, v35, v12
	global_store_dword v[10:11], v1, off
	global_load_dword v3, v[8:9], off
	v_subrev_u32_e32 v1, s22, v5
	v_add_u32_e32 v10, v1, v0
	v_ashrrev_i32_e32 v11, 31, v10
	v_lshlrev_b64 v[11:12], 2, v[10:11]
	v_add_u32_e32 v1, s4, v10
	v_add_co_u32_e32 v11, vcc, s10, v11
	v_addc_co_u32_e32 v12, vcc, v7, v12, vcc
	global_load_dword v14, v[11:12], off
	v_lshlrev_b64 v[11:12], 2, v[1:2]
	v_add_co_u32_e32 v11, vcc, s8, v11
	v_addc_co_u32_e32 v12, vcc, v13, v12, vcc
	s_waitcnt vmcnt(1)
	v_fma_f32 v1, -v4, v36, v3
	global_store_dword v[8:9], v1, off
	global_load_dword v8, v[11:12], off
	v_add_u32_e32 v1, s5, v10
	v_lshlrev_b64 v[3:4], 2, v[1:2]
	v_mov_b32_e32 v9, s9
	v_add_co_u32_e32 v3, vcc, s8, v3
	v_addc_co_u32_e32 v4, vcc, v9, v4, vcc
	s_waitcnt vmcnt(0)
	v_fma_f32 v1, -v14, v28, v8
	global_store_dword v[11:12], v1, off
	global_load_dword v11, v[3:4], off
	v_add_u32_e32 v1, s6, v10
	v_lshlrev_b64 v[8:9], 2, v[1:2]
	v_mov_b32_e32 v12, s9
	v_add_co_u32_e32 v8, vcc, s8, v8
	v_addc_co_u32_e32 v9, vcc, v12, v9, vcc
	s_waitcnt vmcnt(0)
	v_fma_f32 v1, -v14, v29, v11
	global_store_dword v[3:4], v1, off
	global_load_dword v11, v[8:9], off
	v_add_u32_e32 v1, s7, v10
	v_lshlrev_b64 v[3:4], 2, v[1:2]
	v_add_co_u32_e32 v3, vcc, s8, v3
	v_addc_co_u32_e32 v4, vcc, v12, v4, vcc
	s_waitcnt vmcnt(0)
	v_fma_f32 v1, -v14, v30, v11
	global_store_dword v[8:9], v1, off
	global_load_dword v11, v[3:4], off
	v_add_u32_e32 v1, s12, v10
	v_lshlrev_b64 v[8:9], 2, v[1:2]
	;; [unrolled: 8-line block ×5, first 2 shown]
	v_add_co_u32_e32 v3, vcc, s8, v3
	v_addc_co_u32_e32 v4, vcc, v12, v4, vcc
	s_waitcnt vmcnt(0)
	v_fma_f32 v1, -v14, v35, v11
	global_store_dword v[8:9], v1, off
	global_load_dword v1, v[3:4], off
	s_waitcnt vmcnt(0)
	v_fma_f32 v1, -v14, v36, v1
	global_store_dword v[3:4], v1, off
                                        ; implicit-def: $vgpr3
                                        ; implicit-def: $vgpr4
.LBB81_27:                              ;   in Loop: Header=BB81_25 Depth=1
	s_or_saveexec_b64 s[2:3], s[2:3]
	v_mov_b32_e32 v1, s18
	s_xor_b64 exec, exec, s[2:3]
	s_cbranch_execz .LBB81_24
; %bb.28:                               ;   in Loop: Header=BB81_25 Depth=1
	v_add_u32_e32 v14, v19, v5
	v_add_u32_e32 v1, s4, v14
	v_lshlrev_b64 v[8:9], 2, v[1:2]
	v_mov_b32_e32 v1, s9
	v_add_co_u32_e32 v8, vcc, s8, v8
	v_addc_co_u32_e32 v9, vcc, v1, v9, vcc
	v_add_u32_e32 v1, s4, v3
	v_lshlrev_b64 v[10:11], 2, v[1:2]
	v_mov_b32_e32 v1, s9
	v_add_co_u32_e32 v10, vcc, s8, v10
	v_addc_co_u32_e32 v11, vcc, v1, v11, vcc
	global_load_dword v15, v[8:9], off
	global_load_dword v16, v[10:11], off
	v_add_u32_e32 v1, s5, v14
	v_lshlrev_b64 v[8:9], 2, v[1:2]
	v_add_u32_e32 v1, s5, v3
	v_mov_b32_e32 v17, s9
	v_lshlrev_b64 v[12:13], 2, v[1:2]
	v_add_co_u32_e32 v8, vcc, s8, v8
	v_addc_co_u32_e32 v9, vcc, v17, v9, vcc
	v_mov_b32_e32 v18, s9
	v_add_co_u32_e32 v12, vcc, s8, v12
	v_addc_co_u32_e32 v13, vcc, v18, v13, vcc
	s_waitcnt vmcnt(0)
	v_fma_f32 v1, -v4, v15, v16
	global_store_dword v[10:11], v1, off
	global_load_dword v15, v[8:9], off
	global_load_dword v16, v[12:13], off
	v_add_u32_e32 v1, s6, v14
	v_lshlrev_b64 v[8:9], 2, v[1:2]
	v_add_u32_e32 v1, s6, v3
	v_lshlrev_b64 v[10:11], 2, v[1:2]
	v_add_co_u32_e32 v8, vcc, s8, v8
	v_addc_co_u32_e32 v9, vcc, v17, v9, vcc
	v_add_co_u32_e32 v10, vcc, s8, v10
	v_addc_co_u32_e32 v11, vcc, v18, v11, vcc
	s_waitcnt vmcnt(0)
	v_fma_f32 v1, -v4, v15, v16
	global_store_dword v[12:13], v1, off
	global_load_dword v15, v[8:9], off
	global_load_dword v16, v[10:11], off
	v_add_u32_e32 v1, s7, v14
	v_lshlrev_b64 v[8:9], 2, v[1:2]
	v_add_u32_e32 v1, s7, v3
	v_lshlrev_b64 v[12:13], 2, v[1:2]
	v_add_co_u32_e32 v8, vcc, s8, v8
	v_addc_co_u32_e32 v9, vcc, v17, v9, vcc
	;; [unrolled: 13-line block ×6, first 2 shown]
	v_add_co_u32_e32 v12, vcc, s8, v12
	v_addc_co_u32_e32 v13, vcc, v18, v13, vcc
	s_waitcnt vmcnt(0)
	v_fma_f32 v1, -v4, v15, v16
	global_store_dword v[10:11], v1, off
	global_load_dword v1, v[8:9], off
	s_nop 0
	global_load_dword v3, v[12:13], off
	s_waitcnt vmcnt(0)
	v_fma_f32 v1, -v4, v1, v3
	global_store_dword v[12:13], v1, off
	v_mov_b32_e32 v1, s22
	s_branch .LBB81_24
.LBB81_29:
	s_endpgm
	.section	.rodata,"a",@progbits
	.p2align	6, 0x0
	.amdhsa_kernel _ZN9rocsparseL19gtsv_LBM_rhs_kernelILj256ELj256ELj8EfEEviiiPKT2_S3_S3_PS1_S3_PKi
		.amdhsa_group_segment_fixed_size 0
		.amdhsa_private_segment_fixed_size 0
		.amdhsa_kernarg_size 64
		.amdhsa_user_sgpr_count 6
		.amdhsa_user_sgpr_private_segment_buffer 1
		.amdhsa_user_sgpr_dispatch_ptr 0
		.amdhsa_user_sgpr_queue_ptr 0
		.amdhsa_user_sgpr_kernarg_segment_ptr 1
		.amdhsa_user_sgpr_dispatch_id 0
		.amdhsa_user_sgpr_flat_scratch_init 0
		.amdhsa_user_sgpr_private_segment_size 0
		.amdhsa_uses_dynamic_stack 0
		.amdhsa_system_sgpr_private_segment_wavefront_offset 0
		.amdhsa_system_sgpr_workgroup_id_x 1
		.amdhsa_system_sgpr_workgroup_id_y 1
		.amdhsa_system_sgpr_workgroup_id_z 0
		.amdhsa_system_sgpr_workgroup_info 0
		.amdhsa_system_vgpr_workitem_id 0
		.amdhsa_next_free_vgpr 62
		.amdhsa_next_free_sgpr 37
		.amdhsa_reserve_vcc 1
		.amdhsa_reserve_flat_scratch 0
		.amdhsa_float_round_mode_32 0
		.amdhsa_float_round_mode_16_64 0
		.amdhsa_float_denorm_mode_32 3
		.amdhsa_float_denorm_mode_16_64 3
		.amdhsa_dx10_clamp 1
		.amdhsa_ieee_mode 1
		.amdhsa_fp16_overflow 0
		.amdhsa_exception_fp_ieee_invalid_op 0
		.amdhsa_exception_fp_denorm_src 0
		.amdhsa_exception_fp_ieee_div_zero 0
		.amdhsa_exception_fp_ieee_overflow 0
		.amdhsa_exception_fp_ieee_underflow 0
		.amdhsa_exception_fp_ieee_inexact 0
		.amdhsa_exception_int_div_zero 0
	.end_amdhsa_kernel
	.section	.text._ZN9rocsparseL19gtsv_LBM_rhs_kernelILj256ELj256ELj8EfEEviiiPKT2_S3_S3_PS1_S3_PKi,"axG",@progbits,_ZN9rocsparseL19gtsv_LBM_rhs_kernelILj256ELj256ELj8EfEEviiiPKT2_S3_S3_PS1_S3_PKi,comdat
.Lfunc_end81:
	.size	_ZN9rocsparseL19gtsv_LBM_rhs_kernelILj256ELj256ELj8EfEEviiiPKT2_S3_S3_PS1_S3_PKi, .Lfunc_end81-_ZN9rocsparseL19gtsv_LBM_rhs_kernelILj256ELj256ELj8EfEEviiiPKT2_S3_S3_PS1_S3_PKi
                                        ; -- End function
	.set _ZN9rocsparseL19gtsv_LBM_rhs_kernelILj256ELj256ELj8EfEEviiiPKT2_S3_S3_PS1_S3_PKi.num_vgpr, 62
	.set _ZN9rocsparseL19gtsv_LBM_rhs_kernelILj256ELj256ELj8EfEEviiiPKT2_S3_S3_PS1_S3_PKi.num_agpr, 0
	.set _ZN9rocsparseL19gtsv_LBM_rhs_kernelILj256ELj256ELj8EfEEviiiPKT2_S3_S3_PS1_S3_PKi.numbered_sgpr, 37
	.set _ZN9rocsparseL19gtsv_LBM_rhs_kernelILj256ELj256ELj8EfEEviiiPKT2_S3_S3_PS1_S3_PKi.num_named_barrier, 0
	.set _ZN9rocsparseL19gtsv_LBM_rhs_kernelILj256ELj256ELj8EfEEviiiPKT2_S3_S3_PS1_S3_PKi.private_seg_size, 0
	.set _ZN9rocsparseL19gtsv_LBM_rhs_kernelILj256ELj256ELj8EfEEviiiPKT2_S3_S3_PS1_S3_PKi.uses_vcc, 1
	.set _ZN9rocsparseL19gtsv_LBM_rhs_kernelILj256ELj256ELj8EfEEviiiPKT2_S3_S3_PS1_S3_PKi.uses_flat_scratch, 0
	.set _ZN9rocsparseL19gtsv_LBM_rhs_kernelILj256ELj256ELj8EfEEviiiPKT2_S3_S3_PS1_S3_PKi.has_dyn_sized_stack, 0
	.set _ZN9rocsparseL19gtsv_LBM_rhs_kernelILj256ELj256ELj8EfEEviiiPKT2_S3_S3_PS1_S3_PKi.has_recursion, 0
	.set _ZN9rocsparseL19gtsv_LBM_rhs_kernelILj256ELj256ELj8EfEEviiiPKT2_S3_S3_PS1_S3_PKi.has_indirect_call, 0
	.section	.AMDGPU.csdata,"",@progbits
; Kernel info:
; codeLenInByte = 4652
; TotalNumSgprs: 41
; NumVgprs: 62
; ScratchSize: 0
; MemoryBound: 0
; FloatMode: 240
; IeeeMode: 1
; LDSByteSize: 0 bytes/workgroup (compile time only)
; SGPRBlocks: 5
; VGPRBlocks: 15
; NumSGPRsForWavesPerEU: 41
; NumVGPRsForWavesPerEU: 62
; Occupancy: 4
; WaveLimiterHint : 0
; COMPUTE_PGM_RSRC2:SCRATCH_EN: 0
; COMPUTE_PGM_RSRC2:USER_SGPR: 6
; COMPUTE_PGM_RSRC2:TRAP_HANDLER: 0
; COMPUTE_PGM_RSRC2:TGID_X_EN: 1
; COMPUTE_PGM_RSRC2:TGID_Y_EN: 1
; COMPUTE_PGM_RSRC2:TGID_Z_EN: 0
; COMPUTE_PGM_RSRC2:TIDIG_COMP_CNT: 0
	.section	.text._ZN9rocsparseL19gtsv_LBM_rhs_kernelILj256ELj256ELj4EfEEviiiPKT2_S3_S3_PS1_S3_PKi,"axG",@progbits,_ZN9rocsparseL19gtsv_LBM_rhs_kernelILj256ELj256ELj4EfEEviiiPKT2_S3_S3_PS1_S3_PKi,comdat
	.globl	_ZN9rocsparseL19gtsv_LBM_rhs_kernelILj256ELj256ELj4EfEEviiiPKT2_S3_S3_PS1_S3_PKi ; -- Begin function _ZN9rocsparseL19gtsv_LBM_rhs_kernelILj256ELj256ELj4EfEEviiiPKT2_S3_S3_PS1_S3_PKi
	.p2align	8
	.type	_ZN9rocsparseL19gtsv_LBM_rhs_kernelILj256ELj256ELj4EfEEviiiPKT2_S3_S3_PS1_S3_PKi,@function
_ZN9rocsparseL19gtsv_LBM_rhs_kernelILj256ELj256ELj4EfEEviiiPKT2_S3_S3_PS1_S3_PKi: ; @_ZN9rocsparseL19gtsv_LBM_rhs_kernelILj256ELj256ELj4EfEEviiiPKT2_S3_S3_PS1_S3_PKi
; %bb.0:
	s_load_dword s23, s[4:5], 0x0
	v_lshl_or_b32 v0, s6, 8, v0
	s_waitcnt lgkmcnt(0)
	s_lshr_b32 s22, s23, 8
	v_cmp_gt_i32_e32 vcc, s22, v0
	s_and_saveexec_b64 s[0:1], vcc
	s_cbranch_execz .LBB82_29
; %bb.1:
	s_load_dwordx4 s[8:11], s[4:5], 0x28
	s_load_dwordx2 s[16:17], s[4:5], 0x38
	s_cmp_lt_i32 s23, 1
	v_add_u32_e32 v11, s22, v0
	s_mul_i32 s24, s7, s23
	s_cbranch_scc1 .LBB82_21
; %bb.2:
	s_load_dwordx4 s[12:15], s[4:5], 0x10
	s_load_dwordx2 s[6:7], s[4:5], 0x20
	v_ashrrev_i32_e32 v1, 31, v0
	v_lshlrev_b64 v[1:2], 2, v[0:1]
	s_lshl_b32 s28, s24, 2
	s_waitcnt lgkmcnt(0)
	v_mov_b32_e32 v3, s15
	v_add_co_u32_e32 v1, vcc, s14, v1
	v_addc_co_u32_e32 v2, vcc, v3, v2, vcc
	global_load_dword v16, v[1:2], off
	s_add_i32 s29, s28, s23
	s_add_i32 s30, s29, s23
	s_mul_i32 s25, s22, 0xff
	s_mul_i32 s26, s22, 0xfe
	s_lshl_b32 s27, s22, 1
	v_add_u32_e32 v13, s22, v11
	s_add_i32 s31, s30, s23
	v_mov_b32_e32 v2, 0
	s_mov_b64 s[18:19], 0
	v_mov_b32_e32 v14, s7
	v_mov_b32_e32 v12, 0
	s_branch .LBB82_5
.LBB82_3:                               ;   in Loop: Header=BB82_5 Depth=1
	s_or_b64 exec, exec, s[4:5]
	v_fma_f32 v16, -v16, v22, v18
	v_mov_b32_e32 v1, s22
.LBB82_4:                               ;   in Loop: Header=BB82_5 Depth=1
	s_or_b64 exec, exec, s[2:3]
	v_add_u32_e32 v12, v1, v12
	v_cmp_le_i32_e32 vcc, s23, v12
	s_or_b64 s[18:19], vcc, s[18:19]
	s_andn2_b64 exec, exec, s[18:19]
	s_cbranch_execz .LBB82_20
.LBB82_5:                               ; =>This Inner Loop Header: Depth=1
	v_add_u32_e32 v9, v12, v0
	v_ashrrev_i32_e32 v10, 31, v9
	v_lshlrev_b64 v[3:4], 2, v[9:10]
	v_cmp_gt_u32_e64 s[0:1], s25, v12
	v_add_co_u32_e32 v5, vcc, s6, v3
	v_addc_co_u32_e32 v6, vcc, v14, v4, vcc
	global_load_dword v19, v[5:6], off
	v_mov_b32_e32 v15, 0
	s_and_saveexec_b64 s[2:3], s[0:1]
	s_cbranch_execz .LBB82_7
; %bb.6:                                ;   in Loop: Header=BB82_5 Depth=1
	v_add_u32_e32 v5, v11, v12
	v_ashrrev_i32_e32 v6, 31, v5
	v_lshlrev_b64 v[5:6], 2, v[5:6]
	v_mov_b32_e32 v1, s13
	v_add_co_u32_e32 v5, vcc, s12, v5
	v_addc_co_u32_e32 v6, vcc, v1, v6, vcc
	global_load_dword v15, v[5:6], off
.LBB82_7:                               ;   in Loop: Header=BB82_5 Depth=1
	s_or_b64 exec, exec, s[2:3]
	v_mov_b32_e32 v17, 0
	v_mov_b32_e32 v18, 0
	s_and_saveexec_b64 s[2:3], s[0:1]
	s_cbranch_execz .LBB82_9
; %bb.8:                                ;   in Loop: Header=BB82_5 Depth=1
	v_add_u32_e32 v5, v11, v12
	v_ashrrev_i32_e32 v6, 31, v5
	v_lshlrev_b64 v[5:6], 2, v[5:6]
	v_mov_b32_e32 v1, s15
	v_add_co_u32_e32 v5, vcc, s14, v5
	v_addc_co_u32_e32 v6, vcc, v1, v6, vcc
	global_load_dword v18, v[5:6], off
.LBB82_9:                               ;   in Loop: Header=BB82_5 Depth=1
	s_or_b64 exec, exec, s[2:3]
	s_and_saveexec_b64 s[2:3], s[0:1]
	s_cbranch_execz .LBB82_11
; %bb.10:                               ;   in Loop: Header=BB82_5 Depth=1
	v_add_u32_e32 v5, v11, v12
	v_ashrrev_i32_e32 v6, 31, v5
	v_lshlrev_b64 v[5:6], 2, v[5:6]
	v_mov_b32_e32 v1, s7
	v_add_co_u32_e32 v5, vcc, s6, v5
	v_addc_co_u32_e32 v6, vcc, v1, v6, vcc
	global_load_dword v17, v[5:6], off
.LBB82_11:                              ;   in Loop: Header=BB82_5 Depth=1
	s_or_b64 exec, exec, s[2:3]
	v_cmp_gt_u32_e64 s[2:3], s26, v12
	v_mov_b32_e32 v20, 0
	s_and_saveexec_b64 s[4:5], s[2:3]
	s_cbranch_execz .LBB82_13
; %bb.12:                               ;   in Loop: Header=BB82_5 Depth=1
	v_add_u32_e32 v5, v13, v12
	v_ashrrev_i32_e32 v6, 31, v5
	v_lshlrev_b64 v[5:6], 2, v[5:6]
	v_mov_b32_e32 v1, s13
	v_add_co_u32_e32 v5, vcc, s12, v5
	v_addc_co_u32_e32 v6, vcc, v1, v6, vcc
	global_load_dword v20, v[5:6], off
.LBB82_13:                              ;   in Loop: Header=BB82_5 Depth=1
	s_or_b64 exec, exec, s[4:5]
	v_mov_b32_e32 v1, s17
	v_add_co_u32_e32 v3, vcc, s16, v3
	v_addc_co_u32_e32 v4, vcc, v1, v4, vcc
	v_add_u32_e32 v1, s28, v9
	global_load_dword v22, v[3:4], off
	v_lshlrev_b64 v[3:4], 2, v[1:2]
	v_add_u32_e32 v1, s29, v9
	s_waitcnt vmcnt(2)
	v_mov_b32_e32 v21, s9
	v_add_co_u32_e32 v3, vcc, s8, v3
	v_lshlrev_b64 v[5:6], 2, v[1:2]
	v_addc_co_u32_e32 v4, vcc, v21, v4, vcc
	v_add_u32_e32 v1, s30, v9
	v_add_co_u32_e32 v5, vcc, s8, v5
	v_lshlrev_b64 v[7:8], 2, v[1:2]
	v_addc_co_u32_e32 v6, vcc, v21, v6, vcc
	v_add_u32_e32 v1, s31, v9
	v_add_co_u32_e32 v7, vcc, s8, v7
	v_lshlrev_b64 v[9:10], 2, v[1:2]
	v_addc_co_u32_e32 v8, vcc, v21, v8, vcc
	v_add_co_u32_e32 v9, vcc, s8, v9
	v_addc_co_u32_e32 v10, vcc, v21, v10, vcc
	global_load_dword v25, v[3:4], off
	global_load_dword v24, v[5:6], off
	;; [unrolled: 1-line block ×4, first 2 shown]
	v_cmp_ne_u32_e64 s[4:5], s25, v12
	s_waitcnt vmcnt(4)
	v_cmp_ne_u32_e32 vcc, 1, v22
	s_and_b64 s[4:5], s[4:5], vcc
	v_mul_f32_e32 v22, v19, v15
	s_and_saveexec_b64 s[20:21], s[4:5]
	s_xor_b64 s[4:5], exec, s[20:21]
	s_cbranch_execz .LBB82_17
; %bb.14:                               ;   in Loop: Header=BB82_5 Depth=1
	v_add_u32_e32 v34, v11, v12
	v_add_u32_e32 v1, s28, v34
	v_lshlrev_b64 v[26:27], 2, v[1:2]
	v_mov_b32_e32 v35, s9
	v_add_co_u32_e32 v28, vcc, s8, v26
	v_add_u32_e32 v1, s29, v34
	v_addc_co_u32_e32 v29, vcc, v35, v27, vcc
	v_lshlrev_b64 v[26:27], 2, v[1:2]
	v_add_u32_e32 v1, s30, v34
	v_add_co_u32_e32 v30, vcc, s8, v26
	v_addc_co_u32_e32 v31, vcc, v35, v27, vcc
	v_lshlrev_b64 v[26:27], 2, v[1:2]
	v_add_u32_e32 v1, s31, v34
	v_add_co_u32_e32 v32, vcc, s8, v26
	v_addc_co_u32_e32 v33, vcc, v35, v27, vcc
	v_lshlrev_b64 v[26:27], 2, v[1:2]
	v_fma_f32 v1, v16, v18, -v22
	v_div_scale_f32 v22, s[20:21], v1, v1, 1.0
	v_add_co_u32_e32 v34, vcc, s8, v26
	v_addc_co_u32_e32 v35, vcc, v35, v27, vcc
	v_rcp_f32_e32 v26, v22
	v_fma_f32 v27, -v22, v26, 1.0
	v_fmac_f32_e32 v26, v27, v26
	v_div_scale_f32 v27, vcc, 1.0, v1, 1.0
	v_mul_f32_e32 v36, v27, v26
	v_fma_f32 v37, -v22, v36, v27
	v_fmac_f32_e32 v36, v37, v26
	v_fma_f32 v22, -v22, v36, v27
	v_div_fmas_f32 v22, v22, v26, v36
	v_div_fixup_f32 v22, v22, v1, 1.0
	global_load_dword v1, v[28:29], off
	global_load_dword v27, v[30:31], off
	;; [unrolled: 1-line block ×4, first 2 shown]
	s_waitcnt vmcnt(7)
	v_mul_f32_e32 v25, v22, v25
	s_waitcnt vmcnt(6)
	v_mul_f32_e32 v24, v22, v24
	;; [unrolled: 2-line block ×3, first 2 shown]
	v_mul_f32_e32 v26, v22, v1
	v_mul_f32_e32 v1, v19, v26
	v_fma_f32 v1, v18, v25, -v1
	global_store_dword v[3:4], v1, off
	v_mul_f32_e32 v1, v19, v27
	v_fma_f32 v1, v18, v24, -v1
	s_waitcnt vmcnt(2)
	v_mul_f32_e32 v4, v22, v36
	global_store_dword v[5:6], v1, off
	v_mul_f32_e32 v3, v22, v23
	v_mul_f32_e32 v1, v19, v4
	v_fma_f32 v1, v18, v3, -v1
	s_waitcnt vmcnt(2)
	v_mul_f32_e32 v6, v22, v37
	global_store_dword v[7:8], v1, off
	v_mul_f32_e32 v5, v22, v21
	v_mul_f32_e32 v1, v19, v6
	v_fma_f32 v1, v18, v5, -v1
	global_store_dword v[9:10], v1, off
	v_mul_f32_e32 v1, v15, v25
	v_fma_f32 v1, v16, v26, -v1
	v_mul_f32_e32 v7, v15, v24
	global_store_dword v[28:29], v1, off
	v_mul_f32_e32 v1, v15, v3
	v_mul_f32_e32 v8, v15, v5
	v_fma_f32 v7, v16, v27, -v7
	v_fma_f32 v1, v16, v4, -v1
	;; [unrolled: 1-line block ×3, first 2 shown]
	global_store_dword v[30:31], v7, off
	global_store_dword v[32:33], v1, off
	;; [unrolled: 1-line block ×3, first 2 shown]
	v_mov_b32_e32 v1, 0
	s_and_saveexec_b64 s[20:21], s[2:3]
	s_cbranch_execz .LBB82_16
; %bb.15:                               ;   in Loop: Header=BB82_5 Depth=1
	v_add_u32_e32 v7, v13, v12
	v_add_u32_e32 v1, s28, v7
	v_lshlrev_b64 v[8:9], 2, v[1:2]
	v_mov_b32_e32 v10, s9
	v_add_co_u32_e32 v18, vcc, s8, v8
	v_add_u32_e32 v1, s29, v7
	v_addc_co_u32_e32 v19, vcc, v10, v9, vcc
	v_lshlrev_b64 v[8:9], 2, v[1:2]
	global_load_dword v23, v[18:19], off
	v_add_co_u32_e32 v28, vcc, s8, v8
	v_addc_co_u32_e32 v29, vcc, v10, v9, vcc
	global_load_dword v30, v[28:29], off
	v_mul_f32_e32 v32, v16, v20
	v_mul_f32_e32 v31, v15, v20
	;; [unrolled: 1-line block ×3, first 2 shown]
	v_fma_f32 v25, v31, v25, -v1
	v_add_u32_e32 v1, s30, v7
	v_lshlrev_b64 v[15:16], 2, v[1:2]
	v_add_u32_e32 v1, s31, v7
	v_lshlrev_b64 v[20:21], 2, v[1:2]
	v_add_co_u32_e32 v15, vcc, s8, v15
	v_mul_f32_e32 v9, v32, v27
	v_ashrrev_i32_e32 v8, 31, v7
	v_addc_co_u32_e32 v16, vcc, v10, v16, vcc
	v_fma_f32 v24, v31, v24, -v9
	v_lshlrev_b64 v[8:9], 2, v[7:8]
	v_add_co_u32_e32 v20, vcc, s8, v20
	v_addc_co_u32_e32 v21, vcc, v10, v21, vcc
	v_mov_b32_e32 v33, s15
	v_add_co_u32_e32 v7, vcc, s14, v8
	v_addc_co_u32_e32 v8, vcc, v33, v9, vcc
	v_mul_f32_e32 v4, v32, v4
	v_mul_f32_e32 v6, v32, v6
	v_fma_f32 v3, v31, v3, -v4
	v_fma_f32 v4, v31, v5, -v6
	s_waitcnt vmcnt(1)
	v_add_f32_e32 v1, v25, v23
	global_store_dword v[18:19], v1, off
	s_waitcnt vmcnt(1)
	v_add_f32_e32 v1, v24, v30
	global_store_dword v[28:29], v1, off
	global_load_dword v1, v[15:16], off
	s_nop 0
	global_load_dword v10, v[20:21], off
	s_waitcnt vmcnt(1)
	v_add_f32_e32 v1, v3, v1
	global_load_dword v7, v[7:8], off
	v_mul_f32_e32 v8, v17, v32
	global_store_dword v[15:16], v1, off
	s_waitcnt vmcnt(2)
	v_add_f32_e32 v1, v4, v10
	global_store_dword v[20:21], v1, off
	s_waitcnt vmcnt(2)
	v_fma_f32 v1, -v22, v8, v7
.LBB82_16:                              ;   in Loop: Header=BB82_5 Depth=1
	s_or_b64 exec, exec, s[20:21]
	v_mov_b32_e32 v16, v1
                                        ; implicit-def: $vgpr15
                                        ; implicit-def: $vgpr18
                                        ; implicit-def: $vgpr22
                                        ; implicit-def: $vgpr3_vgpr4
                                        ; implicit-def: $vgpr25
                                        ; implicit-def: $vgpr5_vgpr6
                                        ; implicit-def: $vgpr24
                                        ; implicit-def: $vgpr7_vgpr8
                                        ; implicit-def: $vgpr23
                                        ; implicit-def: $vgpr9_vgpr10
                                        ; implicit-def: $vgpr21
.LBB82_17:                              ;   in Loop: Header=BB82_5 Depth=1
	s_or_saveexec_b64 s[2:3], s[4:5]
	v_mov_b32_e32 v1, s27
	s_xor_b64 exec, exec, s[2:3]
	s_cbranch_execz .LBB82_4
; %bb.18:                               ;   in Loop: Header=BB82_5 Depth=1
	v_div_scale_f32 v1, s[4:5], v16, v16, 1.0
	v_div_scale_f32 v17, vcc, 1.0, v16, 1.0
	v_rcp_f32_e32 v19, v1
	v_fma_f32 v20, -v1, v19, 1.0
	v_fmac_f32_e32 v19, v20, v19
	v_mul_f32_e32 v20, v17, v19
	v_fma_f32 v26, -v1, v20, v17
	v_fmac_f32_e32 v20, v26, v19
	v_fma_f32 v1, -v1, v20, v17
	v_div_fmas_f32 v1, v1, v19, v20
	v_div_fixup_f32 v16, v1, v16, 1.0
	s_waitcnt vmcnt(3)
	v_mul_f32_e32 v25, v16, v25
	s_waitcnt vmcnt(2)
	v_mul_f32_e32 v20, v16, v24
	;; [unrolled: 2-line block ×4, first 2 shown]
	global_store_dword v[3:4], v25, off
	global_store_dword v[5:6], v20, off
	;; [unrolled: 1-line block ×4, first 2 shown]
	s_and_saveexec_b64 s[4:5], s[0:1]
	s_cbranch_execz .LBB82_3
; %bb.19:                               ;   in Loop: Header=BB82_5 Depth=1
	v_add_u32_e32 v9, v11, v12
	v_add_u32_e32 v1, s28, v9
	v_lshlrev_b64 v[3:4], 2, v[1:2]
	v_add_u32_e32 v1, s29, v9
	v_mov_b32_e32 v21, s9
	v_add_co_u32_e32 v3, vcc, s8, v3
	v_lshlrev_b64 v[5:6], 2, v[1:2]
	v_addc_co_u32_e32 v4, vcc, v21, v4, vcc
	v_add_co_u32_e32 v5, vcc, s8, v5
	global_load_dword v23, v[3:4], off
	v_addc_co_u32_e32 v6, vcc, v21, v6, vcc
	global_load_dword v24, v[5:6], off
	v_add_u32_e32 v1, s30, v9
	v_lshlrev_b64 v[7:8], 2, v[1:2]
	v_add_u32_e32 v1, s31, v9
	v_lshlrev_b64 v[9:10], 2, v[1:2]
	v_add_co_u32_e32 v7, vcc, s8, v7
	v_addc_co_u32_e32 v8, vcc, v21, v8, vcc
	v_add_co_u32_e32 v9, vcc, s8, v9
	v_addc_co_u32_e32 v10, vcc, v21, v10, vcc
	s_waitcnt vmcnt(1)
	v_fma_f32 v1, -v15, v25, v23
	global_store_dword v[3:4], v1, off
	global_load_dword v3, v[7:8], off
	s_waitcnt vmcnt(2)
	v_fma_f32 v1, -v15, v20, v24
	global_store_dword v[5:6], v1, off
	global_load_dword v1, v[9:10], off
	s_waitcnt vmcnt(2)
	v_fma_f32 v3, -v15, v19, v3
	global_store_dword v[7:8], v3, off
	s_waitcnt vmcnt(1)
	v_fma_f32 v1, -v15, v17, v1
	global_store_dword v[9:10], v1, off
	s_branch .LBB82_3
.LBB82_20:
	s_or_b64 exec, exec, s[18:19]
	s_branch .LBB82_22
.LBB82_21:
	v_mov_b32_e32 v12, 0
.LBB82_22:
	v_subrev_u32_e32 v3, s22, v12
	v_add_u32_e32 v1, v3, v0
	v_ashrrev_i32_e32 v2, 31, v1
	v_lshlrev_b64 v[1:2], 2, v[1:2]
	s_waitcnt lgkmcnt(0)
	v_mov_b32_e32 v4, s17
	v_add_co_u32_e32 v1, vcc, s16, v1
	v_addc_co_u32_e32 v2, vcc, v4, v2, vcc
	s_waitcnt vmcnt(0)
	buffer_wbinvl1_vol
	global_load_dword v1, v[1:2], off
	s_waitcnt vmcnt(0)
	v_mul_lo_u32 v1, v1, s22
	v_sub_u32_e32 v5, v3, v1
	v_cmp_lt_i32_e32 vcc, -1, v5
	s_and_b64 exec, exec, vcc
	s_cbranch_execz .LBB82_29
; %bb.23:
	s_lshl_b32 s4, s24, 2
	s_add_i32 s5, s4, s23
	s_add_i32 s6, s5, s23
	;; [unrolled: 1-line block ×3, first 2 shown]
	s_lshl_b32 s12, s22, 1
	s_mov_b64 s[0:1], 0
	v_mov_b32_e32 v6, s17
	v_mov_b32_e32 v7, s11
	;; [unrolled: 1-line block ×3, first 2 shown]
	s_branch .LBB82_25
.LBB82_24:                              ;   in Loop: Header=BB82_25 Depth=1
	s_or_b64 exec, exec, s[2:3]
	v_sub_u32_e32 v5, v5, v1
	v_cmp_gt_i32_e32 vcc, 0, v5
	s_or_b64 s[0:1], vcc, s[0:1]
	s_andn2_b64 exec, exec, s[0:1]
	s_cbranch_execz .LBB82_29
.LBB82_25:                              ; =>This Inner Loop Header: Depth=1
	v_add_u32_e32 v3, v5, v0
	s_waitcnt vmcnt(0)
	v_ashrrev_i32_e32 v4, 31, v3
	v_lshlrev_b64 v[8:9], 2, v[3:4]
	v_add_co_u32_e32 v12, vcc, s16, v8
	v_addc_co_u32_e32 v13, vcc, v6, v9, vcc
	v_add_co_u32_e32 v8, vcc, s10, v8
	global_load_dword v1, v[12:13], off
	v_addc_co_u32_e32 v9, vcc, v7, v9, vcc
	global_load_dword v4, v[8:9], off
	s_waitcnt vmcnt(1)
	v_cmp_ne_u32_e32 vcc, 1, v1
	s_and_saveexec_b64 s[2:3], vcc
	s_xor_b64 s[2:3], exec, s[2:3]
	s_cbranch_execz .LBB82_27
; %bb.26:                               ;   in Loop: Header=BB82_25 Depth=1
	v_add_u32_e32 v10, v11, v5
	v_add_u32_e32 v1, s4, v10
	v_lshlrev_b64 v[8:9], 2, v[1:2]
	v_mov_b32_e32 v1, s9
	v_add_co_u32_e32 v8, vcc, s8, v8
	v_addc_co_u32_e32 v9, vcc, v1, v9, vcc
	v_add_u32_e32 v1, s5, v10
	v_lshlrev_b64 v[12:13], 2, v[1:2]
	v_add_u32_e32 v1, s6, v10
	v_lshlrev_b64 v[14:15], 2, v[1:2]
	;; [unrolled: 2-line block ×4, first 2 shown]
	v_mov_b32_e32 v1, s9
	v_add_co_u32_e32 v18, vcc, s8, v18
	v_addc_co_u32_e32 v19, vcc, v1, v19, vcc
	global_load_dword v10, v[8:9], off
	global_load_dword v20, v[18:19], off
	v_add_co_u32_e32 v8, vcc, s8, v12
	v_addc_co_u32_e32 v9, vcc, v1, v13, vcc
	v_mov_b32_e32 v21, s9
	v_add_co_u32_e32 v12, vcc, s8, v14
	v_addc_co_u32_e32 v13, vcc, v21, v15, vcc
	v_mov_b32_e32 v22, s9
	v_add_co_u32_e32 v14, vcc, s8, v16
	v_add_u32_e32 v1, s5, v3
	v_addc_co_u32_e32 v15, vcc, v22, v17, vcc
	global_load_dword v16, v[8:9], off
	global_load_dword v17, v[12:13], off
	;; [unrolled: 1-line block ×3, first 2 shown]
	v_lshlrev_b64 v[8:9], 2, v[1:2]
	v_mov_b32_e32 v12, s9
	v_add_co_u32_e32 v8, vcc, s8, v8
	v_addc_co_u32_e32 v9, vcc, v12, v9, vcc
	v_mov_b32_e32 v15, s9
	s_waitcnt vmcnt(3)
	v_fma_f32 v1, -v4, v10, v20
	global_store_dword v[18:19], v1, off
	global_load_dword v14, v[8:9], off
	v_add_u32_e32 v1, s6, v3
	v_lshlrev_b64 v[12:13], 2, v[1:2]
	v_add_co_u32_e32 v12, vcc, s8, v12
	v_addc_co_u32_e32 v13, vcc, v15, v13, vcc
	s_waitcnt vmcnt(0)
	v_fma_f32 v1, -v4, v16, v14
	global_store_dword v[8:9], v1, off
	global_load_dword v14, v[12:13], off
	v_add_u32_e32 v1, s7, v3
	v_lshlrev_b64 v[8:9], 2, v[1:2]
	v_add_co_u32_e32 v8, vcc, s8, v8
	v_addc_co_u32_e32 v9, vcc, v15, v9, vcc
	s_waitcnt vmcnt(0)
	v_fma_f32 v1, -v4, v17, v14
	global_store_dword v[12:13], v1, off
	global_load_dword v3, v[8:9], off
	v_subrev_u32_e32 v1, s22, v5
	v_add_u32_e32 v12, v1, v0
	v_ashrrev_i32_e32 v13, 31, v12
	v_lshlrev_b64 v[13:14], 2, v[12:13]
	v_add_u32_e32 v1, s4, v12
	v_add_co_u32_e32 v13, vcc, s10, v13
	v_addc_co_u32_e32 v14, vcc, v7, v14, vcc
	global_load_dword v18, v[13:14], off
	v_lshlrev_b64 v[13:14], 2, v[1:2]
	v_add_co_u32_e32 v13, vcc, s8, v13
	v_addc_co_u32_e32 v14, vcc, v15, v14, vcc
	s_waitcnt vmcnt(1)
	v_fma_f32 v1, -v4, v21, v3
	global_store_dword v[8:9], v1, off
	global_load_dword v8, v[13:14], off
	v_add_u32_e32 v1, s5, v12
	v_lshlrev_b64 v[3:4], 2, v[1:2]
	v_mov_b32_e32 v9, s9
	v_add_co_u32_e32 v3, vcc, s8, v3
	v_addc_co_u32_e32 v4, vcc, v9, v4, vcc
	s_waitcnt vmcnt(0)
	v_fma_f32 v1, -v18, v10, v8
	global_store_dword v[13:14], v1, off
	global_load_dword v10, v[3:4], off
	v_add_u32_e32 v1, s6, v12
	v_lshlrev_b64 v[8:9], 2, v[1:2]
	v_mov_b32_e32 v13, s9
	v_add_co_u32_e32 v8, vcc, s8, v8
	v_addc_co_u32_e32 v9, vcc, v13, v9, vcc
	s_waitcnt vmcnt(0)
	v_fma_f32 v1, -v18, v16, v10
	global_store_dword v[3:4], v1, off
	global_load_dword v10, v[8:9], off
	v_add_u32_e32 v1, s7, v12
	v_lshlrev_b64 v[3:4], 2, v[1:2]
	v_add_co_u32_e32 v3, vcc, s8, v3
	v_addc_co_u32_e32 v4, vcc, v13, v4, vcc
	s_waitcnt vmcnt(0)
	v_fma_f32 v1, -v18, v17, v10
	global_store_dword v[8:9], v1, off
	global_load_dword v1, v[3:4], off
	s_waitcnt vmcnt(0)
	v_fma_f32 v1, -v18, v21, v1
	global_store_dword v[3:4], v1, off
                                        ; implicit-def: $vgpr3
                                        ; implicit-def: $vgpr4
.LBB82_27:                              ;   in Loop: Header=BB82_25 Depth=1
	s_or_saveexec_b64 s[2:3], s[2:3]
	v_mov_b32_e32 v1, s12
	s_xor_b64 exec, exec, s[2:3]
	s_cbranch_execz .LBB82_24
; %bb.28:                               ;   in Loop: Header=BB82_25 Depth=1
	v_add_u32_e32 v10, v11, v5
	v_add_u32_e32 v1, s4, v10
	v_lshlrev_b64 v[8:9], 2, v[1:2]
	v_mov_b32_e32 v1, s9
	v_add_co_u32_e32 v8, vcc, s8, v8
	v_addc_co_u32_e32 v9, vcc, v1, v9, vcc
	v_add_u32_e32 v1, s4, v3
	v_lshlrev_b64 v[12:13], 2, v[1:2]
	v_mov_b32_e32 v1, s9
	v_add_co_u32_e32 v12, vcc, s8, v12
	v_addc_co_u32_e32 v13, vcc, v1, v13, vcc
	global_load_dword v16, v[8:9], off
	global_load_dword v17, v[12:13], off
	v_add_u32_e32 v1, s5, v10
	v_lshlrev_b64 v[8:9], 2, v[1:2]
	v_add_u32_e32 v1, s5, v3
	v_mov_b32_e32 v18, s9
	v_lshlrev_b64 v[14:15], 2, v[1:2]
	v_add_co_u32_e32 v8, vcc, s8, v8
	v_addc_co_u32_e32 v9, vcc, v18, v9, vcc
	v_mov_b32_e32 v19, s9
	v_add_co_u32_e32 v14, vcc, s8, v14
	v_addc_co_u32_e32 v15, vcc, v19, v15, vcc
	s_waitcnt vmcnt(0)
	v_fma_f32 v1, -v4, v16, v17
	global_store_dword v[12:13], v1, off
	global_load_dword v16, v[8:9], off
	global_load_dword v17, v[14:15], off
	v_add_u32_e32 v1, s6, v10
	v_lshlrev_b64 v[8:9], 2, v[1:2]
	v_add_u32_e32 v1, s6, v3
	v_lshlrev_b64 v[12:13], 2, v[1:2]
	v_add_co_u32_e32 v8, vcc, s8, v8
	v_addc_co_u32_e32 v9, vcc, v18, v9, vcc
	v_add_co_u32_e32 v12, vcc, s8, v12
	v_addc_co_u32_e32 v13, vcc, v19, v13, vcc
	s_waitcnt vmcnt(0)
	v_fma_f32 v1, -v4, v16, v17
	global_store_dword v[14:15], v1, off
	global_load_dword v16, v[8:9], off
	global_load_dword v17, v[12:13], off
	v_add_u32_e32 v1, s7, v10
	v_lshlrev_b64 v[8:9], 2, v[1:2]
	v_add_u32_e32 v1, s7, v3
	v_lshlrev_b64 v[14:15], 2, v[1:2]
	v_add_co_u32_e32 v8, vcc, s8, v8
	v_addc_co_u32_e32 v9, vcc, v18, v9, vcc
	v_add_co_u32_e32 v14, vcc, s8, v14
	v_addc_co_u32_e32 v15, vcc, v19, v15, vcc
	s_waitcnt vmcnt(0)
	v_fma_f32 v1, -v4, v16, v17
	global_store_dword v[12:13], v1, off
	global_load_dword v1, v[8:9], off
	s_nop 0
	global_load_dword v3, v[14:15], off
	s_waitcnt vmcnt(0)
	v_fma_f32 v1, -v4, v1, v3
	global_store_dword v[14:15], v1, off
	v_mov_b32_e32 v1, s22
	s_branch .LBB82_24
.LBB82_29:
	s_endpgm
	.section	.rodata,"a",@progbits
	.p2align	6, 0x0
	.amdhsa_kernel _ZN9rocsparseL19gtsv_LBM_rhs_kernelILj256ELj256ELj4EfEEviiiPKT2_S3_S3_PS1_S3_PKi
		.amdhsa_group_segment_fixed_size 0
		.amdhsa_private_segment_fixed_size 0
		.amdhsa_kernarg_size 64
		.amdhsa_user_sgpr_count 6
		.amdhsa_user_sgpr_private_segment_buffer 1
		.amdhsa_user_sgpr_dispatch_ptr 0
		.amdhsa_user_sgpr_queue_ptr 0
		.amdhsa_user_sgpr_kernarg_segment_ptr 1
		.amdhsa_user_sgpr_dispatch_id 0
		.amdhsa_user_sgpr_flat_scratch_init 0
		.amdhsa_user_sgpr_private_segment_size 0
		.amdhsa_uses_dynamic_stack 0
		.amdhsa_system_sgpr_private_segment_wavefront_offset 0
		.amdhsa_system_sgpr_workgroup_id_x 1
		.amdhsa_system_sgpr_workgroup_id_y 1
		.amdhsa_system_sgpr_workgroup_id_z 0
		.amdhsa_system_sgpr_workgroup_info 0
		.amdhsa_system_vgpr_workitem_id 0
		.amdhsa_next_free_vgpr 38
		.amdhsa_next_free_sgpr 32
		.amdhsa_reserve_vcc 1
		.amdhsa_reserve_flat_scratch 0
		.amdhsa_float_round_mode_32 0
		.amdhsa_float_round_mode_16_64 0
		.amdhsa_float_denorm_mode_32 3
		.amdhsa_float_denorm_mode_16_64 3
		.amdhsa_dx10_clamp 1
		.amdhsa_ieee_mode 1
		.amdhsa_fp16_overflow 0
		.amdhsa_exception_fp_ieee_invalid_op 0
		.amdhsa_exception_fp_denorm_src 0
		.amdhsa_exception_fp_ieee_div_zero 0
		.amdhsa_exception_fp_ieee_overflow 0
		.amdhsa_exception_fp_ieee_underflow 0
		.amdhsa_exception_fp_ieee_inexact 0
		.amdhsa_exception_int_div_zero 0
	.end_amdhsa_kernel
	.section	.text._ZN9rocsparseL19gtsv_LBM_rhs_kernelILj256ELj256ELj4EfEEviiiPKT2_S3_S3_PS1_S3_PKi,"axG",@progbits,_ZN9rocsparseL19gtsv_LBM_rhs_kernelILj256ELj256ELj4EfEEviiiPKT2_S3_S3_PS1_S3_PKi,comdat
.Lfunc_end82:
	.size	_ZN9rocsparseL19gtsv_LBM_rhs_kernelILj256ELj256ELj4EfEEviiiPKT2_S3_S3_PS1_S3_PKi, .Lfunc_end82-_ZN9rocsparseL19gtsv_LBM_rhs_kernelILj256ELj256ELj4EfEEviiiPKT2_S3_S3_PS1_S3_PKi
                                        ; -- End function
	.set _ZN9rocsparseL19gtsv_LBM_rhs_kernelILj256ELj256ELj4EfEEviiiPKT2_S3_S3_PS1_S3_PKi.num_vgpr, 38
	.set _ZN9rocsparseL19gtsv_LBM_rhs_kernelILj256ELj256ELj4EfEEviiiPKT2_S3_S3_PS1_S3_PKi.num_agpr, 0
	.set _ZN9rocsparseL19gtsv_LBM_rhs_kernelILj256ELj256ELj4EfEEviiiPKT2_S3_S3_PS1_S3_PKi.numbered_sgpr, 32
	.set _ZN9rocsparseL19gtsv_LBM_rhs_kernelILj256ELj256ELj4EfEEviiiPKT2_S3_S3_PS1_S3_PKi.num_named_barrier, 0
	.set _ZN9rocsparseL19gtsv_LBM_rhs_kernelILj256ELj256ELj4EfEEviiiPKT2_S3_S3_PS1_S3_PKi.private_seg_size, 0
	.set _ZN9rocsparseL19gtsv_LBM_rhs_kernelILj256ELj256ELj4EfEEviiiPKT2_S3_S3_PS1_S3_PKi.uses_vcc, 1
	.set _ZN9rocsparseL19gtsv_LBM_rhs_kernelILj256ELj256ELj4EfEEviiiPKT2_S3_S3_PS1_S3_PKi.uses_flat_scratch, 0
	.set _ZN9rocsparseL19gtsv_LBM_rhs_kernelILj256ELj256ELj4EfEEviiiPKT2_S3_S3_PS1_S3_PKi.has_dyn_sized_stack, 0
	.set _ZN9rocsparseL19gtsv_LBM_rhs_kernelILj256ELj256ELj4EfEEviiiPKT2_S3_S3_PS1_S3_PKi.has_recursion, 0
	.set _ZN9rocsparseL19gtsv_LBM_rhs_kernelILj256ELj256ELj4EfEEviiiPKT2_S3_S3_PS1_S3_PKi.has_indirect_call, 0
	.section	.AMDGPU.csdata,"",@progbits
; Kernel info:
; codeLenInByte = 2896
; TotalNumSgprs: 36
; NumVgprs: 38
; ScratchSize: 0
; MemoryBound: 0
; FloatMode: 240
; IeeeMode: 1
; LDSByteSize: 0 bytes/workgroup (compile time only)
; SGPRBlocks: 4
; VGPRBlocks: 9
; NumSGPRsForWavesPerEU: 36
; NumVGPRsForWavesPerEU: 38
; Occupancy: 6
; WaveLimiterHint : 0
; COMPUTE_PGM_RSRC2:SCRATCH_EN: 0
; COMPUTE_PGM_RSRC2:USER_SGPR: 6
; COMPUTE_PGM_RSRC2:TRAP_HANDLER: 0
; COMPUTE_PGM_RSRC2:TGID_X_EN: 1
; COMPUTE_PGM_RSRC2:TGID_Y_EN: 1
; COMPUTE_PGM_RSRC2:TGID_Z_EN: 0
; COMPUTE_PGM_RSRC2:TIDIG_COMP_CNT: 0
	.section	.text._ZN9rocsparseL19gtsv_LBM_rhs_kernelILj256ELj256ELj2EfEEviiiPKT2_S3_S3_PS1_S3_PKi,"axG",@progbits,_ZN9rocsparseL19gtsv_LBM_rhs_kernelILj256ELj256ELj2EfEEviiiPKT2_S3_S3_PS1_S3_PKi,comdat
	.globl	_ZN9rocsparseL19gtsv_LBM_rhs_kernelILj256ELj256ELj2EfEEviiiPKT2_S3_S3_PS1_S3_PKi ; -- Begin function _ZN9rocsparseL19gtsv_LBM_rhs_kernelILj256ELj256ELj2EfEEviiiPKT2_S3_S3_PS1_S3_PKi
	.p2align	8
	.type	_ZN9rocsparseL19gtsv_LBM_rhs_kernelILj256ELj256ELj2EfEEviiiPKT2_S3_S3_PS1_S3_PKi,@function
_ZN9rocsparseL19gtsv_LBM_rhs_kernelILj256ELj256ELj2EfEEviiiPKT2_S3_S3_PS1_S3_PKi: ; @_ZN9rocsparseL19gtsv_LBM_rhs_kernelILj256ELj256ELj2EfEEviiiPKT2_S3_S3_PS1_S3_PKi
; %bb.0:
	s_load_dword s23, s[4:5], 0x0
	v_lshl_or_b32 v0, s6, 8, v0
	s_waitcnt lgkmcnt(0)
	s_lshr_b32 s22, s23, 8
	v_cmp_gt_i32_e32 vcc, s22, v0
	s_and_saveexec_b64 s[0:1], vcc
	s_cbranch_execz .LBB83_29
; %bb.1:
	s_load_dwordx4 s[8:11], s[4:5], 0x28
	s_load_dwordx2 s[16:17], s[4:5], 0x38
	s_cmp_lt_i32 s23, 1
	v_add_u32_e32 v7, s22, v0
	s_mul_i32 s24, s7, s23
	s_cbranch_scc1 .LBB83_21
; %bb.2:
	s_load_dwordx4 s[12:15], s[4:5], 0x10
	s_load_dwordx2 s[6:7], s[4:5], 0x20
	v_ashrrev_i32_e32 v1, 31, v0
	v_lshlrev_b64 v[1:2], 2, v[0:1]
	s_lshl_b32 s28, s24, 1
	s_waitcnt lgkmcnt(0)
	v_mov_b32_e32 v3, s15
	v_add_co_u32_e32 v1, vcc, s14, v1
	v_addc_co_u32_e32 v2, vcc, v3, v2, vcc
	global_load_dword v11, v[1:2], off
	s_mul_i32 s25, s22, 0xff
	s_mul_i32 s26, s22, 0xfe
	s_lshl_b32 s27, s22, 1
	v_add_u32_e32 v9, s22, v7
	s_add_i32 s29, s28, s23
	v_mov_b32_e32 v2, 0
	s_mov_b64 s[18:19], 0
	v_mov_b32_e32 v10, s7
	v_mov_b32_e32 v8, 0
	s_branch .LBB83_5
.LBB83_3:                               ;   in Loop: Header=BB83_5 Depth=1
	s_or_b64 exec, exec, s[4:5]
	v_fma_f32 v11, -v11, v18, v14
	v_mov_b32_e32 v1, s22
.LBB83_4:                               ;   in Loop: Header=BB83_5 Depth=1
	s_or_b64 exec, exec, s[2:3]
	v_add_u32_e32 v8, v1, v8
	v_cmp_le_i32_e32 vcc, s23, v8
	s_or_b64 s[18:19], vcc, s[18:19]
	s_andn2_b64 exec, exec, s[18:19]
	s_cbranch_execz .LBB83_20
.LBB83_5:                               ; =>This Inner Loop Header: Depth=1
	v_add_u32_e32 v3, v8, v0
	v_ashrrev_i32_e32 v4, 31, v3
	v_lshlrev_b64 v[4:5], 2, v[3:4]
	v_cmp_gt_u32_e64 s[0:1], s25, v8
	v_add_co_u32_e32 v12, vcc, s6, v4
	v_addc_co_u32_e32 v13, vcc, v10, v5, vcc
	global_load_dword v16, v[12:13], off
	v_mov_b32_e32 v12, 0
	s_and_saveexec_b64 s[2:3], s[0:1]
	s_cbranch_execz .LBB83_7
; %bb.6:                                ;   in Loop: Header=BB83_5 Depth=1
	v_add_u32_e32 v12, v7, v8
	v_ashrrev_i32_e32 v13, 31, v12
	v_lshlrev_b64 v[12:13], 2, v[12:13]
	v_mov_b32_e32 v1, s13
	v_add_co_u32_e32 v12, vcc, s12, v12
	v_addc_co_u32_e32 v13, vcc, v1, v13, vcc
	global_load_dword v12, v[12:13], off
.LBB83_7:                               ;   in Loop: Header=BB83_5 Depth=1
	s_or_b64 exec, exec, s[2:3]
	v_mov_b32_e32 v13, 0
	v_mov_b32_e32 v14, 0
	s_and_saveexec_b64 s[2:3], s[0:1]
	s_cbranch_execz .LBB83_9
; %bb.8:                                ;   in Loop: Header=BB83_5 Depth=1
	v_add_u32_e32 v14, v7, v8
	v_ashrrev_i32_e32 v15, 31, v14
	v_lshlrev_b64 v[14:15], 2, v[14:15]
	v_mov_b32_e32 v1, s15
	v_add_co_u32_e32 v14, vcc, s14, v14
	v_addc_co_u32_e32 v15, vcc, v1, v15, vcc
	global_load_dword v14, v[14:15], off
.LBB83_9:                               ;   in Loop: Header=BB83_5 Depth=1
	s_or_b64 exec, exec, s[2:3]
	s_and_saveexec_b64 s[2:3], s[0:1]
	s_cbranch_execz .LBB83_11
; %bb.10:                               ;   in Loop: Header=BB83_5 Depth=1
	s_waitcnt vmcnt(1)
	v_add_u32_e32 v17, v7, v8
	v_ashrrev_i32_e32 v18, 31, v17
	v_lshlrev_b64 v[17:18], 2, v[17:18]
	v_mov_b32_e32 v1, s7
	v_add_co_u32_e32 v17, vcc, s6, v17
	v_addc_co_u32_e32 v18, vcc, v1, v18, vcc
	global_load_dword v13, v[17:18], off
.LBB83_11:                              ;   in Loop: Header=BB83_5 Depth=1
	s_or_b64 exec, exec, s[2:3]
	v_cmp_gt_u32_e64 s[2:3], s26, v8
	v_mov_b32_e32 v15, 0
	s_and_saveexec_b64 s[4:5], s[2:3]
	s_cbranch_execz .LBB83_13
; %bb.12:                               ;   in Loop: Header=BB83_5 Depth=1
	s_waitcnt vmcnt(1)
	v_add_u32_e32 v17, v9, v8
	v_ashrrev_i32_e32 v18, 31, v17
	v_lshlrev_b64 v[17:18], 2, v[17:18]
	v_mov_b32_e32 v1, s13
	v_add_co_u32_e32 v17, vcc, s12, v17
	v_addc_co_u32_e32 v18, vcc, v1, v18, vcc
	global_load_dword v15, v[17:18], off
.LBB83_13:                              ;   in Loop: Header=BB83_5 Depth=1
	s_or_b64 exec, exec, s[4:5]
	v_mov_b32_e32 v1, s17
	v_add_co_u32_e32 v4, vcc, s16, v4
	v_addc_co_u32_e32 v5, vcc, v1, v5, vcc
	v_add_u32_e32 v1, s28, v3
	global_load_dword v18, v[4:5], off
	v_lshlrev_b64 v[5:6], 2, v[1:2]
	v_add_u32_e32 v1, s29, v3
	s_waitcnt vmcnt(2)
	v_mov_b32_e32 v17, s9
	v_add_co_u32_e32 v5, vcc, s8, v5
	v_lshlrev_b64 v[3:4], 2, v[1:2]
	v_addc_co_u32_e32 v6, vcc, v17, v6, vcc
	v_add_co_u32_e32 v3, vcc, s8, v3
	v_addc_co_u32_e32 v4, vcc, v17, v4, vcc
	global_load_dword v19, v[5:6], off
	global_load_dword v17, v[3:4], off
	v_cmp_ne_u32_e64 s[4:5], s25, v8
	s_waitcnt vmcnt(2)
	v_cmp_ne_u32_e32 vcc, 1, v18
	s_and_b64 s[4:5], s[4:5], vcc
	v_mul_f32_e32 v18, v16, v12
	s_and_saveexec_b64 s[20:21], s[4:5]
	s_xor_b64 s[4:5], exec, s[20:21]
	s_cbranch_execz .LBB83_17
; %bb.14:                               ;   in Loop: Header=BB83_5 Depth=1
	v_add_u32_e32 v24, v7, v8
	v_add_u32_e32 v1, s28, v24
	v_lshlrev_b64 v[20:21], 2, v[1:2]
	v_mov_b32_e32 v25, s9
	v_add_co_u32_e32 v22, vcc, s8, v20
	v_add_u32_e32 v1, s29, v24
	v_addc_co_u32_e32 v23, vcc, v25, v21, vcc
	v_lshlrev_b64 v[20:21], 2, v[1:2]
	v_fma_f32 v1, v11, v14, -v18
	v_div_scale_f32 v18, s[20:21], v1, v1, 1.0
	v_add_co_u32_e32 v24, vcc, s8, v20
	v_addc_co_u32_e32 v25, vcc, v25, v21, vcc
	v_rcp_f32_e32 v20, v18
	v_fma_f32 v21, -v18, v20, 1.0
	v_fmac_f32_e32 v20, v21, v20
	v_div_scale_f32 v21, vcc, 1.0, v1, 1.0
	v_mul_f32_e32 v26, v21, v20
	v_fma_f32 v27, -v18, v26, v21
	v_fmac_f32_e32 v26, v27, v20
	v_fma_f32 v18, -v18, v26, v21
	v_div_fmas_f32 v18, v18, v20, v26
	global_load_dword v21, v[24:25], off
	v_div_fixup_f32 v18, v18, v1, 1.0
	global_load_dword v1, v[22:23], off
	s_waitcnt vmcnt(3)
	v_mul_f32_e32 v19, v18, v19
	s_waitcnt vmcnt(0)
	v_mul_f32_e32 v20, v18, v1
	v_mul_f32_e32 v1, v16, v20
	v_fma_f32 v1, v14, v19, -v1
	global_store_dword v[5:6], v1, off
	v_mul_f32_e32 v6, v18, v21
	v_mul_f32_e32 v5, v18, v17
	;; [unrolled: 1-line block ×3, first 2 shown]
	v_fma_f32 v1, v14, v5, -v1
	global_store_dword v[3:4], v1, off
	v_mul_f32_e32 v1, v12, v19
	v_fma_f32 v1, v11, v20, -v1
	global_store_dword v[22:23], v1, off
	v_mul_f32_e32 v1, v12, v5
	v_fma_f32 v1, v11, v6, -v1
	global_store_dword v[24:25], v1, off
	v_mov_b32_e32 v1, 0
	s_and_saveexec_b64 s[20:21], s[2:3]
	s_cbranch_execz .LBB83_16
; %bb.15:                               ;   in Loop: Header=BB83_5 Depth=1
	v_add_u32_e32 v3, v9, v8
	v_add_u32_e32 v1, s28, v3
	v_lshlrev_b64 v[16:17], 2, v[1:2]
	v_add_u32_e32 v1, s29, v3
	v_mov_b32_e32 v4, s9
	v_add_co_u32_e32 v16, vcc, s8, v16
	v_lshlrev_b64 v[21:22], 2, v[1:2]
	v_addc_co_u32_e32 v17, vcc, v4, v17, vcc
	v_add_co_u32_e32 v21, vcc, s8, v21
	v_addc_co_u32_e32 v22, vcc, v4, v22, vcc
	v_ashrrev_i32_e32 v4, 31, v3
	v_lshlrev_b64 v[3:4], 2, v[3:4]
	v_mov_b32_e32 v23, s15
	v_add_co_u32_e32 v3, vcc, s14, v3
	global_load_dword v1, v[16:17], off
	global_load_dword v14, v[21:22], off
	v_addc_co_u32_e32 v4, vcc, v23, v4, vcc
	global_load_dword v3, v[3:4], off
	v_mul_f32_e32 v11, v11, v15
	v_mul_f32_e32 v4, v12, v15
	;; [unrolled: 1-line block ×4, first 2 shown]
	v_fma_f32 v12, v4, v19, -v12
	v_fma_f32 v4, v4, v5, -v6
	v_mul_f32_e32 v11, v13, v11
	s_waitcnt vmcnt(2)
	v_add_f32_e32 v1, v12, v1
	global_store_dword v[16:17], v1, off
	s_waitcnt vmcnt(2)
	v_add_f32_e32 v1, v4, v14
	global_store_dword v[21:22], v1, off
	s_waitcnt vmcnt(2)
	v_fma_f32 v1, -v18, v11, v3
.LBB83_16:                              ;   in Loop: Header=BB83_5 Depth=1
	s_or_b64 exec, exec, s[20:21]
	v_mov_b32_e32 v11, v1
                                        ; implicit-def: $vgpr18
                                        ; implicit-def: $vgpr14
                                        ; implicit-def: $vgpr19
                                        ; implicit-def: $vgpr17
                                        ; implicit-def: $vgpr5_vgpr6
                                        ; implicit-def: $vgpr3_vgpr4
                                        ; implicit-def: $vgpr12
.LBB83_17:                              ;   in Loop: Header=BB83_5 Depth=1
	s_or_saveexec_b64 s[2:3], s[4:5]
	v_mov_b32_e32 v1, s27
	s_xor_b64 exec, exec, s[2:3]
	s_cbranch_execz .LBB83_4
; %bb.18:                               ;   in Loop: Header=BB83_5 Depth=1
	v_div_scale_f32 v1, s[4:5], v11, v11, 1.0
	v_div_scale_f32 v13, vcc, 1.0, v11, 1.0
	v_rcp_f32_e32 v15, v1
	v_fma_f32 v16, -v1, v15, 1.0
	v_fmac_f32_e32 v15, v16, v15
	v_mul_f32_e32 v16, v13, v15
	v_fma_f32 v20, -v1, v16, v13
	v_fmac_f32_e32 v16, v20, v15
	v_fma_f32 v1, -v1, v16, v13
	v_div_fmas_f32 v1, v1, v15, v16
	v_div_fixup_f32 v11, v1, v11, 1.0
	s_waitcnt vmcnt(1)
	v_mul_f32_e32 v15, v11, v19
	s_waitcnt vmcnt(0)
	v_mul_f32_e32 v13, v11, v17
	global_store_dword v[5:6], v15, off
	global_store_dword v[3:4], v13, off
	s_and_saveexec_b64 s[4:5], s[0:1]
	s_cbranch_execz .LBB83_3
; %bb.19:                               ;   in Loop: Header=BB83_5 Depth=1
	v_add_u32_e32 v5, v7, v8
	v_add_u32_e32 v1, s28, v5
	v_lshlrev_b64 v[3:4], 2, v[1:2]
	v_add_u32_e32 v1, s29, v5
	v_mov_b32_e32 v16, s9
	v_add_co_u32_e32 v3, vcc, s8, v3
	v_lshlrev_b64 v[5:6], 2, v[1:2]
	v_addc_co_u32_e32 v4, vcc, v16, v4, vcc
	v_add_co_u32_e32 v5, vcc, s8, v5
	v_addc_co_u32_e32 v6, vcc, v16, v6, vcc
	global_load_dword v17, v[3:4], off
	global_load_dword v1, v[5:6], off
	s_waitcnt vmcnt(1)
	v_fma_f32 v15, -v12, v15, v17
	s_waitcnt vmcnt(0)
	v_fma_f32 v1, -v12, v13, v1
	global_store_dword v[3:4], v15, off
	global_store_dword v[5:6], v1, off
	s_branch .LBB83_3
.LBB83_20:
	s_or_b64 exec, exec, s[18:19]
	s_branch .LBB83_22
.LBB83_21:
	v_mov_b32_e32 v8, 0
.LBB83_22:
	v_subrev_u32_e32 v3, s22, v8
	v_add_u32_e32 v1, v3, v0
	v_ashrrev_i32_e32 v2, 31, v1
	v_lshlrev_b64 v[1:2], 2, v[1:2]
	s_waitcnt lgkmcnt(0)
	v_mov_b32_e32 v4, s17
	v_add_co_u32_e32 v1, vcc, s16, v1
	v_addc_co_u32_e32 v2, vcc, v4, v2, vcc
	s_waitcnt vmcnt(0)
	buffer_wbinvl1_vol
	global_load_dword v1, v[1:2], off
	s_waitcnt vmcnt(0)
	v_mul_lo_u32 v1, v1, s22
	v_sub_u32_e32 v5, v3, v1
	v_cmp_lt_i32_e32 vcc, -1, v5
	s_and_b64 exec, exec, vcc
	s_cbranch_execz .LBB83_29
; %bb.23:
	s_lshl_b32 s4, s24, 1
	s_add_i32 s5, s4, s23
	s_lshl_b32 s6, s22, 1
	s_mov_b64 s[0:1], 0
	v_mov_b32_e32 v6, s17
	v_mov_b32_e32 v8, s11
	;; [unrolled: 1-line block ×3, first 2 shown]
	s_branch .LBB83_25
.LBB83_24:                              ;   in Loop: Header=BB83_25 Depth=1
	s_or_b64 exec, exec, s[2:3]
	v_sub_u32_e32 v5, v5, v1
	v_cmp_gt_i32_e32 vcc, 0, v5
	s_or_b64 s[0:1], vcc, s[0:1]
	s_andn2_b64 exec, exec, s[0:1]
	s_cbranch_execz .LBB83_29
.LBB83_25:                              ; =>This Inner Loop Header: Depth=1
	v_add_u32_e32 v3, v5, v0
	s_waitcnt vmcnt(0)
	v_ashrrev_i32_e32 v4, 31, v3
	v_lshlrev_b64 v[9:10], 2, v[3:4]
	v_add_co_u32_e32 v11, vcc, s16, v9
	v_addc_co_u32_e32 v12, vcc, v6, v10, vcc
	v_add_co_u32_e32 v9, vcc, s10, v9
	global_load_dword v1, v[11:12], off
	v_addc_co_u32_e32 v10, vcc, v8, v10, vcc
	global_load_dword v4, v[9:10], off
	s_waitcnt vmcnt(1)
	v_cmp_ne_u32_e32 vcc, 1, v1
	s_and_saveexec_b64 s[2:3], vcc
	s_xor_b64 s[2:3], exec, s[2:3]
	s_cbranch_execz .LBB83_27
; %bb.26:                               ;   in Loop: Header=BB83_25 Depth=1
	v_add_u32_e32 v11, v7, v5
	v_add_u32_e32 v1, s4, v11
	v_lshlrev_b64 v[9:10], 2, v[1:2]
	v_mov_b32_e32 v1, s9
	v_add_co_u32_e32 v9, vcc, s8, v9
	v_addc_co_u32_e32 v10, vcc, v1, v10, vcc
	v_add_u32_e32 v1, s5, v11
	v_lshlrev_b64 v[11:12], 2, v[1:2]
	v_add_u32_e32 v1, s4, v3
	v_lshlrev_b64 v[13:14], 2, v[1:2]
	v_mov_b32_e32 v1, s9
	v_add_co_u32_e32 v13, vcc, s8, v13
	v_addc_co_u32_e32 v14, vcc, v1, v14, vcc
	global_load_dword v15, v[9:10], off
	global_load_dword v16, v[13:14], off
	v_add_co_u32_e32 v9, vcc, s8, v11
	v_addc_co_u32_e32 v10, vcc, v1, v12, vcc
	v_add_u32_e32 v1, s5, v3
	global_load_dword v17, v[9:10], off
	v_lshlrev_b64 v[9:10], 2, v[1:2]
	v_mov_b32_e32 v11, s9
	v_add_co_u32_e32 v9, vcc, s8, v9
	v_addc_co_u32_e32 v10, vcc, v11, v10, vcc
	s_waitcnt vmcnt(1)
	v_fma_f32 v1, -v4, v15, v16
	global_store_dword v[13:14], v1, off
	global_load_dword v3, v[9:10], off
	v_subrev_u32_e32 v1, s22, v5
	v_add_u32_e32 v11, v1, v0
	v_ashrrev_i32_e32 v12, 31, v11
	v_lshlrev_b64 v[12:13], 2, v[11:12]
	v_add_u32_e32 v1, s4, v11
	v_add_co_u32_e32 v12, vcc, s10, v12
	v_addc_co_u32_e32 v13, vcc, v8, v13, vcc
	global_load_dword v16, v[12:13], off
	v_lshlrev_b64 v[12:13], 2, v[1:2]
	v_mov_b32_e32 v14, s9
	v_add_co_u32_e32 v12, vcc, s8, v12
	v_addc_co_u32_e32 v13, vcc, v14, v13, vcc
	s_waitcnt vmcnt(1)
	v_fma_f32 v1, -v4, v17, v3
	global_store_dword v[9:10], v1, off
	global_load_dword v9, v[12:13], off
	v_add_u32_e32 v1, s5, v11
	v_lshlrev_b64 v[3:4], 2, v[1:2]
	v_mov_b32_e32 v10, s9
	v_add_co_u32_e32 v3, vcc, s8, v3
	v_addc_co_u32_e32 v4, vcc, v10, v4, vcc
	s_waitcnt vmcnt(0)
	v_fma_f32 v1, -v16, v15, v9
	global_store_dword v[12:13], v1, off
	global_load_dword v1, v[3:4], off
	s_waitcnt vmcnt(0)
	v_fma_f32 v1, -v16, v17, v1
	global_store_dword v[3:4], v1, off
                                        ; implicit-def: $vgpr3
                                        ; implicit-def: $vgpr4
.LBB83_27:                              ;   in Loop: Header=BB83_25 Depth=1
	s_or_saveexec_b64 s[2:3], s[2:3]
	v_mov_b32_e32 v1, s6
	s_xor_b64 exec, exec, s[2:3]
	s_cbranch_execz .LBB83_24
; %bb.28:                               ;   in Loop: Header=BB83_25 Depth=1
	v_add_u32_e32 v13, v7, v5
	v_add_u32_e32 v1, s4, v13
	v_lshlrev_b64 v[9:10], 2, v[1:2]
	v_mov_b32_e32 v1, s9
	v_add_co_u32_e32 v9, vcc, s8, v9
	v_addc_co_u32_e32 v10, vcc, v1, v10, vcc
	v_add_u32_e32 v1, s4, v3
	v_lshlrev_b64 v[11:12], 2, v[1:2]
	v_mov_b32_e32 v1, s9
	v_add_co_u32_e32 v11, vcc, s8, v11
	v_addc_co_u32_e32 v12, vcc, v1, v12, vcc
	global_load_dword v15, v[9:10], off
	global_load_dword v16, v[11:12], off
	v_add_u32_e32 v1, s5, v13
	v_lshlrev_b64 v[9:10], 2, v[1:2]
	v_add_u32_e32 v1, s5, v3
	v_mov_b32_e32 v17, s9
	v_lshlrev_b64 v[13:14], 2, v[1:2]
	v_add_co_u32_e32 v9, vcc, s8, v9
	v_addc_co_u32_e32 v10, vcc, v17, v10, vcc
	v_mov_b32_e32 v18, s9
	v_add_co_u32_e32 v13, vcc, s8, v13
	v_addc_co_u32_e32 v14, vcc, v18, v14, vcc
	s_waitcnt vmcnt(0)
	v_fma_f32 v1, -v4, v15, v16
	global_store_dword v[11:12], v1, off
	global_load_dword v1, v[9:10], off
	s_nop 0
	global_load_dword v3, v[13:14], off
	s_waitcnt vmcnt(0)
	v_fma_f32 v1, -v4, v1, v3
	global_store_dword v[13:14], v1, off
	v_mov_b32_e32 v1, s22
	s_branch .LBB83_24
.LBB83_29:
	s_endpgm
	.section	.rodata,"a",@progbits
	.p2align	6, 0x0
	.amdhsa_kernel _ZN9rocsparseL19gtsv_LBM_rhs_kernelILj256ELj256ELj2EfEEviiiPKT2_S3_S3_PS1_S3_PKi
		.amdhsa_group_segment_fixed_size 0
		.amdhsa_private_segment_fixed_size 0
		.amdhsa_kernarg_size 64
		.amdhsa_user_sgpr_count 6
		.amdhsa_user_sgpr_private_segment_buffer 1
		.amdhsa_user_sgpr_dispatch_ptr 0
		.amdhsa_user_sgpr_queue_ptr 0
		.amdhsa_user_sgpr_kernarg_segment_ptr 1
		.amdhsa_user_sgpr_dispatch_id 0
		.amdhsa_user_sgpr_flat_scratch_init 0
		.amdhsa_user_sgpr_private_segment_size 0
		.amdhsa_uses_dynamic_stack 0
		.amdhsa_system_sgpr_private_segment_wavefront_offset 0
		.amdhsa_system_sgpr_workgroup_id_x 1
		.amdhsa_system_sgpr_workgroup_id_y 1
		.amdhsa_system_sgpr_workgroup_id_z 0
		.amdhsa_system_sgpr_workgroup_info 0
		.amdhsa_system_vgpr_workitem_id 0
		.amdhsa_next_free_vgpr 28
		.amdhsa_next_free_sgpr 30
		.amdhsa_reserve_vcc 1
		.amdhsa_reserve_flat_scratch 0
		.amdhsa_float_round_mode_32 0
		.amdhsa_float_round_mode_16_64 0
		.amdhsa_float_denorm_mode_32 3
		.amdhsa_float_denorm_mode_16_64 3
		.amdhsa_dx10_clamp 1
		.amdhsa_ieee_mode 1
		.amdhsa_fp16_overflow 0
		.amdhsa_exception_fp_ieee_invalid_op 0
		.amdhsa_exception_fp_denorm_src 0
		.amdhsa_exception_fp_ieee_div_zero 0
		.amdhsa_exception_fp_ieee_overflow 0
		.amdhsa_exception_fp_ieee_underflow 0
		.amdhsa_exception_fp_ieee_inexact 0
		.amdhsa_exception_int_div_zero 0
	.end_amdhsa_kernel
	.section	.text._ZN9rocsparseL19gtsv_LBM_rhs_kernelILj256ELj256ELj2EfEEviiiPKT2_S3_S3_PS1_S3_PKi,"axG",@progbits,_ZN9rocsparseL19gtsv_LBM_rhs_kernelILj256ELj256ELj2EfEEviiiPKT2_S3_S3_PS1_S3_PKi,comdat
.Lfunc_end83:
	.size	_ZN9rocsparseL19gtsv_LBM_rhs_kernelILj256ELj256ELj2EfEEviiiPKT2_S3_S3_PS1_S3_PKi, .Lfunc_end83-_ZN9rocsparseL19gtsv_LBM_rhs_kernelILj256ELj256ELj2EfEEviiiPKT2_S3_S3_PS1_S3_PKi
                                        ; -- End function
	.set _ZN9rocsparseL19gtsv_LBM_rhs_kernelILj256ELj256ELj2EfEEviiiPKT2_S3_S3_PS1_S3_PKi.num_vgpr, 28
	.set _ZN9rocsparseL19gtsv_LBM_rhs_kernelILj256ELj256ELj2EfEEviiiPKT2_S3_S3_PS1_S3_PKi.num_agpr, 0
	.set _ZN9rocsparseL19gtsv_LBM_rhs_kernelILj256ELj256ELj2EfEEviiiPKT2_S3_S3_PS1_S3_PKi.numbered_sgpr, 30
	.set _ZN9rocsparseL19gtsv_LBM_rhs_kernelILj256ELj256ELj2EfEEviiiPKT2_S3_S3_PS1_S3_PKi.num_named_barrier, 0
	.set _ZN9rocsparseL19gtsv_LBM_rhs_kernelILj256ELj256ELj2EfEEviiiPKT2_S3_S3_PS1_S3_PKi.private_seg_size, 0
	.set _ZN9rocsparseL19gtsv_LBM_rhs_kernelILj256ELj256ELj2EfEEviiiPKT2_S3_S3_PS1_S3_PKi.uses_vcc, 1
	.set _ZN9rocsparseL19gtsv_LBM_rhs_kernelILj256ELj256ELj2EfEEviiiPKT2_S3_S3_PS1_S3_PKi.uses_flat_scratch, 0
	.set _ZN9rocsparseL19gtsv_LBM_rhs_kernelILj256ELj256ELj2EfEEviiiPKT2_S3_S3_PS1_S3_PKi.has_dyn_sized_stack, 0
	.set _ZN9rocsparseL19gtsv_LBM_rhs_kernelILj256ELj256ELj2EfEEviiiPKT2_S3_S3_PS1_S3_PKi.has_recursion, 0
	.set _ZN9rocsparseL19gtsv_LBM_rhs_kernelILj256ELj256ELj2EfEEviiiPKT2_S3_S3_PS1_S3_PKi.has_indirect_call, 0
	.section	.AMDGPU.csdata,"",@progbits
; Kernel info:
; codeLenInByte = 2012
; TotalNumSgprs: 34
; NumVgprs: 28
; ScratchSize: 0
; MemoryBound: 0
; FloatMode: 240
; IeeeMode: 1
; LDSByteSize: 0 bytes/workgroup (compile time only)
; SGPRBlocks: 4
; VGPRBlocks: 6
; NumSGPRsForWavesPerEU: 34
; NumVGPRsForWavesPerEU: 28
; Occupancy: 9
; WaveLimiterHint : 0
; COMPUTE_PGM_RSRC2:SCRATCH_EN: 0
; COMPUTE_PGM_RSRC2:USER_SGPR: 6
; COMPUTE_PGM_RSRC2:TRAP_HANDLER: 0
; COMPUTE_PGM_RSRC2:TGID_X_EN: 1
; COMPUTE_PGM_RSRC2:TGID_Y_EN: 1
; COMPUTE_PGM_RSRC2:TGID_Z_EN: 0
; COMPUTE_PGM_RSRC2:TIDIG_COMP_CNT: 0
	.section	.text._ZN9rocsparseL19gtsv_LBM_rhs_kernelILj256ELj256ELj1EfEEviiiPKT2_S3_S3_PS1_S3_PKi,"axG",@progbits,_ZN9rocsparseL19gtsv_LBM_rhs_kernelILj256ELj256ELj1EfEEviiiPKT2_S3_S3_PS1_S3_PKi,comdat
	.globl	_ZN9rocsparseL19gtsv_LBM_rhs_kernelILj256ELj256ELj1EfEEviiiPKT2_S3_S3_PS1_S3_PKi ; -- Begin function _ZN9rocsparseL19gtsv_LBM_rhs_kernelILj256ELj256ELj1EfEEviiiPKT2_S3_S3_PS1_S3_PKi
	.p2align	8
	.type	_ZN9rocsparseL19gtsv_LBM_rhs_kernelILj256ELj256ELj1EfEEviiiPKT2_S3_S3_PS1_S3_PKi,@function
_ZN9rocsparseL19gtsv_LBM_rhs_kernelILj256ELj256ELj1EfEEviiiPKT2_S3_S3_PS1_S3_PKi: ; @_ZN9rocsparseL19gtsv_LBM_rhs_kernelILj256ELj256ELj1EfEEviiiPKT2_S3_S3_PS1_S3_PKi
; %bb.0:
	s_load_dword s24, s[4:5], 0x0
	v_lshl_or_b32 v0, s6, 8, v0
	s_waitcnt lgkmcnt(0)
	s_lshr_b32 s22, s24, 8
	v_cmp_gt_i32_e32 vcc, s22, v0
	s_and_saveexec_b64 s[0:1], vcc
	s_cbranch_execz .LBB84_29
; %bb.1:
	s_load_dwordx4 s[8:11], s[4:5], 0x28
	s_load_dwordx2 s[16:17], s[4:5], 0x38
	s_cmp_lt_i32 s24, 1
	s_mul_i32 s23, s24, s7
	s_cbranch_scc1 .LBB84_21
; %bb.2:
	s_load_dwordx4 s[12:15], s[4:5], 0x10
	s_load_dwordx2 s[6:7], s[4:5], 0x20
	v_ashrrev_i32_e32 v1, 31, v0
	v_lshlrev_b64 v[1:2], 2, v[0:1]
	v_add_u32_e32 v9, s22, v0
	s_waitcnt lgkmcnt(0)
	v_mov_b32_e32 v3, s15
	v_add_co_u32_e32 v1, vcc, s14, v1
	v_addc_co_u32_e32 v2, vcc, v3, v2, vcc
	global_load_dword v13, v[1:2], off
	s_mul_i32 s25, s22, 0xff
	s_mul_i32 s26, s22, 0xfe
	s_lshl_b32 s27, s22, 1
	v_add_u32_e32 v10, s22, v9
	v_add_u32_e32 v11, s23, v9
	v_mov_b32_e32 v2, 0
	s_mov_b64 s[18:19], 0
	v_mov_b32_e32 v12, s7
	v_mov_b32_e32 v8, 0
	s_branch .LBB84_5
.LBB84_3:                               ;   in Loop: Header=BB84_5 Depth=1
	s_or_b64 exec, exec, s[4:5]
	v_fma_f32 v13, -v6, v5, v16
	v_mov_b32_e32 v6, s22
.LBB84_4:                               ;   in Loop: Header=BB84_5 Depth=1
	s_or_b64 exec, exec, s[2:3]
	v_add_u32_e32 v8, v6, v8
	v_cmp_le_i32_e32 vcc, s24, v8
	s_or_b64 s[18:19], vcc, s[18:19]
	s_andn2_b64 exec, exec, s[18:19]
	s_cbranch_execz .LBB84_20
.LBB84_5:                               ; =>This Inner Loop Header: Depth=1
	v_add_u32_e32 v3, v8, v0
	v_ashrrev_i32_e32 v4, 31, v3
	v_lshlrev_b64 v[4:5], 2, v[3:4]
	v_cmp_gt_u32_e64 s[0:1], s25, v8
	v_add_co_u32_e32 v6, vcc, s6, v4
	v_addc_co_u32_e32 v7, vcc, v12, v5, vcc
	global_load_dword v17, v[6:7], off
	v_add_u32_e32 v6, v9, v8
	v_mov_b32_e32 v14, 0
	s_and_saveexec_b64 s[2:3], s[0:1]
	s_cbranch_execz .LBB84_7
; %bb.6:                                ;   in Loop: Header=BB84_5 Depth=1
	v_ashrrev_i32_e32 v7, 31, v6
	v_lshlrev_b64 v[14:15], 2, v[6:7]
	s_waitcnt vmcnt(1)
	v_mov_b32_e32 v1, s13
	v_add_co_u32_e32 v14, vcc, s12, v14
	v_addc_co_u32_e32 v15, vcc, v1, v15, vcc
	global_load_dword v14, v[14:15], off
.LBB84_7:                               ;   in Loop: Header=BB84_5 Depth=1
	s_or_b64 exec, exec, s[2:3]
	v_mov_b32_e32 v15, 0
	v_mov_b32_e32 v16, 0
	s_and_saveexec_b64 s[2:3], s[0:1]
	s_cbranch_execz .LBB84_9
; %bb.8:                                ;   in Loop: Header=BB84_5 Depth=1
	v_ashrrev_i32_e32 v7, 31, v6
	v_lshlrev_b64 v[18:19], 2, v[6:7]
	s_waitcnt vmcnt(1)
	v_mov_b32_e32 v1, s15
	v_add_co_u32_e32 v18, vcc, s14, v18
	v_addc_co_u32_e32 v19, vcc, v1, v19, vcc
	global_load_dword v16, v[18:19], off
.LBB84_9:                               ;   in Loop: Header=BB84_5 Depth=1
	s_or_b64 exec, exec, s[2:3]
	s_and_saveexec_b64 s[2:3], s[0:1]
	s_cbranch_execz .LBB84_11
; %bb.10:                               ;   in Loop: Header=BB84_5 Depth=1
	v_ashrrev_i32_e32 v7, 31, v6
	v_lshlrev_b64 v[6:7], 2, v[6:7]
	s_waitcnt vmcnt(1)
	v_mov_b32_e32 v1, s7
	v_add_co_u32_e32 v6, vcc, s6, v6
	v_addc_co_u32_e32 v7, vcc, v1, v7, vcc
	global_load_dword v15, v[6:7], off
.LBB84_11:                              ;   in Loop: Header=BB84_5 Depth=1
	s_or_b64 exec, exec, s[2:3]
	v_cmp_gt_u32_e64 s[2:3], s26, v8
	v_mov_b32_e32 v6, 0
	s_and_saveexec_b64 s[4:5], s[2:3]
	s_cbranch_execz .LBB84_13
; %bb.12:                               ;   in Loop: Header=BB84_5 Depth=1
	v_add_u32_e32 v6, v10, v8
	v_ashrrev_i32_e32 v7, 31, v6
	v_lshlrev_b64 v[6:7], 2, v[6:7]
	s_waitcnt vmcnt(1)
	v_mov_b32_e32 v1, s13
	v_add_co_u32_e32 v6, vcc, s12, v6
	v_addc_co_u32_e32 v7, vcc, v1, v7, vcc
	global_load_dword v6, v[6:7], off
.LBB84_13:                              ;   in Loop: Header=BB84_5 Depth=1
	s_or_b64 exec, exec, s[4:5]
	s_waitcnt vmcnt(1)
	v_mov_b32_e32 v1, s17
	v_add_co_u32_e32 v4, vcc, s16, v4
	v_addc_co_u32_e32 v5, vcc, v1, v5, vcc
	v_add_u32_e32 v1, s23, v3
	global_load_dword v5, v[4:5], off
	v_lshlrev_b64 v[3:4], 2, v[1:2]
	v_mov_b32_e32 v1, s9
	v_add_co_u32_e32 v3, vcc, s8, v3
	v_addc_co_u32_e32 v4, vcc, v1, v4, vcc
	global_load_dword v1, v[3:4], off
	v_cmp_ne_u32_e32 vcc, s25, v8
	s_waitcnt vmcnt(1)
	v_cmp_ne_u32_e64 s[4:5], 1, v5
	s_and_b64 s[4:5], vcc, s[4:5]
	v_mul_f32_e32 v5, v17, v14
	s_and_saveexec_b64 s[20:21], s[4:5]
	s_xor_b64 s[4:5], exec, s[20:21]
	s_cbranch_execz .LBB84_17
; %bb.14:                               ;   in Loop: Header=BB84_5 Depth=1
	v_fma_f32 v5, v13, v16, -v5
	v_div_scale_f32 v7, s[20:21], v5, v5, 1.0
	v_rcp_f32_e32 v18, v7
	v_fma_f32 v19, -v7, v18, 1.0
	v_fmac_f32_e32 v18, v19, v18
	v_div_scale_f32 v19, vcc, 1.0, v5, 1.0
	v_mul_f32_e32 v20, v19, v18
	v_fma_f32 v21, -v7, v20, v19
	v_fmac_f32_e32 v20, v21, v18
	v_fma_f32 v7, -v7, v20, v19
	v_div_fmas_f32 v7, v7, v18, v20
	v_div_fixup_f32 v5, v7, v5, 1.0
	s_waitcnt vmcnt(0)
	v_mul_f32_e32 v7, v5, v1
	v_add_u32_e32 v1, v11, v8
	v_lshlrev_b64 v[18:19], 2, v[1:2]
	v_mov_b32_e32 v1, s9
	v_add_co_u32_e32 v20, vcc, s8, v18
	v_addc_co_u32_e32 v21, vcc, v1, v19, vcc
	global_load_dword v1, v[20:21], off
	s_waitcnt vmcnt(0)
	v_mul_f32_e32 v18, v5, v1
	v_mul_f32_e32 v1, v17, v18
	v_fma_f32 v1, v16, v7, -v1
	global_store_dword v[3:4], v1, off
	v_mul_f32_e32 v1, v14, v7
	v_fma_f32 v1, v13, v18, -v1
	global_store_dword v[20:21], v1, off
	v_mov_b32_e32 v1, 0
	s_and_saveexec_b64 s[20:21], s[2:3]
	s_cbranch_execz .LBB84_16
; %bb.15:                               ;   in Loop: Header=BB84_5 Depth=1
	v_add_u32_e32 v3, v10, v8
	v_add_u32_e32 v1, s23, v3
	v_lshlrev_b64 v[16:17], 2, v[1:2]
	v_ashrrev_i32_e32 v4, 31, v3
	v_mov_b32_e32 v1, s9
	v_add_co_u32_e32 v16, vcc, s8, v16
	v_lshlrev_b64 v[3:4], 2, v[3:4]
	v_addc_co_u32_e32 v17, vcc, v1, v17, vcc
	v_mov_b32_e32 v19, s15
	v_add_co_u32_e32 v3, vcc, s14, v3
	global_load_dword v1, v[16:17], off
	v_addc_co_u32_e32 v4, vcc, v19, v4, vcc
	global_load_dword v3, v[3:4], off
	v_mul_f32_e32 v4, v14, v6
	v_mul_f32_e32 v6, v13, v6
	;; [unrolled: 1-line block ×3, first 2 shown]
	v_fma_f32 v4, v4, v7, -v13
	v_mul_f32_e32 v6, v15, v6
	s_waitcnt vmcnt(1)
	v_add_f32_e32 v1, v4, v1
	global_store_dword v[16:17], v1, off
	s_waitcnt vmcnt(1)
	v_fma_f32 v1, -v5, v6, v3
.LBB84_16:                              ;   in Loop: Header=BB84_5 Depth=1
	s_or_b64 exec, exec, s[20:21]
	v_mov_b32_e32 v13, v1
                                        ; implicit-def: $vgpr5
                                        ; implicit-def: $vgpr16
                                        ; implicit-def: $vgpr1
                                        ; implicit-def: $vgpr3_vgpr4
                                        ; implicit-def: $vgpr14
.LBB84_17:                              ;   in Loop: Header=BB84_5 Depth=1
	s_or_saveexec_b64 s[2:3], s[4:5]
	v_mov_b32_e32 v6, s27
	s_xor_b64 exec, exec, s[2:3]
	s_cbranch_execz .LBB84_4
; %bb.18:                               ;   in Loop: Header=BB84_5 Depth=1
	v_div_scale_f32 v6, s[4:5], v13, v13, 1.0
	v_div_scale_f32 v7, vcc, 1.0, v13, 1.0
	v_rcp_f32_e32 v15, v6
	v_fma_f32 v17, -v6, v15, 1.0
	v_fmac_f32_e32 v15, v17, v15
	v_mul_f32_e32 v17, v7, v15
	v_fma_f32 v18, -v6, v17, v7
	v_fmac_f32_e32 v17, v18, v15
	v_fma_f32 v6, -v6, v17, v7
	v_div_fmas_f32 v6, v6, v15, v17
	v_div_fixup_f32 v6, v6, v13, 1.0
	s_waitcnt vmcnt(0)
	v_mul_f32_e32 v7, v6, v1
	global_store_dword v[3:4], v7, off
	s_and_saveexec_b64 s[4:5], s[0:1]
	s_cbranch_execz .LBB84_3
; %bb.19:                               ;   in Loop: Header=BB84_5 Depth=1
	v_add_u32_e32 v1, v11, v8
	v_lshlrev_b64 v[3:4], 2, v[1:2]
	v_mov_b32_e32 v1, s9
	v_add_co_u32_e32 v3, vcc, s8, v3
	v_addc_co_u32_e32 v4, vcc, v1, v4, vcc
	global_load_dword v1, v[3:4], off
	s_waitcnt vmcnt(0)
	v_fma_f32 v1, -v14, v7, v1
	global_store_dword v[3:4], v1, off
	s_branch .LBB84_3
.LBB84_20:
	s_or_b64 exec, exec, s[18:19]
	s_branch .LBB84_22
.LBB84_21:
	v_mov_b32_e32 v8, 0
.LBB84_22:
	v_subrev_u32_e32 v3, s22, v8
	s_waitcnt vmcnt(0)
	v_add_u32_e32 v1, v3, v0
	v_ashrrev_i32_e32 v2, 31, v1
	v_lshlrev_b64 v[1:2], 2, v[1:2]
	s_waitcnt lgkmcnt(0)
	v_mov_b32_e32 v4, s17
	v_add_co_u32_e32 v1, vcc, s16, v1
	v_addc_co_u32_e32 v2, vcc, v4, v2, vcc
	buffer_wbinvl1_vol
	global_load_dword v1, v[1:2], off
	s_waitcnt vmcnt(0)
	v_mul_lo_u32 v1, v1, s22
	v_sub_u32_e32 v5, v3, v1
	v_cmp_lt_i32_e32 vcc, -1, v5
	s_and_b64 exec, exec, vcc
	s_cbranch_execz .LBB84_29
; %bb.23:
	s_add_i32 s0, s23, s22
	v_add_u32_e32 v6, s0, v0
	s_lshl_b32 s4, s22, 1
	s_mov_b64 s[0:1], 0
	v_mov_b32_e32 v7, s17
	v_mov_b32_e32 v8, s11
	;; [unrolled: 1-line block ×3, first 2 shown]
	s_branch .LBB84_25
.LBB84_24:                              ;   in Loop: Header=BB84_25 Depth=1
	s_or_b64 exec, exec, s[2:3]
	v_sub_u32_e32 v5, v5, v1
	v_cmp_gt_i32_e32 vcc, 0, v5
	s_or_b64 s[0:1], vcc, s[0:1]
	s_andn2_b64 exec, exec, s[0:1]
	s_cbranch_execz .LBB84_29
.LBB84_25:                              ; =>This Inner Loop Header: Depth=1
	v_add_u32_e32 v3, v5, v0
	s_waitcnt vmcnt(0)
	v_ashrrev_i32_e32 v4, 31, v3
	v_lshlrev_b64 v[9:10], 2, v[3:4]
	v_add_co_u32_e32 v11, vcc, s16, v9
	v_addc_co_u32_e32 v12, vcc, v7, v10, vcc
	v_add_co_u32_e32 v9, vcc, s10, v9
	global_load_dword v1, v[11:12], off
	v_addc_co_u32_e32 v10, vcc, v8, v10, vcc
	global_load_dword v4, v[9:10], off
	s_waitcnt vmcnt(1)
	v_cmp_ne_u32_e32 vcc, 1, v1
	s_and_saveexec_b64 s[2:3], vcc
	s_xor_b64 s[2:3], exec, s[2:3]
	s_cbranch_execz .LBB84_27
; %bb.26:                               ;   in Loop: Header=BB84_25 Depth=1
	v_add_u32_e32 v1, v6, v5
	v_lshlrev_b64 v[9:10], 2, v[1:2]
	v_mov_b32_e32 v1, s9
	v_add_co_u32_e32 v9, vcc, s8, v9
	v_addc_co_u32_e32 v10, vcc, v1, v10, vcc
	v_add_u32_e32 v1, s23, v3
	v_lshlrev_b64 v[11:12], 2, v[1:2]
	v_mov_b32_e32 v1, s9
	v_add_co_u32_e32 v11, vcc, s8, v11
	v_addc_co_u32_e32 v12, vcc, v1, v12, vcc
	global_load_dword v15, v[9:10], off
	global_load_dword v3, v[11:12], off
	v_subrev_u32_e32 v1, s22, v5
	v_add_u32_e32 v9, v1, v0
	v_ashrrev_i32_e32 v10, 31, v9
	v_add_u32_e32 v1, s23, v9
	v_lshlrev_b64 v[9:10], 2, v[9:10]
	v_lshlrev_b64 v[13:14], 2, v[1:2]
	v_add_co_u32_e32 v9, vcc, s10, v9
	v_addc_co_u32_e32 v10, vcc, v8, v10, vcc
	v_mov_b32_e32 v16, s9
	global_load_dword v1, v[9:10], off
	s_waitcnt vmcnt(1)
	v_fma_f32 v3, -v4, v15, v3
	global_store_dword v[11:12], v3, off
	v_add_co_u32_e32 v3, vcc, s8, v13
	v_addc_co_u32_e32 v4, vcc, v16, v14, vcc
	global_load_dword v9, v[3:4], off
	s_waitcnt vmcnt(0)
	v_fma_f32 v1, -v1, v15, v9
	global_store_dword v[3:4], v1, off
                                        ; implicit-def: $vgpr3
                                        ; implicit-def: $vgpr4
.LBB84_27:                              ;   in Loop: Header=BB84_25 Depth=1
	s_or_saveexec_b64 s[2:3], s[2:3]
	v_mov_b32_e32 v1, s4
	s_xor_b64 exec, exec, s[2:3]
	s_cbranch_execz .LBB84_24
; %bb.28:                               ;   in Loop: Header=BB84_25 Depth=1
	v_add_u32_e32 v1, v6, v5
	v_lshlrev_b64 v[9:10], 2, v[1:2]
	v_mov_b32_e32 v1, s9
	v_add_co_u32_e32 v9, vcc, s8, v9
	v_addc_co_u32_e32 v10, vcc, v1, v10, vcc
	v_add_u32_e32 v1, s23, v3
	v_lshlrev_b64 v[11:12], 2, v[1:2]
	v_mov_b32_e32 v1, s9
	v_add_co_u32_e32 v11, vcc, s8, v11
	v_addc_co_u32_e32 v12, vcc, v1, v12, vcc
	global_load_dword v1, v[9:10], off
	global_load_dword v3, v[11:12], off
	s_waitcnt vmcnt(0)
	v_fma_f32 v1, -v4, v1, v3
	global_store_dword v[11:12], v1, off
	v_mov_b32_e32 v1, s22
	s_branch .LBB84_24
.LBB84_29:
	s_endpgm
	.section	.rodata,"a",@progbits
	.p2align	6, 0x0
	.amdhsa_kernel _ZN9rocsparseL19gtsv_LBM_rhs_kernelILj256ELj256ELj1EfEEviiiPKT2_S3_S3_PS1_S3_PKi
		.amdhsa_group_segment_fixed_size 0
		.amdhsa_private_segment_fixed_size 0
		.amdhsa_kernarg_size 64
		.amdhsa_user_sgpr_count 6
		.amdhsa_user_sgpr_private_segment_buffer 1
		.amdhsa_user_sgpr_dispatch_ptr 0
		.amdhsa_user_sgpr_queue_ptr 0
		.amdhsa_user_sgpr_kernarg_segment_ptr 1
		.amdhsa_user_sgpr_dispatch_id 0
		.amdhsa_user_sgpr_flat_scratch_init 0
		.amdhsa_user_sgpr_private_segment_size 0
		.amdhsa_uses_dynamic_stack 0
		.amdhsa_system_sgpr_private_segment_wavefront_offset 0
		.amdhsa_system_sgpr_workgroup_id_x 1
		.amdhsa_system_sgpr_workgroup_id_y 1
		.amdhsa_system_sgpr_workgroup_id_z 0
		.amdhsa_system_sgpr_workgroup_info 0
		.amdhsa_system_vgpr_workitem_id 0
		.amdhsa_next_free_vgpr 22
		.amdhsa_next_free_sgpr 28
		.amdhsa_reserve_vcc 1
		.amdhsa_reserve_flat_scratch 0
		.amdhsa_float_round_mode_32 0
		.amdhsa_float_round_mode_16_64 0
		.amdhsa_float_denorm_mode_32 3
		.amdhsa_float_denorm_mode_16_64 3
		.amdhsa_dx10_clamp 1
		.amdhsa_ieee_mode 1
		.amdhsa_fp16_overflow 0
		.amdhsa_exception_fp_ieee_invalid_op 0
		.amdhsa_exception_fp_denorm_src 0
		.amdhsa_exception_fp_ieee_div_zero 0
		.amdhsa_exception_fp_ieee_overflow 0
		.amdhsa_exception_fp_ieee_underflow 0
		.amdhsa_exception_fp_ieee_inexact 0
		.amdhsa_exception_int_div_zero 0
	.end_amdhsa_kernel
	.section	.text._ZN9rocsparseL19gtsv_LBM_rhs_kernelILj256ELj256ELj1EfEEviiiPKT2_S3_S3_PS1_S3_PKi,"axG",@progbits,_ZN9rocsparseL19gtsv_LBM_rhs_kernelILj256ELj256ELj1EfEEviiiPKT2_S3_S3_PS1_S3_PKi,comdat
.Lfunc_end84:
	.size	_ZN9rocsparseL19gtsv_LBM_rhs_kernelILj256ELj256ELj1EfEEviiiPKT2_S3_S3_PS1_S3_PKi, .Lfunc_end84-_ZN9rocsparseL19gtsv_LBM_rhs_kernelILj256ELj256ELj1EfEEviiiPKT2_S3_S3_PS1_S3_PKi
                                        ; -- End function
	.set _ZN9rocsparseL19gtsv_LBM_rhs_kernelILj256ELj256ELj1EfEEviiiPKT2_S3_S3_PS1_S3_PKi.num_vgpr, 22
	.set _ZN9rocsparseL19gtsv_LBM_rhs_kernelILj256ELj256ELj1EfEEviiiPKT2_S3_S3_PS1_S3_PKi.num_agpr, 0
	.set _ZN9rocsparseL19gtsv_LBM_rhs_kernelILj256ELj256ELj1EfEEviiiPKT2_S3_S3_PS1_S3_PKi.numbered_sgpr, 28
	.set _ZN9rocsparseL19gtsv_LBM_rhs_kernelILj256ELj256ELj1EfEEviiiPKT2_S3_S3_PS1_S3_PKi.num_named_barrier, 0
	.set _ZN9rocsparseL19gtsv_LBM_rhs_kernelILj256ELj256ELj1EfEEviiiPKT2_S3_S3_PS1_S3_PKi.private_seg_size, 0
	.set _ZN9rocsparseL19gtsv_LBM_rhs_kernelILj256ELj256ELj1EfEEviiiPKT2_S3_S3_PS1_S3_PKi.uses_vcc, 1
	.set _ZN9rocsparseL19gtsv_LBM_rhs_kernelILj256ELj256ELj1EfEEviiiPKT2_S3_S3_PS1_S3_PKi.uses_flat_scratch, 0
	.set _ZN9rocsparseL19gtsv_LBM_rhs_kernelILj256ELj256ELj1EfEEviiiPKT2_S3_S3_PS1_S3_PKi.has_dyn_sized_stack, 0
	.set _ZN9rocsparseL19gtsv_LBM_rhs_kernelILj256ELj256ELj1EfEEviiiPKT2_S3_S3_PS1_S3_PKi.has_recursion, 0
	.set _ZN9rocsparseL19gtsv_LBM_rhs_kernelILj256ELj256ELj1EfEEviiiPKT2_S3_S3_PS1_S3_PKi.has_indirect_call, 0
	.section	.AMDGPU.csdata,"",@progbits
; Kernel info:
; codeLenInByte = 1548
; TotalNumSgprs: 32
; NumVgprs: 22
; ScratchSize: 0
; MemoryBound: 0
; FloatMode: 240
; IeeeMode: 1
; LDSByteSize: 0 bytes/workgroup (compile time only)
; SGPRBlocks: 3
; VGPRBlocks: 5
; NumSGPRsForWavesPerEU: 32
; NumVGPRsForWavesPerEU: 22
; Occupancy: 10
; WaveLimiterHint : 0
; COMPUTE_PGM_RSRC2:SCRATCH_EN: 0
; COMPUTE_PGM_RSRC2:USER_SGPR: 6
; COMPUTE_PGM_RSRC2:TRAP_HANDLER: 0
; COMPUTE_PGM_RSRC2:TGID_X_EN: 1
; COMPUTE_PGM_RSRC2:TGID_Y_EN: 1
; COMPUTE_PGM_RSRC2:TGID_Z_EN: 0
; COMPUTE_PGM_RSRC2:TIDIG_COMP_CNT: 0
	.section	.text._ZN9rocsparseL29gtsv_spike_block_level_kernelILj256ELj256EfEEviiiPT1_PKS1_S4_S2_S2_S2_S2_S2_,"axG",@progbits,_ZN9rocsparseL29gtsv_spike_block_level_kernelILj256ELj256EfEEviiiPT1_PKS1_S4_S2_S2_S2_S2_S2_,comdat
	.globl	_ZN9rocsparseL29gtsv_spike_block_level_kernelILj256ELj256EfEEviiiPT1_PKS1_S4_S2_S2_S2_S2_S2_ ; -- Begin function _ZN9rocsparseL29gtsv_spike_block_level_kernelILj256ELj256EfEEviiiPT1_PKS1_S4_S2_S2_S2_S2_S2_
	.p2align	8
	.type	_ZN9rocsparseL29gtsv_spike_block_level_kernelILj256ELj256EfEEviiiPT1_PKS1_S4_S2_S2_S2_S2_S2_,@function
_ZN9rocsparseL29gtsv_spike_block_level_kernelILj256ELj256EfEEviiiPT1_PKS1_S4_S2_S2_S2_S2_S2_: ; @_ZN9rocsparseL29gtsv_spike_block_level_kernelILj256ELj256EfEEviiiPT1_PKS1_S4_S2_S2_S2_S2_S2_
; %bb.0:
	s_load_dword s14, s[4:5], 0x0
	s_load_dwordx2 s[8:9], s[4:5], 0x18
	v_lshl_or_b32 v1, s6, 8, v0
	v_mov_b32_e32 v3, 0
	v_mov_b32_e32 v2, 0
	s_waitcnt lgkmcnt(0)
	s_lshr_b32 s19, s14, 8
	v_cmp_gt_i32_e64 s[0:1], s19, v1
	s_and_saveexec_b64 s[2:3], s[0:1]
	s_cbranch_execz .LBB85_2
; %bb.1:
	v_ashrrev_i32_e32 v2, 31, v1
	v_lshlrev_b64 v[4:5], 2, v[1:2]
	v_mov_b32_e32 v2, s9
	v_add_co_u32_e32 v4, vcc, s8, v4
	v_addc_co_u32_e32 v5, vcc, v2, v5, vcc
	global_load_dword v2, v[4:5], off
.LBB85_2:
	s_or_b64 exec, exec, s[2:3]
	s_load_dwordx2 s[2:3], s[4:5], 0x20
	v_lshlrev_b32_e32 v5, 2, v0
	v_or_b32_e32 v6, 0x800, v5
	s_mul_i32 s18, s19, 0xff
	s_waitcnt vmcnt(0)
	ds_write_b32 v5, v2 offset:2048
	s_and_saveexec_b64 s[10:11], s[0:1]
	s_cbranch_execz .LBB85_4
; %bb.3:
	s_mul_i32 s12, s19, 0xff
	v_add_u32_e32 v2, s12, v1
	v_mov_b32_e32 v3, 0
	v_lshlrev_b64 v[2:3], 2, v[2:3]
	v_mov_b32_e32 v4, s9
	v_add_co_u32_e32 v2, vcc, s8, v2
	v_addc_co_u32_e32 v3, vcc, v4, v3, vcc
	global_load_dword v3, v[2:3], off
.LBB85_4:
	s_or_b64 exec, exec, s[10:11]
	s_waitcnt vmcnt(0)
	ds_write_b32 v6, v3 offset:1024
	v_mov_b32_e32 v3, 0
	v_mov_b32_e32 v2, 0
	s_and_saveexec_b64 s[8:9], s[0:1]
	s_cbranch_execz .LBB85_6
; %bb.5:
	v_ashrrev_i32_e32 v2, 31, v1
	v_lshlrev_b64 v[7:8], 2, v[1:2]
	s_waitcnt lgkmcnt(0)
	v_mov_b32_e32 v2, s3
	v_add_co_u32_e32 v7, vcc, s2, v7
	v_addc_co_u32_e32 v8, vcc, v2, v8, vcc
	global_load_dword v2, v[7:8], off
.LBB85_6:
	s_or_b64 exec, exec, s[8:9]
	s_load_dwordx2 s[12:13], s[4:5], 0x10
	s_waitcnt vmcnt(0)
	ds_write_b32 v5, v2
	s_and_saveexec_b64 s[8:9], s[0:1]
	s_cbranch_execz .LBB85_8
; %bb.7:
	s_mul_i32 s10, s19, 0xff
	v_add_u32_e32 v2, s10, v1
	v_mov_b32_e32 v3, 0
	v_lshlrev_b64 v[2:3], 2, v[2:3]
	s_waitcnt lgkmcnt(0)
	v_mov_b32_e32 v4, s3
	v_add_co_u32_e32 v2, vcc, s2, v2
	v_addc_co_u32_e32 v3, vcc, v4, v3, vcc
	global_load_dword v3, v[2:3], off
.LBB85_8:
	s_or_b64 exec, exec, s[8:9]
	s_mul_i32 s14, s14, s7
	s_waitcnt vmcnt(0)
	ds_write_b32 v5, v3 offset:1024
	v_mov_b32_e32 v2, 0
	v_add_u32_e32 v3, s14, v1
	v_mov_b32_e32 v7, 0
	s_waitcnt lgkmcnt(0)
	s_and_saveexec_b64 s[2:3], s[0:1]
	s_cbranch_execz .LBB85_10
; %bb.9:
	v_ashrrev_i32_e32 v4, 31, v3
	v_lshlrev_b64 v[7:8], 2, v[3:4]
	v_mov_b32_e32 v4, s13
	v_add_co_u32_e32 v7, vcc, s12, v7
	v_addc_co_u32_e32 v8, vcc, v4, v8, vcc
	global_load_dword v7, v[7:8], off
.LBB85_10:
	s_or_b64 exec, exec, s[2:3]
	v_or_b32_e32 v4, 0x1000, v5
	s_waitcnt vmcnt(0)
	ds_write_b32 v5, v7 offset:4096
	s_and_saveexec_b64 s[2:3], s[0:1]
	s_cbranch_execz .LBB85_12
; %bb.11:
	s_mul_i32 s8, s19, 0xff
	s_add_i32 s8, s8, s14
	v_add_u32_e32 v7, s8, v1
	v_mov_b32_e32 v8, 0
	v_lshlrev_b64 v[7:8], 2, v[7:8]
	v_mov_b32_e32 v2, s13
	v_add_co_u32_e32 v7, vcc, s12, v7
	v_addc_co_u32_e32 v8, vcc, v2, v8, vcc
	global_load_dword v2, v[7:8], off
.LBB85_12:
	s_or_b64 exec, exec, s[2:3]
	s_movk_i32 s2, 0x80
	v_cmp_gt_u32_e32 vcc, s2, v0
	s_waitcnt vmcnt(0)
	ds_write_b32 v4, v2 offset:1024
	s_waitcnt lgkmcnt(0)
	s_barrier
	s_and_saveexec_b64 s[2:3], vcc
	s_cbranch_execz .LBB85_14
; %bb.13:
	v_add_u32_e32 v2, v6, v5
	v_add_u32_e32 v21, v5, v5
	ds_read2st64_b64 v[7:10], v2 offset1:2
	ds_read2st64_b64 v[11:14], v21 offset1:2
	v_add_u32_e32 v22, v4, v5
	s_waitcnt lgkmcnt(0)
	v_fma_f32 v19, -v8, v13, 1.0
	v_div_scale_f32 v15, s[8:9], v19, v19, 1.0
	v_div_scale_f32 v16, vcc, 1.0, v19, 1.0
	v_rcp_f32_e32 v17, v15
	v_fma_f32 v18, -v15, v17, 1.0
	v_fmac_f32_e32 v17, v18, v17
	v_mul_f32_e32 v18, v16, v17
	v_fma_f32 v20, -v15, v18, v16
	v_fmac_f32_e32 v18, v20, v17
	v_fma_f32 v15, -v15, v18, v16
	v_div_fmas_f32 v20, v15, v17, v18
	ds_read2st64_b64 v[15:18], v22 offset1:2
	v_div_fixup_f32 v23, v20, v19, 1.0
	s_waitcnt lgkmcnt(0)
	v_fma_f32 v19, -v8, v17, v16
	v_mul_f32_e32 v20, v19, v23
	v_fma_f32 v19, -v20, v11, v15
	v_fma_f32 v15, -v13, v16, v17
	v_mul_f32_e32 v15, v23, v15
	v_mul_f32_e32 v8, v8, v9
	v_fma_f32 v16, -v10, v15, v18
	v_mul_f32_e64 v8, v8, -v23
	v_mul_f32_e32 v18, v23, v12
	v_fma_f32 v7, -v8, v11, v7
	v_mul_f32_e64 v17, v18, -v11
	v_mul_f32_e32 v11, v13, v12
	v_mul_f32_e64 v11, v11, -v23
	v_mul_f32_e32 v9, v23, v9
	v_fma_f32 v12, -v11, v10, v14
	v_mul_f32_e64 v10, v9, -v10
	ds_write2st64_b64 v22, v[19:20], v[15:16] offset1:2
	ds_write2st64_b64 v21, v[17:18], v[11:12] offset1:2
	;; [unrolled: 1-line block ×3, first 2 shown]
.LBB85_14:
	s_or_b64 exec, exec, s[2:3]
	v_cmp_gt_u32_e32 vcc, 64, v0
	s_waitcnt lgkmcnt(0)
	s_barrier
	s_and_saveexec_b64 s[2:3], vcc
	s_cbranch_execz .LBB85_16
; %bb.15:
	v_lshlrev_b32_e32 v2, 4, v0
	v_add_u32_e32 v18, 0x800, v2
	v_add_u32_e32 v19, 0x400, v2
	ds_read2_b32 v[7:8], v18 offset1:2
	ds_read2_b32 v[9:10], v19 offset0:1 offset1:3
	s_waitcnt lgkmcnt(0)
	v_fma_f32 v11, -v8, v9, 1.0
	v_div_scale_f32 v12, s[8:9], v11, v11, 1.0
	v_rcp_f32_e32 v13, v12
	v_fma_f32 v14, -v12, v13, 1.0
	v_fmac_f32_e32 v13, v14, v13
	v_div_scale_f32 v14, vcc, 1.0, v11, 1.0
	v_mul_f32_e32 v15, v14, v13
	v_fma_f32 v16, -v12, v15, v14
	v_fmac_f32_e32 v15, v16, v13
	v_fma_f32 v12, -v12, v15, v14
	v_div_fmas_f32 v12, v12, v13, v15
	v_mad_u32_u24 v16, v0, 12, v4
	v_add_u32_e32 v21, 0x400, v16
	v_div_fixup_f32 v20, v12, v11, 1.0
	ds_read2_b32 v[11:12], v21 offset0:1 offset1:3
	ds_read2_b32 v[13:14], v16 offset1:2
	s_waitcnt lgkmcnt(0)
	v_fma_f32 v15, -v9, v14, v11
	v_mul_f32_e32 v22, v20, v15
	v_fma_f32 v11, -v8, v11, v14
	ds_read2_b32 v[14:15], v2 offset1:2
	v_mul_f32_e32 v11, v11, v20
	s_waitcnt lgkmcnt(0)
	v_fma_f32 v13, -v11, v14, v13
	ds_write2_b32 v16, v13, v11 offset1:2
	v_add_u32_e32 v11, 0xc00, v2
	ds_read2_b32 v[16:17], v11 offset0:1 offset1:3
	v_mul_f32_e32 v9, v9, v15
	v_mul_f32_e64 v9, v9, -v20
	s_waitcnt lgkmcnt(0)
	v_mul_f32_e32 v8, v8, v16
	v_fma_f32 v12, -v17, v22, v12
	v_mul_f32_e64 v8, v8, -v20
	ds_write2_b32 v21, v22, v12 offset0:1 offset1:3
	v_mul_f32_e32 v12, v20, v15
	v_fma_f32 v7, -v8, v14, v7
	ds_write2_b32 v18, v7, v8 offset1:2
	v_mul_f32_e64 v7, v12, -v14
	v_mul_f32_e32 v13, v20, v16
	ds_write2_b32 v2, v7, v12 offset1:2
	v_fma_f32 v2, -v9, v17, v10
	ds_write2_b32 v19, v9, v2 offset0:1 offset1:3
	v_mul_f32_e64 v2, v13, -v17
	ds_write2_b32 v11, v13, v2 offset0:1 offset1:3
.LBB85_16:
	s_or_b64 exec, exec, s[2:3]
	v_cmp_gt_u32_e32 vcc, 32, v0
	s_waitcnt lgkmcnt(0)
	s_barrier
	s_and_saveexec_b64 s[2:3], vcc
	s_cbranch_execz .LBB85_18
; %bb.17:
	v_lshlrev_b32_e32 v2, 5, v0
	v_add_u32_e32 v18, 0x800, v2
	v_add_u32_e32 v19, 0x400, v2
	ds_read2_b32 v[7:8], v18 offset1:4
	ds_read2_b32 v[9:10], v19 offset0:3 offset1:7
	v_add_u32_e32 v21, 0x1400, v2
	s_waitcnt lgkmcnt(0)
	v_fma_f32 v11, -v8, v9, 1.0
	v_div_scale_f32 v12, s[8:9], v11, v11, 1.0
	v_rcp_f32_e32 v13, v12
	v_fma_f32 v14, -v12, v13, 1.0
	v_fmac_f32_e32 v13, v14, v13
	v_div_scale_f32 v14, vcc, 1.0, v11, 1.0
	v_mul_f32_e32 v15, v14, v13
	v_fma_f32 v16, -v12, v15, v14
	v_fmac_f32_e32 v15, v16, v13
	v_fma_f32 v12, -v12, v15, v14
	v_div_fmas_f32 v12, v12, v13, v15
	v_add_u32_e32 v16, 0x1000, v2
	ds_read2_b32 v[13:14], v16 offset1:4
	v_div_fixup_f32 v20, v12, v11, 1.0
	ds_read2_b32 v[11:12], v21 offset0:3 offset1:7
	s_waitcnt lgkmcnt(0)
	v_fma_f32 v15, -v9, v14, v11
	v_mul_f32_e32 v22, v20, v15
	v_fma_f32 v11, -v8, v11, v14
	ds_read2_b32 v[14:15], v2 offset1:4
	v_mul_f32_e32 v11, v11, v20
	s_waitcnt lgkmcnt(0)
	v_fma_f32 v13, -v11, v14, v13
	ds_write2_b32 v16, v13, v11 offset1:4
	v_add_u32_e32 v11, 0xc00, v2
	ds_read2_b32 v[16:17], v11 offset0:3 offset1:7
	v_mul_f32_e32 v9, v9, v15
	v_mul_f32_e64 v9, v9, -v20
	s_waitcnt lgkmcnt(0)
	v_mul_f32_e32 v8, v8, v16
	v_fma_f32 v12, -v17, v22, v12
	v_mul_f32_e64 v8, v8, -v20
	ds_write2_b32 v21, v22, v12 offset0:3 offset1:7
	v_mul_f32_e32 v12, v20, v15
	v_fma_f32 v7, -v8, v14, v7
	ds_write2_b32 v18, v7, v8 offset1:4
	v_mul_f32_e64 v7, v12, -v14
	v_mul_f32_e32 v13, v20, v16
	ds_write2_b32 v2, v7, v12 offset1:4
	v_fma_f32 v2, -v9, v17, v10
	ds_write2_b32 v19, v9, v2 offset0:3 offset1:7
	v_mul_f32_e64 v2, v13, -v17
	ds_write2_b32 v11, v13, v2 offset0:3 offset1:7
.LBB85_18:
	s_or_b64 exec, exec, s[2:3]
	v_cmp_gt_u32_e32 vcc, 16, v0
	s_waitcnt lgkmcnt(0)
	s_barrier
	s_and_saveexec_b64 s[2:3], vcc
	s_cbranch_execz .LBB85_20
; %bb.19:
	v_lshlrev_b32_e32 v2, 6, v0
	v_add_u32_e32 v18, 0x800, v2
	v_add_u32_e32 v19, 0x400, v2
	ds_read2_b32 v[7:8], v18 offset1:8
	ds_read2_b32 v[9:10], v19 offset0:7 offset1:15
	v_add_u32_e32 v21, 0x1400, v2
	s_waitcnt lgkmcnt(0)
	v_fma_f32 v11, -v8, v9, 1.0
	v_div_scale_f32 v12, s[8:9], v11, v11, 1.0
	v_rcp_f32_e32 v13, v12
	v_fma_f32 v14, -v12, v13, 1.0
	v_fmac_f32_e32 v13, v14, v13
	v_div_scale_f32 v14, vcc, 1.0, v11, 1.0
	v_mul_f32_e32 v15, v14, v13
	v_fma_f32 v16, -v12, v15, v14
	v_fmac_f32_e32 v15, v16, v13
	v_fma_f32 v12, -v12, v15, v14
	v_div_fmas_f32 v12, v12, v13, v15
	v_add_u32_e32 v16, 0x1000, v2
	ds_read2_b32 v[13:14], v16 offset1:8
	v_div_fixup_f32 v20, v12, v11, 1.0
	ds_read2_b32 v[11:12], v21 offset0:7 offset1:15
	s_waitcnt lgkmcnt(0)
	v_fma_f32 v15, -v9, v14, v11
	v_mul_f32_e32 v22, v20, v15
	v_fma_f32 v11, -v8, v11, v14
	ds_read2_b32 v[14:15], v2 offset1:8
	v_mul_f32_e32 v11, v11, v20
	s_waitcnt lgkmcnt(0)
	v_fma_f32 v13, -v11, v14, v13
	ds_write2_b32 v16, v13, v11 offset1:8
	v_add_u32_e32 v11, 0xc00, v2
	ds_read2_b32 v[16:17], v11 offset0:7 offset1:15
	v_mul_f32_e32 v9, v9, v15
	v_mul_f32_e64 v9, v9, -v20
	s_waitcnt lgkmcnt(0)
	v_mul_f32_e32 v8, v8, v16
	v_fma_f32 v12, -v17, v22, v12
	v_mul_f32_e64 v8, v8, -v20
	ds_write2_b32 v21, v22, v12 offset0:7 offset1:15
	v_mul_f32_e32 v12, v20, v15
	v_fma_f32 v7, -v8, v14, v7
	ds_write2_b32 v18, v7, v8 offset1:8
	v_mul_f32_e64 v7, v12, -v14
	v_mul_f32_e32 v13, v20, v16
	ds_write2_b32 v2, v7, v12 offset1:8
	v_fma_f32 v2, -v9, v17, v10
	ds_write2_b32 v19, v9, v2 offset0:7 offset1:15
	v_mul_f32_e64 v2, v13, -v17
	ds_write2_b32 v11, v13, v2 offset0:7 offset1:15
.LBB85_20:
	;; [unrolled: 58-line block ×4, first 2 shown]
	s_or_b64 exec, exec, s[2:3]
	v_cmp_gt_u32_e32 vcc, 2, v0
	s_waitcnt lgkmcnt(0)
	s_barrier
	s_and_saveexec_b64 s[2:3], vcc
	s_cbranch_execz .LBB85_26
; %bb.25:
	v_lshlrev_b32_e32 v2, 9, v0
	v_add_u32_e32 v19, 0xfc, v2
	ds_read2st64_b32 v[7:8], v19 offset0:4 offset1:5
	ds_read2st64_b32 v[9:10], v2 offset0:8 offset1:9
	;; [unrolled: 1-line block ×3, first 2 shown]
	ds_read2st64_b32 v[13:14], v2 offset1:1
	ds_read2st64_b32 v[15:16], v19 offset0:12 offset1:13
	s_waitcnt lgkmcnt(3)
	v_fma_f32 v20, -v10, v7, 1.0
	v_div_scale_f32 v17, s[8:9], v20, v20, 1.0
	v_div_scale_f32 v18, vcc, 1.0, v20, 1.0
	v_rcp_f32_e32 v21, v17
	v_fma_f32 v22, -v17, v21, 1.0
	v_fmac_f32_e32 v21, v22, v21
	v_mul_f32_e32 v22, v18, v21
	v_fma_f32 v23, -v17, v22, v18
	v_fmac_f32_e32 v22, v23, v21
	v_fma_f32 v17, -v17, v22, v18
	v_div_fmas_f32 v21, v17, v21, v22
	ds_read2st64_b32 v[17:18], v19 offset0:20 offset1:21
	s_waitcnt lgkmcnt(0)
	v_fma_f32 v22, -v7, v12, v17
	v_fma_f32 v12, -v10, v17, v12
	v_mul_f32_e32 v7, v7, v14
	v_mul_f32_e32 v10, v10, v15
	v_div_fixup_f32 v17, v21, v20, 1.0
	v_mul_f32_e32 v12, v12, v17
	v_mul_f32_e32 v20, v17, v22
	v_mul_f32_e64 v7, v7, -v17
	v_fma_f32 v11, -v12, v13, v11
	v_mul_f32_e32 v14, v17, v14
	v_mul_f32_e64 v10, v10, -v17
	v_mul_f32_e32 v15, v17, v15
	v_fma_f32 v17, -v16, v20, v18
	v_fma_f32 v9, -v10, v13, v9
	v_mul_f32_e64 v13, v14, -v13
	v_fma_f32 v8, -v7, v16, v8
	v_mul_f32_e64 v16, v15, -v16
	ds_write2st64_b32 v2, v11, v12 offset0:16 offset1:17
	ds_write2st64_b32 v19, v20, v17 offset0:20 offset1:21
	;; [unrolled: 1-line block ×3, first 2 shown]
	ds_write2st64_b32 v2, v13, v14 offset1:1
	ds_write2st64_b32 v19, v7, v8 offset0:4 offset1:5
	ds_write2st64_b32 v19, v15, v16 offset0:12 offset1:13
.LBB85_26:
	s_or_b64 exec, exec, s[2:3]
	v_cmp_eq_u32_e64 s[2:3], 0, v0
	s_waitcnt lgkmcnt(0)
	s_barrier
	s_and_saveexec_b64 s[8:9], s[2:3]
	s_cbranch_execz .LBB85_28
; %bb.27:
	s_movk_i32 s10, 0xa00
	v_add_u32_e64 v2, s10, 0
	v_mov_b32_e32 v0, 0
	ds_read2_b32 v[7:8], v2 offset1:255
	ds_read_b32 v13, v0 offset:1532
	v_mov_b32_e32 v17, 0xffc
	s_waitcnt lgkmcnt(0)
	v_fma_f32 v9, -v7, v13, 1.0
	v_div_scale_f32 v10, s[10:11], v9, v9, 1.0
	s_movk_i32 s10, 0x1200
	v_rcp_f32_e32 v11, v10
	v_fma_f32 v12, -v10, v11, 1.0
	v_fmac_f32_e32 v11, v12, v11
	v_div_scale_f32 v12, vcc, 1.0, v9, 1.0
	v_mul_f32_e32 v14, v12, v11
	v_fma_f32 v15, -v10, v14, v12
	v_fmac_f32_e32 v14, v15, v11
	v_fma_f32 v10, -v10, v14, v12
	v_div_fmas_f32 v10, v10, v11, v14
	v_add_u32_e64 v11, s10, 0
	v_div_fixup_f32 v14, v10, v9, 1.0
	ds_read2_b32 v[9:10], v11 offset1:255
	s_waitcnt lgkmcnt(0)
	v_fma_f32 v12, -v13, v9, v10
	v_fma_f32 v9, -v7, v10, v9
	v_mul_f32_e32 v15, v14, v12
	v_mul_f32_e32 v16, v9, v14
	ds_write2_b32 v11, v16, v15 offset1:255
	ds_read2_b32 v[9:10], v17 offset1:1
	ds_read2st64_b32 v[11:12], v0 offset1:2
	v_mul_f32_e32 v7, v7, v8
	s_waitcnt lgkmcnt(0)
	v_fma_f32 v10, -v16, v11, v10
	ds_read_b32 v16, v0 offset:6140
	v_mul_f32_e32 v13, v13, v12
	v_mul_f32_e64 v13, v13, -v14
	v_mul_f32_e32 v12, v14, v12
	ds_write_b32 v0, v13 offset:1532
	s_waitcnt lgkmcnt(1)
	v_fma_f32 v15, -v9, v15, v16
	ds_write_b32 v0, v15 offset:6140
	v_mul_f32_e64 v15, v7, -v14
	v_mul_f32_e32 v14, v14, v8
	ds_write2_b32 v2, v15, v14 offset1:255
	v_mov_b32_e32 v2, 0x7fc
	ds_read2_b32 v[7:8], v2 offset1:1
	s_waitcnt lgkmcnt(0)
	v_fma_f32 v8, -v15, v11, v8
	v_mul_f32_e64 v11, v12, -v11
	ds_write2st64_b32 v0, v11, v12 offset1:2
	v_fma_f32 v0, -v13, v9, v7
	ds_write2_b32 v2, v0, v8 offset1:1
	v_mul_f32_e64 v0, v14, -v9
	ds_write2_b32 v17, v0, v10 offset1:1
.LBB85_28:
	s_or_b64 exec, exec, s[8:9]
	s_load_dwordx2 s[14:15], s[4:5], 0x48
	s_load_dwordx4 s[8:11], s[4:5], 0x38
	s_waitcnt lgkmcnt(0)
	s_barrier
	s_and_saveexec_b64 s[16:17], s[0:1]
	s_cbranch_execnz .LBB85_31
; %bb.29:
	s_or_b64 exec, exec, s[16:17]
	s_and_saveexec_b64 s[0:1], s[2:3]
	s_cbranch_execnz .LBB85_35
.LBB85_30:
	s_endpgm
.LBB85_31:
	s_cmp_eq_u32 s7, 0
	s_cbranch_scc1 .LBB85_39
; %bb.32:
	s_mulk_i32 s19, 0xff
	s_cbranch_execnz .LBB85_34
.LBB85_33:
	s_load_dwordx4 s[20:23], s[4:5], 0x28
	v_ashrrev_i32_e32 v2, 31, v1
	v_lshlrev_b64 v[8:9], 2, v[1:2]
	ds_read2st64_b32 v[6:7], v6 offset1:4
	s_mov_b32 s19, s18
	s_waitcnt lgkmcnt(0)
	v_mov_b32_e32 v0, s21
	v_add_co_u32_e32 v10, vcc, s20, v8
	v_addc_co_u32_e32 v11, vcc, v0, v9, vcc
	v_add_u32_e32 v0, s18, v1
	v_mov_b32_e32 v1, 0
	v_lshlrev_b64 v[0:1], 2, v[0:1]
	global_store_dword v[10:11], v6, off
	v_mov_b32_e32 v2, s21
	v_add_co_u32_e32 v10, vcc, s20, v0
	v_addc_co_u32_e32 v11, vcc, v2, v1, vcc
	ds_read2st64_b32 v[5:6], v5 offset1:4
	global_store_dword v[10:11], v7, off
	v_mov_b32_e32 v2, s23
	v_add_co_u32_e32 v7, vcc, s22, v8
	v_addc_co_u32_e32 v8, vcc, v2, v9, vcc
	v_add_co_u32_e32 v0, vcc, s22, v0
	v_addc_co_u32_e32 v1, vcc, v2, v1, vcc
	s_waitcnt lgkmcnt(0)
	global_store_dword v[7:8], v5, off
	global_store_dword v[0:1], v6, off
.LBB85_34:
	ds_read2st64_b32 v[0:1], v4 offset1:4
	v_ashrrev_i32_e32 v4, 31, v3
	v_lshlrev_b64 v[4:5], 2, v[3:4]
	v_mov_b32_e32 v2, s13
	v_add_co_u32_e32 v4, vcc, s12, v4
	v_addc_co_u32_e32 v5, vcc, v2, v5, vcc
	v_add_u32_e32 v2, s19, v3
	v_mov_b32_e32 v3, 0
	v_lshlrev_b64 v[2:3], 2, v[2:3]
	s_waitcnt lgkmcnt(0)
	global_store_dword v[4:5], v0, off
	v_mov_b32_e32 v0, s13
	v_add_co_u32_e32 v2, vcc, s12, v2
	v_addc_co_u32_e32 v3, vcc, v0, v3, vcc
	global_store_dword v[2:3], v1, off
	s_or_b64 exec, exec, s[16:17]
	s_and_saveexec_b64 s[0:1], s[2:3]
	s_cbranch_execz .LBB85_30
.LBB85_35:
	s_cmp_eq_u32 s7, 0
	s_cbranch_scc1 .LBB85_40
; %bb.36:
	s_load_dword s2, s[4:5], 0x50
	s_cbranch_execnz .LBB85_38
.LBB85_37:
	v_mov_b32_e32 v0, 0x7fc
	ds_read2_b32 v[0:1], v0 offset1:1
	s_waitcnt lgkmcnt(0)
	s_load_dword s2, s[4:5], 0x50
	s_mov_b32 s0, s7
	s_ashr_i32 s7, s6, 31
	s_lshl_b64 s[12:13], s[6:7], 2
	s_mov_b32 s7, s0
	s_add_u32 s0, s10, s12
	s_addc_u32 s1, s11, s13
	v_mov_b32_e32 v2, 0
	ds_read_b32 v3, v2 offset:4092
	ds_read_b32 v4, v2
	global_store_dword v2, v1, s[0:1]
	s_waitcnt lgkmcnt(0)
	s_add_i32 s0, s2, s6
	s_mov_b32 s1, 0
	s_lshl_b64 s[0:1], s[0:1], 2
	s_add_u32 s4, s10, s0
	s_addc_u32 s5, s11, s1
	global_store_dword v2, v3, s[4:5]
	s_add_u32 s4, s14, s12
	s_addc_u32 s5, s15, s13
	s_add_u32 s0, s14, s0
	s_addc_u32 s1, s15, s1
	global_store_dword v2, v4, s[4:5]
	global_store_dword v2, v0, s[0:1]
.LBB85_38:
	s_waitcnt lgkmcnt(0)
	s_mul_i32 s0, s2, s7
	s_lshl_b32 s0, s0, 1
	s_add_i32 s0, s0, s6
	s_mov_b32 s1, 0
	v_mov_b32_e32 v0, 0
	s_lshl_b64 s[4:5], s[0:1], 2
	ds_read_b32 v1, v0 offset:4096
	ds_read_b32 v2, v0 offset:6140
	s_add_u32 s4, s8, s4
	s_addc_u32 s5, s9, s5
	s_add_i32 s0, s0, s2
	s_lshl_b64 s[0:1], s[0:1], 2
	s_add_u32 s0, s8, s0
	s_addc_u32 s1, s9, s1
	s_waitcnt lgkmcnt(1)
	global_store_dword v0, v1, s[4:5]
	s_waitcnt lgkmcnt(0)
	global_store_dword v0, v2, s[0:1]
	s_endpgm
.LBB85_39:
                                        ; implicit-def: $sgpr19
	s_branch .LBB85_33
.LBB85_40:
                                        ; implicit-def: $sgpr2
	s_branch .LBB85_37
	.section	.rodata,"a",@progbits
	.p2align	6, 0x0
	.amdhsa_kernel _ZN9rocsparseL29gtsv_spike_block_level_kernelILj256ELj256EfEEviiiPT1_PKS1_S4_S2_S2_S2_S2_S2_
		.amdhsa_group_segment_fixed_size 6144
		.amdhsa_private_segment_fixed_size 0
		.amdhsa_kernarg_size 336
		.amdhsa_user_sgpr_count 6
		.amdhsa_user_sgpr_private_segment_buffer 1
		.amdhsa_user_sgpr_dispatch_ptr 0
		.amdhsa_user_sgpr_queue_ptr 0
		.amdhsa_user_sgpr_kernarg_segment_ptr 1
		.amdhsa_user_sgpr_dispatch_id 0
		.amdhsa_user_sgpr_flat_scratch_init 0
		.amdhsa_user_sgpr_private_segment_size 0
		.amdhsa_uses_dynamic_stack 0
		.amdhsa_system_sgpr_private_segment_wavefront_offset 0
		.amdhsa_system_sgpr_workgroup_id_x 1
		.amdhsa_system_sgpr_workgroup_id_y 1
		.amdhsa_system_sgpr_workgroup_id_z 0
		.amdhsa_system_sgpr_workgroup_info 0
		.amdhsa_system_vgpr_workitem_id 0
		.amdhsa_next_free_vgpr 24
		.amdhsa_next_free_sgpr 24
		.amdhsa_reserve_vcc 1
		.amdhsa_reserve_flat_scratch 0
		.amdhsa_float_round_mode_32 0
		.amdhsa_float_round_mode_16_64 0
		.amdhsa_float_denorm_mode_32 3
		.amdhsa_float_denorm_mode_16_64 3
		.amdhsa_dx10_clamp 1
		.amdhsa_ieee_mode 1
		.amdhsa_fp16_overflow 0
		.amdhsa_exception_fp_ieee_invalid_op 0
		.amdhsa_exception_fp_denorm_src 0
		.amdhsa_exception_fp_ieee_div_zero 0
		.amdhsa_exception_fp_ieee_overflow 0
		.amdhsa_exception_fp_ieee_underflow 0
		.amdhsa_exception_fp_ieee_inexact 0
		.amdhsa_exception_int_div_zero 0
	.end_amdhsa_kernel
	.section	.text._ZN9rocsparseL29gtsv_spike_block_level_kernelILj256ELj256EfEEviiiPT1_PKS1_S4_S2_S2_S2_S2_S2_,"axG",@progbits,_ZN9rocsparseL29gtsv_spike_block_level_kernelILj256ELj256EfEEviiiPT1_PKS1_S4_S2_S2_S2_S2_S2_,comdat
.Lfunc_end85:
	.size	_ZN9rocsparseL29gtsv_spike_block_level_kernelILj256ELj256EfEEviiiPT1_PKS1_S4_S2_S2_S2_S2_S2_, .Lfunc_end85-_ZN9rocsparseL29gtsv_spike_block_level_kernelILj256ELj256EfEEviiiPT1_PKS1_S4_S2_S2_S2_S2_S2_
                                        ; -- End function
	.set _ZN9rocsparseL29gtsv_spike_block_level_kernelILj256ELj256EfEEviiiPT1_PKS1_S4_S2_S2_S2_S2_S2_.num_vgpr, 24
	.set _ZN9rocsparseL29gtsv_spike_block_level_kernelILj256ELj256EfEEviiiPT1_PKS1_S4_S2_S2_S2_S2_S2_.num_agpr, 0
	.set _ZN9rocsparseL29gtsv_spike_block_level_kernelILj256ELj256EfEEviiiPT1_PKS1_S4_S2_S2_S2_S2_S2_.numbered_sgpr, 24
	.set _ZN9rocsparseL29gtsv_spike_block_level_kernelILj256ELj256EfEEviiiPT1_PKS1_S4_S2_S2_S2_S2_S2_.num_named_barrier, 0
	.set _ZN9rocsparseL29gtsv_spike_block_level_kernelILj256ELj256EfEEviiiPT1_PKS1_S4_S2_S2_S2_S2_S2_.private_seg_size, 0
	.set _ZN9rocsparseL29gtsv_spike_block_level_kernelILj256ELj256EfEEviiiPT1_PKS1_S4_S2_S2_S2_S2_S2_.uses_vcc, 1
	.set _ZN9rocsparseL29gtsv_spike_block_level_kernelILj256ELj256EfEEviiiPT1_PKS1_S4_S2_S2_S2_S2_S2_.uses_flat_scratch, 0
	.set _ZN9rocsparseL29gtsv_spike_block_level_kernelILj256ELj256EfEEviiiPT1_PKS1_S4_S2_S2_S2_S2_S2_.has_dyn_sized_stack, 0
	.set _ZN9rocsparseL29gtsv_spike_block_level_kernelILj256ELj256EfEEviiiPT1_PKS1_S4_S2_S2_S2_S2_S2_.has_recursion, 0
	.set _ZN9rocsparseL29gtsv_spike_block_level_kernelILj256ELj256EfEEviiiPT1_PKS1_S4_S2_S2_S2_S2_S2_.has_indirect_call, 0
	.section	.AMDGPU.csdata,"",@progbits
; Kernel info:
; codeLenInByte = 3880
; TotalNumSgprs: 28
; NumVgprs: 24
; ScratchSize: 0
; MemoryBound: 0
; FloatMode: 240
; IeeeMode: 1
; LDSByteSize: 6144 bytes/workgroup (compile time only)
; SGPRBlocks: 3
; VGPRBlocks: 5
; NumSGPRsForWavesPerEU: 28
; NumVGPRsForWavesPerEU: 24
; Occupancy: 10
; WaveLimiterHint : 0
; COMPUTE_PGM_RSRC2:SCRATCH_EN: 0
; COMPUTE_PGM_RSRC2:USER_SGPR: 6
; COMPUTE_PGM_RSRC2:TRAP_HANDLER: 0
; COMPUTE_PGM_RSRC2:TGID_X_EN: 1
; COMPUTE_PGM_RSRC2:TGID_Y_EN: 1
; COMPUTE_PGM_RSRC2:TGID_Z_EN: 0
; COMPUTE_PGM_RSRC2:TIDIG_COMP_CNT: 0
	.section	.text._ZN9rocsparseL33gtsv_solve_spike_propagate_kernelILj256ELj256EfEEviiiPT1_PKS1_S4_S4_,"axG",@progbits,_ZN9rocsparseL33gtsv_solve_spike_propagate_kernelILj256ELj256EfEEviiiPT1_PKS1_S4_S4_,comdat
	.globl	_ZN9rocsparseL33gtsv_solve_spike_propagate_kernelILj256ELj256EfEEviiiPT1_PKS1_S4_S4_ ; -- Begin function _ZN9rocsparseL33gtsv_solve_spike_propagate_kernelILj256ELj256EfEEviiiPT1_PKS1_S4_S4_
	.p2align	8
	.type	_ZN9rocsparseL33gtsv_solve_spike_propagate_kernelILj256ELj256EfEEviiiPT1_PKS1_S4_S4_,@function
_ZN9rocsparseL33gtsv_solve_spike_propagate_kernelILj256ELj256EfEEviiiPT1_PKS1_S4_S4_: ; @_ZN9rocsparseL33gtsv_solve_spike_propagate_kernelILj256ELj256EfEEviiiPT1_PKS1_S4_S4_
; %bb.0:
	s_load_dword s10, s[4:5], 0x0
	v_lshl_or_b32 v1, s6, 8, v0
	v_mov_b32_e32 v4, 0
	v_ashrrev_i32_e32 v2, 31, v1
	v_mov_b32_e32 v5, 0
	s_waitcnt lgkmcnt(0)
	s_lshr_b32 s12, s10, 8
	v_cmp_le_i32_e64 s[0:1], s12, v1
	v_cmp_gt_i32_e32 vcc, s12, v1
	s_mulk_i32 s12, 0xff
	s_and_saveexec_b64 s[8:9], vcc
	s_cbranch_execz .LBB86_2
; %bb.1:
	s_load_dwordx2 s[14:15], s[4:5], 0x18
	v_lshlrev_b64 v[3:4], 2, v[1:2]
	s_waitcnt lgkmcnt(0)
	v_mov_b32_e32 v5, s15
	v_add_co_u32_e64 v6, s[2:3], s14, v3
	v_addc_co_u32_e64 v7, s[2:3], v5, v4, s[2:3]
	v_add_u32_e32 v3, s12, v1
	v_mov_b32_e32 v4, 0
	v_lshlrev_b64 v[3:4], 2, v[3:4]
	v_add_co_u32_e64 v8, s[2:3], s14, v3
	v_addc_co_u32_e64 v9, s[2:3], v5, v4, s[2:3]
	global_load_dword v4, v[6:7], off
	global_load_dword v5, v[8:9], off
.LBB86_2:
	s_or_b64 exec, exec, s[8:9]
	s_load_dwordx2 s[2:3], s[4:5], 0x10
	v_lshlrev_b32_e32 v3, 2, v0
	v_add_u32_e32 v6, 16, v3
	s_waitcnt vmcnt(0)
	ds_write2st64_b32 v6, v4, v5 offset0:16 offset1:20
	s_and_saveexec_b64 s[8:9], s[0:1]
	s_xor_b64 s[0:1], exec, s[8:9]
; %bb.3:
	v_mov_b32_e32 v2, 0
	ds_write2st64_b32 v6, v2, v2 offset0:8 offset1:12
; %bb.4:
	s_or_saveexec_b64 s[8:9], s[0:1]
	v_mov_b32_e32 v4, 0
	s_mul_i32 s10, s10, s7
	v_mov_b32_e32 v5, 0
	s_xor_b64 exec, exec, s[8:9]
	s_cbranch_execz .LBB86_6
; %bb.5:
	s_load_dwordx2 s[14:15], s[4:5], 0x20
	v_lshlrev_b64 v[5:6], 2, v[1:2]
	v_add_u32_e32 v7, s12, v1
	v_mov_b32_e32 v8, 0
	v_lshlrev_b64 v[9:10], 2, v[7:8]
	s_waitcnt lgkmcnt(0)
	v_mov_b32_e32 v2, s15
	v_add_co_u32_e64 v5, s[0:1], s14, v5
	v_addc_co_u32_e64 v6, s[0:1], v2, v6, s[0:1]
	v_add_co_u32_e64 v9, s[0:1], s14, v9
	v_add_u32_e32 v7, s10, v7
	v_addc_co_u32_e64 v10, s[0:1], v2, v10, s[0:1]
	global_load_dword v2, v[5:6], off
	global_load_dword v11, v[9:10], off
	v_lshlrev_b64 v[5:6], 2, v[7:8]
	v_mov_b32_e32 v7, s3
	v_add_co_u32_e64 v5, s[0:1], s2, v5
	v_addc_co_u32_e64 v6, s[0:1], v7, v6, s[0:1]
	global_load_dword v5, v[5:6], off
	v_add_u32_e32 v6, 16, v3
	s_waitcnt vmcnt(1)
	ds_write2st64_b32 v6, v2, v11 offset0:8 offset1:12
.LBB86_6:
	s_or_b64 exec, exec, s[8:9]
	v_add_u32_e32 v1, s10, v1
	s_waitcnt vmcnt(0)
	ds_write_b32 v3, v5 offset:4
	s_and_saveexec_b64 s[8:9], vcc
	s_cbranch_execz .LBB86_8
; %bb.7:
	v_ashrrev_i32_e32 v2, 31, v1
	v_lshlrev_b64 v[4:5], 2, v[1:2]
	s_waitcnt lgkmcnt(0)
	v_mov_b32_e32 v2, s3
	v_add_co_u32_e64 v4, s[0:1], s2, v4
	v_addc_co_u32_e64 v5, s[0:1], v2, v5, s[0:1]
	global_load_dword v4, v[4:5], off
.LBB86_8:
	s_or_b64 exec, exec, s[8:9]
	s_mov_b32 s14, 0
	v_cmp_eq_u32_e64 s[0:1], 0, v0
	s_waitcnt vmcnt(0)
	ds_write_b32 v3, v4 offset:1028
	s_waitcnt lgkmcnt(0)
	s_barrier
	s_and_saveexec_b64 s[8:9], s[0:1]
	s_cbranch_execz .LBB86_14
; %bb.9:
	s_load_dword s13, s[4:5], 0x30
	s_load_dwordx2 s[10:11], s[4:5], 0x28
	s_cmp_lt_i32 s6, 1
	s_waitcnt lgkmcnt(0)
	s_mul_i32 s7, s7, s13
	s_cbranch_scc1 .LBB86_11
; %bb.10:
	s_lshl_b32 s4, s7, 1
	s_add_i32 s5, s6, s13
	s_add_i32 s4, s5, s4
	s_add_i32 s4, s4, -1
	s_mov_b32 s5, 0
	s_lshl_b64 s[4:5], s[4:5], 2
	s_add_u32 s4, s10, s4
	s_addc_u32 s5, s11, s5
	s_load_dword s14, s[4:5], 0x0
.LBB86_11:
	s_add_i32 s4, s13, -1
	v_mov_b32_e32 v2, 0
	s_waitcnt lgkmcnt(0)
	v_mov_b32_e32 v4, s14
	s_mov_b32 s5, 0
	s_cmp_ge_u32 s6, s4
	s_mov_b32 s14, 0
	ds_write_b32 v2, v4
	s_cbranch_scc1 .LBB86_13
; %bb.12:
	s_lshl_b32 s4, s7, 1
	s_add_i32 s4, s6, s4
	s_add_i32 s14, s4, 1
	s_mov_b32 s15, 0
	s_lshl_b64 s[14:15], s[14:15], 2
	s_add_u32 s14, s10, s14
	s_addc_u32 s15, s11, s15
	s_load_dword s14, s[14:15], 0x0
.LBB86_13:
	s_lshl_b32 s4, s7, 1
	s_add_i32 s4, s4, s6
	s_lshl_b64 s[6:7], s[4:5], 2
	s_add_u32 s6, s10, s6
	s_addc_u32 s7, s11, s7
	s_add_i32 s4, s4, s13
	s_lshl_b64 s[4:5], s[4:5], 2
	s_add_u32 s4, s10, s4
	s_addc_u32 s5, s11, s5
	s_load_dword s10, s[4:5], 0x0
	s_load_dword s11, s[6:7], 0x0
	s_waitcnt lgkmcnt(0)
	v_mov_b32_e32 v4, s14
	ds_write_b32 v2, v4 offset:2052
	v_mov_b32_e32 v4, s10
	v_mov_b32_e32 v5, s11
	ds_write_b64 v2, v[4:5] offset:1024
.LBB86_14:
	s_or_b64 exec, exec, s[8:9]
	s_waitcnt lgkmcnt(0)
	s_barrier
	s_and_saveexec_b64 s[4:5], s[0:1]
	s_cbranch_execz .LBB86_16
; %bb.15:
	s_movk_i32 s0, 0xa10
	v_mov_b32_e32 v2, 0
	v_add_u32_e64 v6, s0, 0
	v_add_u32_e64 v8, 4, 0
	s_movk_i32 s0, 0x1210
	ds_read2st64_b32 v[4:5], v2 offset1:2
	ds_read2_b32 v[6:7], v6 offset1:255
	ds_read2st64_b32 v[8:9], v8 offset0:6 offset1:8
	v_add_u32_e64 v10, s0, 0
	ds_read2_b32 v[10:11], v10 offset1:255
	s_waitcnt lgkmcnt(1)
	v_fma_f32 v5, -v7, v9, v5
	s_waitcnt lgkmcnt(0)
	v_fma_f32 v5, -v11, v4, v5
	ds_write_b32 v2, v5 offset:512
	v_fma_f32 v5, -v6, v9, v8
	v_fma_f32 v4, -v10, v4, v5
	ds_write_b32 v2, v4 offset:1540
.LBB86_16:
	s_or_b64 exec, exec, s[4:5]
	v_cmp_gt_u32_e64 s[0:1], 2, v0
	s_waitcnt lgkmcnt(0)
	s_barrier
	s_and_saveexec_b64 s[4:5], s[0:1]
	s_cbranch_execz .LBB86_18
; %bb.17:
	s_movk_i32 s0, 0x1fc
	v_mad_u32_u24 v2, v0, s0, v3
	v_lshlrev_b32_e32 v10, 9, v0
	v_add_u32_e32 v6, 0x910, v10
	v_add_u32_e32 v8, 4, v2
	ds_read2st64_b32 v[4:5], v2 offset1:1
	ds_read2_b32 v[6:7], v6 offset1:255
	ds_read2st64_b32 v[8:9], v8 offset0:5 offset1:6
	v_add_u32_e32 v10, 0x1110, v10
	ds_read2_b32 v[10:11], v10 offset1:255
	s_waitcnt lgkmcnt(1)
	v_fma_f32 v5, -v7, v9, v5
	s_waitcnt lgkmcnt(0)
	v_fma_f32 v5, -v11, v4, v5
	ds_write_b32 v2, v5 offset:256
	v_fma_f32 v5, -v6, v9, v8
	v_fma_f32 v4, -v10, v4, v5
	ds_write_b32 v2, v4 offset:1284
.LBB86_18:
	s_or_b64 exec, exec, s[4:5]
	v_cmp_gt_u32_e64 s[0:1], 4, v0
	s_waitcnt lgkmcnt(0)
	s_barrier
	s_and_saveexec_b64 s[4:5], s[0:1]
	s_cbranch_execz .LBB86_20
; %bb.19:
	v_lshlrev_b32_e32 v2, 8, v0
	v_add_u32_e32 v6, 0x890, v2
	v_add_u32_e32 v8, 0x400, v2
	ds_read2_b32 v[4:5], v2 offset1:32
	ds_read2_b32 v[6:7], v6 offset1:255
	ds_read2_b32 v[8:9], v8 offset0:33 offset1:65
	v_add_u32_e32 v10, 0x1090, v2
	ds_read2_b32 v[10:11], v10 offset1:255
	s_waitcnt lgkmcnt(1)
	v_fma_f32 v5, -v7, v9, v5
	s_waitcnt lgkmcnt(0)
	v_fma_f32 v5, -v11, v4, v5
	ds_write_b32 v2, v5 offset:128
	v_fma_f32 v5, -v6, v9, v8
	v_fma_f32 v4, -v10, v4, v5
	ds_write_b32 v2, v4 offset:1156
.LBB86_20:
	s_or_b64 exec, exec, s[4:5]
	v_cmp_gt_u32_e64 s[0:1], 8, v0
	s_waitcnt lgkmcnt(0)
	s_barrier
	s_and_saveexec_b64 s[4:5], s[0:1]
	s_cbranch_execz .LBB86_22
; %bb.21:
	v_lshlrev_b32_e32 v2, 7, v0
	v_add_u32_e32 v6, 0x850, v2
	v_add_u32_e32 v8, 0x400, v2
	ds_read2_b32 v[4:5], v2 offset1:16
	ds_read2_b32 v[6:7], v6 offset1:255
	ds_read2_b32 v[8:9], v8 offset0:17 offset1:33
	v_add_u32_e32 v10, 0x1050, v2
	ds_read2_b32 v[10:11], v10 offset1:255
	s_waitcnt lgkmcnt(1)
	v_fma_f32 v5, -v7, v9, v5
	s_waitcnt lgkmcnt(0)
	v_fma_f32 v5, -v11, v4, v5
	ds_write_b32 v2, v5 offset:64
	v_fma_f32 v5, -v6, v9, v8
	v_fma_f32 v4, -v10, v4, v5
	ds_write_b32 v2, v4 offset:1092
.LBB86_22:
	;; [unrolled: 24-line block ×5, first 2 shown]
	s_or_b64 exec, exec, s[4:5]
	s_movk_i32 s0, 0x80
	v_cmp_gt_u32_e64 s[0:1], s0, v0
	s_waitcnt lgkmcnt(0)
	s_barrier
	s_and_saveexec_b64 s[4:5], s[0:1]
	s_cbranch_execz .LBB86_30
; %bb.29:
	v_lshlrev_b32_e32 v0, 3, v0
	v_add_u32_e32 v2, 0x814, v0
	ds_read2_b64 v[4:7], v0 offset1:129
	ds_read2_b32 v[8:9], v2 offset1:255
	v_add_u32_e32 v2, 0x1014, v0
	ds_read2_b32 v[10:11], v2 offset1:255
	s_waitcnt lgkmcnt(1)
	v_fma_f32 v2, -v9, v7, v5
	v_fma_f32 v5, -v8, v7, v6
	s_waitcnt lgkmcnt(0)
	v_fma_f32 v2, -v11, v4, v2
	ds_write_b32 v0, v2 offset:4
	v_fma_f32 v2, -v10, v4, v5
	ds_write_b32 v0, v2 offset:1032
.LBB86_30:
	s_or_b64 exec, exec, s[4:5]
	s_waitcnt lgkmcnt(0)
	s_barrier
	s_and_saveexec_b64 s[0:1], vcc
	s_cbranch_execz .LBB86_32
; %bb.31:
	v_ashrrev_i32_e32 v2, 31, v1
	v_lshlrev_b64 v[5:6], 2, v[1:2]
	v_add_u32_e32 v0, 4, v3
	ds_read2st64_b32 v[3:4], v0 offset1:4
	v_mov_b32_e32 v0, s3
	v_add_co_u32_e32 v5, vcc, s2, v5
	v_addc_co_u32_e32 v6, vcc, v0, v6, vcc
	v_add_u32_e32 v0, s12, v1
	v_mov_b32_e32 v1, 0
	v_lshlrev_b64 v[0:1], 2, v[0:1]
	v_mov_b32_e32 v2, s3
	v_add_co_u32_e32 v0, vcc, s2, v0
	v_addc_co_u32_e32 v1, vcc, v2, v1, vcc
	s_waitcnt lgkmcnt(0)
	global_store_dword v[5:6], v4, off
	global_store_dword v[0:1], v3, off
.LBB86_32:
	s_endpgm
	.section	.rodata,"a",@progbits
	.p2align	6, 0x0
	.amdhsa_kernel _ZN9rocsparseL33gtsv_solve_spike_propagate_kernelILj256ELj256EfEEviiiPT1_PKS1_S4_S4_
		.amdhsa_group_segment_fixed_size 6160
		.amdhsa_private_segment_fixed_size 0
		.amdhsa_kernarg_size 304
		.amdhsa_user_sgpr_count 6
		.amdhsa_user_sgpr_private_segment_buffer 1
		.amdhsa_user_sgpr_dispatch_ptr 0
		.amdhsa_user_sgpr_queue_ptr 0
		.amdhsa_user_sgpr_kernarg_segment_ptr 1
		.amdhsa_user_sgpr_dispatch_id 0
		.amdhsa_user_sgpr_flat_scratch_init 0
		.amdhsa_user_sgpr_private_segment_size 0
		.amdhsa_uses_dynamic_stack 0
		.amdhsa_system_sgpr_private_segment_wavefront_offset 0
		.amdhsa_system_sgpr_workgroup_id_x 1
		.amdhsa_system_sgpr_workgroup_id_y 1
		.amdhsa_system_sgpr_workgroup_id_z 0
		.amdhsa_system_sgpr_workgroup_info 0
		.amdhsa_system_vgpr_workitem_id 0
		.amdhsa_next_free_vgpr 12
		.amdhsa_next_free_sgpr 16
		.amdhsa_reserve_vcc 1
		.amdhsa_reserve_flat_scratch 0
		.amdhsa_float_round_mode_32 0
		.amdhsa_float_round_mode_16_64 0
		.amdhsa_float_denorm_mode_32 3
		.amdhsa_float_denorm_mode_16_64 3
		.amdhsa_dx10_clamp 1
		.amdhsa_ieee_mode 1
		.amdhsa_fp16_overflow 0
		.amdhsa_exception_fp_ieee_invalid_op 0
		.amdhsa_exception_fp_denorm_src 0
		.amdhsa_exception_fp_ieee_div_zero 0
		.amdhsa_exception_fp_ieee_overflow 0
		.amdhsa_exception_fp_ieee_underflow 0
		.amdhsa_exception_fp_ieee_inexact 0
		.amdhsa_exception_int_div_zero 0
	.end_amdhsa_kernel
	.section	.text._ZN9rocsparseL33gtsv_solve_spike_propagate_kernelILj256ELj256EfEEviiiPT1_PKS1_S4_S4_,"axG",@progbits,_ZN9rocsparseL33gtsv_solve_spike_propagate_kernelILj256ELj256EfEEviiiPT1_PKS1_S4_S4_,comdat
.Lfunc_end86:
	.size	_ZN9rocsparseL33gtsv_solve_spike_propagate_kernelILj256ELj256EfEEviiiPT1_PKS1_S4_S4_, .Lfunc_end86-_ZN9rocsparseL33gtsv_solve_spike_propagate_kernelILj256ELj256EfEEviiiPT1_PKS1_S4_S4_
                                        ; -- End function
	.set _ZN9rocsparseL33gtsv_solve_spike_propagate_kernelILj256ELj256EfEEviiiPT1_PKS1_S4_S4_.num_vgpr, 12
	.set _ZN9rocsparseL33gtsv_solve_spike_propagate_kernelILj256ELj256EfEEviiiPT1_PKS1_S4_S4_.num_agpr, 0
	.set _ZN9rocsparseL33gtsv_solve_spike_propagate_kernelILj256ELj256EfEEviiiPT1_PKS1_S4_S4_.numbered_sgpr, 16
	.set _ZN9rocsparseL33gtsv_solve_spike_propagate_kernelILj256ELj256EfEEviiiPT1_PKS1_S4_S4_.num_named_barrier, 0
	.set _ZN9rocsparseL33gtsv_solve_spike_propagate_kernelILj256ELj256EfEEviiiPT1_PKS1_S4_S4_.private_seg_size, 0
	.set _ZN9rocsparseL33gtsv_solve_spike_propagate_kernelILj256ELj256EfEEviiiPT1_PKS1_S4_S4_.uses_vcc, 1
	.set _ZN9rocsparseL33gtsv_solve_spike_propagate_kernelILj256ELj256EfEEviiiPT1_PKS1_S4_S4_.uses_flat_scratch, 0
	.set _ZN9rocsparseL33gtsv_solve_spike_propagate_kernelILj256ELj256EfEEviiiPT1_PKS1_S4_S4_.has_dyn_sized_stack, 0
	.set _ZN9rocsparseL33gtsv_solve_spike_propagate_kernelILj256ELj256EfEEviiiPT1_PKS1_S4_S4_.has_recursion, 0
	.set _ZN9rocsparseL33gtsv_solve_spike_propagate_kernelILj256ELj256EfEEviiiPT1_PKS1_S4_S4_.has_indirect_call, 0
	.section	.AMDGPU.csdata,"",@progbits
; Kernel info:
; codeLenInByte = 1972
; TotalNumSgprs: 20
; NumVgprs: 12
; ScratchSize: 0
; MemoryBound: 0
; FloatMode: 240
; IeeeMode: 1
; LDSByteSize: 6160 bytes/workgroup (compile time only)
; SGPRBlocks: 2
; VGPRBlocks: 2
; NumSGPRsForWavesPerEU: 20
; NumVGPRsForWavesPerEU: 12
; Occupancy: 10
; WaveLimiterHint : 0
; COMPUTE_PGM_RSRC2:SCRATCH_EN: 0
; COMPUTE_PGM_RSRC2:USER_SGPR: 6
; COMPUTE_PGM_RSRC2:TRAP_HANDLER: 0
; COMPUTE_PGM_RSRC2:TGID_X_EN: 1
; COMPUTE_PGM_RSRC2:TGID_Y_EN: 1
; COMPUTE_PGM_RSRC2:TGID_Z_EN: 0
; COMPUTE_PGM_RSRC2:TIDIG_COMP_CNT: 0
	.section	.text._ZN9rocsparseL39gtsv_spike_backward_substitution_kernelILj256ELj256EfEEviiiPT1_PKS1_S4_,"axG",@progbits,_ZN9rocsparseL39gtsv_spike_backward_substitution_kernelILj256ELj256EfEEviiiPT1_PKS1_S4_,comdat
	.globl	_ZN9rocsparseL39gtsv_spike_backward_substitution_kernelILj256ELj256EfEEviiiPT1_PKS1_S4_ ; -- Begin function _ZN9rocsparseL39gtsv_spike_backward_substitution_kernelILj256ELj256EfEEviiiPT1_PKS1_S4_
	.p2align	8
	.type	_ZN9rocsparseL39gtsv_spike_backward_substitution_kernelILj256ELj256EfEEviiiPT1_PKS1_S4_,@function
_ZN9rocsparseL39gtsv_spike_backward_substitution_kernelILj256ELj256EfEEviiiPT1_PKS1_S4_: ; @_ZN9rocsparseL39gtsv_spike_backward_substitution_kernelILj256ELj256EfEEviiiPT1_PKS1_S4_
; %bb.0:
	s_load_dword s12, s[4:5], 0x0
	s_lshl_b32 s6, s6, 8
	v_or_b32_e32 v1, s6, v0
	s_waitcnt lgkmcnt(0)
	s_lshr_b32 s10, s12, 8
	v_cmp_gt_i32_e32 vcc, s10, v1
	s_and_saveexec_b64 s[0:1], vcc
	s_cbranch_execz .LBB87_7
; %bb.1:
	s_load_dwordx2 s[8:9], s[4:5], 0x10
	v_cmp_lt_i32_e32 vcc, 0, v1
	v_mov_b32_e32 v5, 0
	s_mul_i32 s11, s12, s7
	s_and_saveexec_b64 s[0:1], vcc
	s_cbranch_execz .LBB87_3
; %bb.2:
	s_mul_i32 s2, s10, 0xff
	s_mul_i32 s3, s12, s7
	s_add_i32 s2, s2, s3
	v_add3_u32 v2, v1, s2, -1
	v_mov_b32_e32 v3, 0
	v_lshlrev_b64 v[2:3], 2, v[2:3]
	s_waitcnt lgkmcnt(0)
	v_mov_b32_e32 v4, s9
	v_add_co_u32_e32 v2, vcc, s8, v2
	v_addc_co_u32_e32 v3, vcc, v4, v3, vcc
	global_load_dword v5, v[2:3], off
.LBB87_3:
	s_or_b64 exec, exec, s[0:1]
	s_load_dwordx4 s[0:3], s[4:5], 0x18
	v_add_u32_e32 v2, 0x100, v1
	v_cmp_le_u32_e32 vcc, s12, v2
	s_and_saveexec_b64 s[4:5], vcc
	s_xor_b64 s[4:5], exec, s[4:5]
	s_or_saveexec_b64 s[4:5], s[4:5]
	v_mov_b32_e32 v6, 0
	v_mov_b32_e32 v7, s11
	s_xor_b64 exec, exec, s[4:5]
	s_cbranch_execz .LBB87_5
; %bb.4:
	s_ashr_i32 s7, s11, 31
	v_ashrrev_i32_e32 v3, 31, v1
	v_mov_b32_e32 v4, s7
	v_add_co_u32_e32 v2, vcc, s11, v1
	v_addc_co_u32_e32 v3, vcc, v3, v4, vcc
	v_lshlrev_b64 v[2:3], 2, v[2:3]
	s_waitcnt lgkmcnt(0)
	v_mov_b32_e32 v4, s9
	v_add_co_u32_e32 v2, vcc, s8, v2
	v_addc_co_u32_e32 v3, vcc, v4, v3, vcc
	global_load_dword v6, v[2:3], off offset:4
	v_mov_b32_e32 v7, s11
.LBB87_5:
	s_or_b64 exec, exec, s[4:5]
	s_lshl_b32 s4, s10, 1
	s_add_i32 s6, s6, s10
	v_add_u32_e32 v1, s4, v1
	v_add_u32_e32 v3, s6, v0
	s_movk_i32 s5, 0xfe
	s_waitcnt lgkmcnt(0)
	v_mov_b32_e32 v0, s9
	v_mov_b32_e32 v8, s1
	;; [unrolled: 1-line block ×3, first 2 shown]
.LBB87_6:                               ; =>This Inner Loop Header: Depth=1
	v_ashrrev_i32_e32 v4, 31, v3
	v_lshlrev_b64 v[10:11], 2, v[3:4]
	v_ashrrev_i32_e32 v2, 31, v1
	v_add_co_u32_e32 v14, vcc, s0, v10
	v_addc_co_u32_e32 v15, vcc, v8, v11, vcc
	v_lshlrev_b64 v[12:13], 2, v[1:2]
	v_add_co_u32_e32 v10, vcc, s2, v10
	v_addc_co_u32_e32 v11, vcc, v9, v11, vcc
	v_add_co_u32_e32 v16, vcc, s0, v12
	v_add_u32_e32 v18, v7, v3
	v_addc_co_u32_e32 v17, vcc, v8, v13, vcc
	v_ashrrev_i32_e32 v19, 31, v18
	v_add_co_u32_e32 v12, vcc, s2, v12
	v_lshlrev_b64 v[18:19], 2, v[18:19]
	v_addc_co_u32_e32 v13, vcc, v9, v13, vcc
	v_add_co_u32_e32 v18, vcc, s8, v18
	v_addc_co_u32_e32 v19, vcc, v0, v19, vcc
	global_load_dword v2, v[14:15], off
	global_load_dword v4, v[10:11], off
	;; [unrolled: 1-line block ×4, first 2 shown]
	v_add_u32_e32 v20, v7, v1
	v_ashrrev_i32_e32 v21, 31, v20
	v_lshlrev_b64 v[20:21], 2, v[20:21]
	s_add_i32 s5, s5, -2
	v_add_co_u32_e32 v20, vcc, s8, v20
	v_addc_co_u32_e32 v21, vcc, v0, v21, vcc
	v_add_u32_e32 v1, s4, v1
	v_add_u32_e32 v3, s4, v3
	s_cmp_lg_u32 s5, 0
	s_waitcnt vmcnt(0)
	v_fma_f32 v2, -v5, v2, v23
	v_fma_f32 v2, -v6, v4, v2
	global_store_dword v[18:19], v2, off
	global_load_dword v2, v[20:21], off
	s_nop 0
	global_load_dword v4, v[12:13], off
	s_waitcnt vmcnt(1)
	v_fma_f32 v2, -v5, v22, v2
	s_waitcnt vmcnt(0)
	v_fma_f32 v2, -v6, v4, v2
	global_store_dword v[20:21], v2, off
	s_cbranch_scc1 .LBB87_6
.LBB87_7:
	s_endpgm
	.section	.rodata,"a",@progbits
	.p2align	6, 0x0
	.amdhsa_kernel _ZN9rocsparseL39gtsv_spike_backward_substitution_kernelILj256ELj256EfEEviiiPT1_PKS1_S4_
		.amdhsa_group_segment_fixed_size 0
		.amdhsa_private_segment_fixed_size 0
		.amdhsa_kernarg_size 40
		.amdhsa_user_sgpr_count 6
		.amdhsa_user_sgpr_private_segment_buffer 1
		.amdhsa_user_sgpr_dispatch_ptr 0
		.amdhsa_user_sgpr_queue_ptr 0
		.amdhsa_user_sgpr_kernarg_segment_ptr 1
		.amdhsa_user_sgpr_dispatch_id 0
		.amdhsa_user_sgpr_flat_scratch_init 0
		.amdhsa_user_sgpr_private_segment_size 0
		.amdhsa_uses_dynamic_stack 0
		.amdhsa_system_sgpr_private_segment_wavefront_offset 0
		.amdhsa_system_sgpr_workgroup_id_x 1
		.amdhsa_system_sgpr_workgroup_id_y 1
		.amdhsa_system_sgpr_workgroup_id_z 0
		.amdhsa_system_sgpr_workgroup_info 0
		.amdhsa_system_vgpr_workitem_id 0
		.amdhsa_next_free_vgpr 24
		.amdhsa_next_free_sgpr 13
		.amdhsa_reserve_vcc 1
		.amdhsa_reserve_flat_scratch 0
		.amdhsa_float_round_mode_32 0
		.amdhsa_float_round_mode_16_64 0
		.amdhsa_float_denorm_mode_32 3
		.amdhsa_float_denorm_mode_16_64 3
		.amdhsa_dx10_clamp 1
		.amdhsa_ieee_mode 1
		.amdhsa_fp16_overflow 0
		.amdhsa_exception_fp_ieee_invalid_op 0
		.amdhsa_exception_fp_denorm_src 0
		.amdhsa_exception_fp_ieee_div_zero 0
		.amdhsa_exception_fp_ieee_overflow 0
		.amdhsa_exception_fp_ieee_underflow 0
		.amdhsa_exception_fp_ieee_inexact 0
		.amdhsa_exception_int_div_zero 0
	.end_amdhsa_kernel
	.section	.text._ZN9rocsparseL39gtsv_spike_backward_substitution_kernelILj256ELj256EfEEviiiPT1_PKS1_S4_,"axG",@progbits,_ZN9rocsparseL39gtsv_spike_backward_substitution_kernelILj256ELj256EfEEviiiPT1_PKS1_S4_,comdat
.Lfunc_end87:
	.size	_ZN9rocsparseL39gtsv_spike_backward_substitution_kernelILj256ELj256EfEEviiiPT1_PKS1_S4_, .Lfunc_end87-_ZN9rocsparseL39gtsv_spike_backward_substitution_kernelILj256ELj256EfEEviiiPT1_PKS1_S4_
                                        ; -- End function
	.set _ZN9rocsparseL39gtsv_spike_backward_substitution_kernelILj256ELj256EfEEviiiPT1_PKS1_S4_.num_vgpr, 24
	.set _ZN9rocsparseL39gtsv_spike_backward_substitution_kernelILj256ELj256EfEEviiiPT1_PKS1_S4_.num_agpr, 0
	.set _ZN9rocsparseL39gtsv_spike_backward_substitution_kernelILj256ELj256EfEEviiiPT1_PKS1_S4_.numbered_sgpr, 13
	.set _ZN9rocsparseL39gtsv_spike_backward_substitution_kernelILj256ELj256EfEEviiiPT1_PKS1_S4_.num_named_barrier, 0
	.set _ZN9rocsparseL39gtsv_spike_backward_substitution_kernelILj256ELj256EfEEviiiPT1_PKS1_S4_.private_seg_size, 0
	.set _ZN9rocsparseL39gtsv_spike_backward_substitution_kernelILj256ELj256EfEEviiiPT1_PKS1_S4_.uses_vcc, 1
	.set _ZN9rocsparseL39gtsv_spike_backward_substitution_kernelILj256ELj256EfEEviiiPT1_PKS1_S4_.uses_flat_scratch, 0
	.set _ZN9rocsparseL39gtsv_spike_backward_substitution_kernelILj256ELj256EfEEviiiPT1_PKS1_S4_.has_dyn_sized_stack, 0
	.set _ZN9rocsparseL39gtsv_spike_backward_substitution_kernelILj256ELj256EfEEviiiPT1_PKS1_S4_.has_recursion, 0
	.set _ZN9rocsparseL39gtsv_spike_backward_substitution_kernelILj256ELj256EfEEviiiPT1_PKS1_S4_.has_indirect_call, 0
	.section	.AMDGPU.csdata,"",@progbits
; Kernel info:
; codeLenInByte = 512
; TotalNumSgprs: 17
; NumVgprs: 24
; ScratchSize: 0
; MemoryBound: 0
; FloatMode: 240
; IeeeMode: 1
; LDSByteSize: 0 bytes/workgroup (compile time only)
; SGPRBlocks: 2
; VGPRBlocks: 5
; NumSGPRsForWavesPerEU: 17
; NumVGPRsForWavesPerEU: 24
; Occupancy: 10
; WaveLimiterHint : 0
; COMPUTE_PGM_RSRC2:SCRATCH_EN: 0
; COMPUTE_PGM_RSRC2:USER_SGPR: 6
; COMPUTE_PGM_RSRC2:TRAP_HANDLER: 0
; COMPUTE_PGM_RSRC2:TGID_X_EN: 1
; COMPUTE_PGM_RSRC2:TGID_Y_EN: 1
; COMPUTE_PGM_RSRC2:TGID_Z_EN: 0
; COMPUTE_PGM_RSRC2:TIDIG_COMP_CNT: 0
	.section	.text._ZN9rocsparseL32gtsv_transpose_back_array_kernelILj256ELj256EfEEviiiPKT1_PS1_,"axG",@progbits,_ZN9rocsparseL32gtsv_transpose_back_array_kernelILj256ELj256EfEEviiiPKT1_PS1_,comdat
	.globl	_ZN9rocsparseL32gtsv_transpose_back_array_kernelILj256ELj256EfEEviiiPKT1_PS1_ ; -- Begin function _ZN9rocsparseL32gtsv_transpose_back_array_kernelILj256ELj256EfEEviiiPKT1_PS1_
	.p2align	8
	.type	_ZN9rocsparseL32gtsv_transpose_back_array_kernelILj256ELj256EfEEviiiPKT1_PS1_,@function
_ZN9rocsparseL32gtsv_transpose_back_array_kernelILj256ELj256EfEEviiiPKT1_PS1_: ; @_ZN9rocsparseL32gtsv_transpose_back_array_kernelILj256ELj256EfEEviiiPKT1_PS1_
; %bb.0:
	s_load_dwordx4 s[0:3], s[4:5], 0x0
	v_lshl_or_b32 v0, s6, 8, v0
	v_lshlrev_b32_e32 v3, 8, v0
	s_waitcnt lgkmcnt(0)
	v_cvt_f32_u32_e32 v1, s1
	s_sub_i32 s3, 0, s1
	v_rcp_iflag_f32_e32 v1, v1
	v_mul_f32_e32 v1, 0x4f7ffffe, v1
	v_cvt_u32_f32_e32 v1, v1
	v_mul_lo_u32 v2, s3, v1
	v_mul_hi_u32 v2, v1, v2
	v_add_u32_e32 v1, v1, v2
	v_mul_hi_u32 v1, v3, v1
	v_mul_lo_u32 v2, v1, s1
	v_add_u32_e32 v4, 1, v1
	v_sub_u32_e32 v2, v3, v2
	v_cmp_le_u32_e32 vcc, s1, v2
	v_cndmask_b32_e32 v1, v1, v4, vcc
	v_subrev_u32_e32 v4, s1, v2
	v_cndmask_b32_e32 v2, v2, v4, vcc
	v_add_u32_e32 v4, 1, v1
	v_cmp_le_u32_e32 vcc, s1, v2
	v_cndmask_b32_e32 v1, v1, v4, vcc
	v_mul_lo_u32 v2, v1, s1
	v_sub_u32_e32 v2, v3, v2
	v_add_u32_e32 v1, v1, v2
	v_cmp_gt_i32_e32 vcc, s0, v1
	s_and_saveexec_b64 s[8:9], vcc
	s_cbranch_execz .LBB88_2
; %bb.1:
	s_load_dwordx4 s[8:11], s[4:5], 0x10
	s_mul_i32 s0, s1, s7
	v_add_u32_e32 v2, s0, v0
	v_ashrrev_i32_e32 v3, 31, v2
	v_lshlrev_b64 v[2:3], 2, v[2:3]
	s_waitcnt lgkmcnt(0)
	v_mov_b32_e32 v0, s9
	v_add_co_u32_e32 v2, vcc, s8, v2
	v_addc_co_u32_e32 v3, vcc, v0, v3, vcc
	global_load_dword v2, v[2:3], off
	s_mul_i32 s0, s2, s7
	v_add_u32_e32 v0, s0, v1
	v_ashrrev_i32_e32 v1, 31, v0
	v_lshlrev_b64 v[0:1], 2, v[0:1]
	v_mov_b32_e32 v3, s11
	v_add_co_u32_e32 v0, vcc, s10, v0
	v_addc_co_u32_e32 v1, vcc, v3, v1, vcc
	s_waitcnt vmcnt(0)
	global_store_dword v[0:1], v2, off
.LBB88_2:
	s_endpgm
	.section	.rodata,"a",@progbits
	.p2align	6, 0x0
	.amdhsa_kernel _ZN9rocsparseL32gtsv_transpose_back_array_kernelILj256ELj256EfEEviiiPKT1_PS1_
		.amdhsa_group_segment_fixed_size 0
		.amdhsa_private_segment_fixed_size 0
		.amdhsa_kernarg_size 32
		.amdhsa_user_sgpr_count 6
		.amdhsa_user_sgpr_private_segment_buffer 1
		.amdhsa_user_sgpr_dispatch_ptr 0
		.amdhsa_user_sgpr_queue_ptr 0
		.amdhsa_user_sgpr_kernarg_segment_ptr 1
		.amdhsa_user_sgpr_dispatch_id 0
		.amdhsa_user_sgpr_flat_scratch_init 0
		.amdhsa_user_sgpr_private_segment_size 0
		.amdhsa_uses_dynamic_stack 0
		.amdhsa_system_sgpr_private_segment_wavefront_offset 0
		.amdhsa_system_sgpr_workgroup_id_x 1
		.amdhsa_system_sgpr_workgroup_id_y 1
		.amdhsa_system_sgpr_workgroup_id_z 0
		.amdhsa_system_sgpr_workgroup_info 0
		.amdhsa_system_vgpr_workitem_id 0
		.amdhsa_next_free_vgpr 5
		.amdhsa_next_free_sgpr 12
		.amdhsa_reserve_vcc 1
		.amdhsa_reserve_flat_scratch 0
		.amdhsa_float_round_mode_32 0
		.amdhsa_float_round_mode_16_64 0
		.amdhsa_float_denorm_mode_32 3
		.amdhsa_float_denorm_mode_16_64 3
		.amdhsa_dx10_clamp 1
		.amdhsa_ieee_mode 1
		.amdhsa_fp16_overflow 0
		.amdhsa_exception_fp_ieee_invalid_op 0
		.amdhsa_exception_fp_denorm_src 0
		.amdhsa_exception_fp_ieee_div_zero 0
		.amdhsa_exception_fp_ieee_overflow 0
		.amdhsa_exception_fp_ieee_underflow 0
		.amdhsa_exception_fp_ieee_inexact 0
		.amdhsa_exception_int_div_zero 0
	.end_amdhsa_kernel
	.section	.text._ZN9rocsparseL32gtsv_transpose_back_array_kernelILj256ELj256EfEEviiiPKT1_PS1_,"axG",@progbits,_ZN9rocsparseL32gtsv_transpose_back_array_kernelILj256ELj256EfEEviiiPKT1_PS1_,comdat
.Lfunc_end88:
	.size	_ZN9rocsparseL32gtsv_transpose_back_array_kernelILj256ELj256EfEEviiiPKT1_PS1_, .Lfunc_end88-_ZN9rocsparseL32gtsv_transpose_back_array_kernelILj256ELj256EfEEviiiPKT1_PS1_
                                        ; -- End function
	.set _ZN9rocsparseL32gtsv_transpose_back_array_kernelILj256ELj256EfEEviiiPKT1_PS1_.num_vgpr, 5
	.set _ZN9rocsparseL32gtsv_transpose_back_array_kernelILj256ELj256EfEEviiiPKT1_PS1_.num_agpr, 0
	.set _ZN9rocsparseL32gtsv_transpose_back_array_kernelILj256ELj256EfEEviiiPKT1_PS1_.numbered_sgpr, 12
	.set _ZN9rocsparseL32gtsv_transpose_back_array_kernelILj256ELj256EfEEviiiPKT1_PS1_.num_named_barrier, 0
	.set _ZN9rocsparseL32gtsv_transpose_back_array_kernelILj256ELj256EfEEviiiPKT1_PS1_.private_seg_size, 0
	.set _ZN9rocsparseL32gtsv_transpose_back_array_kernelILj256ELj256EfEEviiiPKT1_PS1_.uses_vcc, 1
	.set _ZN9rocsparseL32gtsv_transpose_back_array_kernelILj256ELj256EfEEviiiPKT1_PS1_.uses_flat_scratch, 0
	.set _ZN9rocsparseL32gtsv_transpose_back_array_kernelILj256ELj256EfEEviiiPKT1_PS1_.has_dyn_sized_stack, 0
	.set _ZN9rocsparseL32gtsv_transpose_back_array_kernelILj256ELj256EfEEviiiPKT1_PS1_.has_recursion, 0
	.set _ZN9rocsparseL32gtsv_transpose_back_array_kernelILj256ELj256EfEEviiiPKT1_PS1_.has_indirect_call, 0
	.section	.AMDGPU.csdata,"",@progbits
; Kernel info:
; codeLenInByte = 248
; TotalNumSgprs: 16
; NumVgprs: 5
; ScratchSize: 0
; MemoryBound: 0
; FloatMode: 240
; IeeeMode: 1
; LDSByteSize: 0 bytes/workgroup (compile time only)
; SGPRBlocks: 1
; VGPRBlocks: 1
; NumSGPRsForWavesPerEU: 16
; NumVGPRsForWavesPerEU: 5
; Occupancy: 10
; WaveLimiterHint : 0
; COMPUTE_PGM_RSRC2:SCRATCH_EN: 0
; COMPUTE_PGM_RSRC2:USER_SGPR: 6
; COMPUTE_PGM_RSRC2:TRAP_HANDLER: 0
; COMPUTE_PGM_RSRC2:TGID_X_EN: 1
; COMPUTE_PGM_RSRC2:TGID_Y_EN: 1
; COMPUTE_PGM_RSRC2:TGID_Z_EN: 0
; COMPUTE_PGM_RSRC2:TIDIG_COMP_CNT: 0
	.section	.text._ZN9rocsparseL42gtsv_transpose_and_pad_array_shared_kernelILj256ELj2EdEEviiiPKT1_PS1_S1_,"axG",@progbits,_ZN9rocsparseL42gtsv_transpose_and_pad_array_shared_kernelILj256ELj2EdEEviiiPKT1_PS1_S1_,comdat
	.globl	_ZN9rocsparseL42gtsv_transpose_and_pad_array_shared_kernelILj256ELj2EdEEviiiPKT1_PS1_S1_ ; -- Begin function _ZN9rocsparseL42gtsv_transpose_and_pad_array_shared_kernelILj256ELj2EdEEviiiPKT1_PS1_S1_
	.p2align	8
	.type	_ZN9rocsparseL42gtsv_transpose_and_pad_array_shared_kernelILj256ELj2EdEEviiiPKT1_PS1_S1_,@function
_ZN9rocsparseL42gtsv_transpose_and_pad_array_shared_kernelILj256ELj2EdEEviiiPKT1_PS1_S1_: ; @_ZN9rocsparseL42gtsv_transpose_and_pad_array_shared_kernelILj256ELj2EdEEviiiPKT1_PS1_S1_
; %bb.0:
	s_load_dwordx4 s[0:3], s[4:5], 0x0
	s_load_dwordx2 s[8:9], s[4:5], 0x20
	v_lshl_or_b32 v3, s6, 8, v0
	s_waitcnt lgkmcnt(0)
	v_cmp_gt_i32_e32 vcc, s0, v3
	v_mov_b32_e32 v1, s8
	v_mov_b32_e32 v2, s9
	s_and_saveexec_b64 s[8:9], vcc
	s_cbranch_execz .LBB89_2
; %bb.1:
	s_load_dwordx2 s[10:11], s[4:5], 0x10
	s_mul_i32 s0, s2, s7
	v_add_u32_e32 v1, s0, v3
	v_ashrrev_i32_e32 v2, 31, v1
	v_lshlrev_b64 v[1:2], 3, v[1:2]
	s_waitcnt lgkmcnt(0)
	v_mov_b32_e32 v3, s11
	v_add_co_u32_e32 v1, vcc, s10, v1
	v_addc_co_u32_e32 v2, vcc, v3, v2, vcc
	global_load_dwordx2 v[1:2], v[1:2], off
.LBB89_2:
	s_or_b64 exec, exec, s[8:9]
	v_lshrrev_b32_e32 v3, 7, v0
	v_and_b32_e32 v4, 0x7f, v0
	v_lshlrev_b32_e32 v0, 3, v0
	s_waitcnt vmcnt(0)
	ds_write_b64 v0, v[1:2]
	s_lshr_b32 s0, s1, 1
	v_lshl_or_b32 v0, s6, 7, v4
	v_mad_u64_u32 v[0:1], s[2:3], s0, v3, v[0:1]
	s_waitcnt lgkmcnt(0)
	s_barrier
	v_cmp_gt_i32_e32 vcc, s1, v0
	s_and_saveexec_b64 s[2:3], vcc
	s_cbranch_execz .LBB89_4
; %bb.3:
	s_load_dwordx2 s[2:3], s[4:5], 0x18
	v_lshlrev_b32_e32 v1, 3, v3
	s_mul_i32 s0, s1, s7
	v_lshl_or_b32 v1, v4, 4, v1
	v_add_u32_e32 v3, s0, v0
	ds_read_b64 v[1:2], v1
	v_ashrrev_i32_e32 v4, 31, v3
	v_lshlrev_b64 v[3:4], 3, v[3:4]
	s_waitcnt lgkmcnt(0)
	v_mov_b32_e32 v0, s3
	v_add_co_u32_e32 v3, vcc, s2, v3
	v_addc_co_u32_e32 v4, vcc, v0, v4, vcc
	global_store_dwordx2 v[3:4], v[1:2], off
.LBB89_4:
	s_endpgm
	.section	.rodata,"a",@progbits
	.p2align	6, 0x0
	.amdhsa_kernel _ZN9rocsparseL42gtsv_transpose_and_pad_array_shared_kernelILj256ELj2EdEEviiiPKT1_PS1_S1_
		.amdhsa_group_segment_fixed_size 2048
		.amdhsa_private_segment_fixed_size 0
		.amdhsa_kernarg_size 40
		.amdhsa_user_sgpr_count 6
		.amdhsa_user_sgpr_private_segment_buffer 1
		.amdhsa_user_sgpr_dispatch_ptr 0
		.amdhsa_user_sgpr_queue_ptr 0
		.amdhsa_user_sgpr_kernarg_segment_ptr 1
		.amdhsa_user_sgpr_dispatch_id 0
		.amdhsa_user_sgpr_flat_scratch_init 0
		.amdhsa_user_sgpr_private_segment_size 0
		.amdhsa_uses_dynamic_stack 0
		.amdhsa_system_sgpr_private_segment_wavefront_offset 0
		.amdhsa_system_sgpr_workgroup_id_x 1
		.amdhsa_system_sgpr_workgroup_id_y 1
		.amdhsa_system_sgpr_workgroup_id_z 0
		.amdhsa_system_sgpr_workgroup_info 0
		.amdhsa_system_vgpr_workitem_id 0
		.amdhsa_next_free_vgpr 5
		.amdhsa_next_free_sgpr 12
		.amdhsa_reserve_vcc 1
		.amdhsa_reserve_flat_scratch 0
		.amdhsa_float_round_mode_32 0
		.amdhsa_float_round_mode_16_64 0
		.amdhsa_float_denorm_mode_32 3
		.amdhsa_float_denorm_mode_16_64 3
		.amdhsa_dx10_clamp 1
		.amdhsa_ieee_mode 1
		.amdhsa_fp16_overflow 0
		.amdhsa_exception_fp_ieee_invalid_op 0
		.amdhsa_exception_fp_denorm_src 0
		.amdhsa_exception_fp_ieee_div_zero 0
		.amdhsa_exception_fp_ieee_overflow 0
		.amdhsa_exception_fp_ieee_underflow 0
		.amdhsa_exception_fp_ieee_inexact 0
		.amdhsa_exception_int_div_zero 0
	.end_amdhsa_kernel
	.section	.text._ZN9rocsparseL42gtsv_transpose_and_pad_array_shared_kernelILj256ELj2EdEEviiiPKT1_PS1_S1_,"axG",@progbits,_ZN9rocsparseL42gtsv_transpose_and_pad_array_shared_kernelILj256ELj2EdEEviiiPKT1_PS1_S1_,comdat
.Lfunc_end89:
	.size	_ZN9rocsparseL42gtsv_transpose_and_pad_array_shared_kernelILj256ELj2EdEEviiiPKT1_PS1_S1_, .Lfunc_end89-_ZN9rocsparseL42gtsv_transpose_and_pad_array_shared_kernelILj256ELj2EdEEviiiPKT1_PS1_S1_
                                        ; -- End function
	.set _ZN9rocsparseL42gtsv_transpose_and_pad_array_shared_kernelILj256ELj2EdEEviiiPKT1_PS1_S1_.num_vgpr, 5
	.set _ZN9rocsparseL42gtsv_transpose_and_pad_array_shared_kernelILj256ELj2EdEEviiiPKT1_PS1_S1_.num_agpr, 0
	.set _ZN9rocsparseL42gtsv_transpose_and_pad_array_shared_kernelILj256ELj2EdEEviiiPKT1_PS1_S1_.numbered_sgpr, 12
	.set _ZN9rocsparseL42gtsv_transpose_and_pad_array_shared_kernelILj256ELj2EdEEviiiPKT1_PS1_S1_.num_named_barrier, 0
	.set _ZN9rocsparseL42gtsv_transpose_and_pad_array_shared_kernelILj256ELj2EdEEviiiPKT1_PS1_S1_.private_seg_size, 0
	.set _ZN9rocsparseL42gtsv_transpose_and_pad_array_shared_kernelILj256ELj2EdEEviiiPKT1_PS1_S1_.uses_vcc, 1
	.set _ZN9rocsparseL42gtsv_transpose_and_pad_array_shared_kernelILj256ELj2EdEEviiiPKT1_PS1_S1_.uses_flat_scratch, 0
	.set _ZN9rocsparseL42gtsv_transpose_and_pad_array_shared_kernelILj256ELj2EdEEviiiPKT1_PS1_S1_.has_dyn_sized_stack, 0
	.set _ZN9rocsparseL42gtsv_transpose_and_pad_array_shared_kernelILj256ELj2EdEEviiiPKT1_PS1_S1_.has_recursion, 0
	.set _ZN9rocsparseL42gtsv_transpose_and_pad_array_shared_kernelILj256ELj2EdEEviiiPKT1_PS1_S1_.has_indirect_call, 0
	.section	.AMDGPU.csdata,"",@progbits
; Kernel info:
; codeLenInByte = 248
; TotalNumSgprs: 16
; NumVgprs: 5
; ScratchSize: 0
; MemoryBound: 0
; FloatMode: 240
; IeeeMode: 1
; LDSByteSize: 2048 bytes/workgroup (compile time only)
; SGPRBlocks: 1
; VGPRBlocks: 1
; NumSGPRsForWavesPerEU: 16
; NumVGPRsForWavesPerEU: 5
; Occupancy: 10
; WaveLimiterHint : 0
; COMPUTE_PGM_RSRC2:SCRATCH_EN: 0
; COMPUTE_PGM_RSRC2:USER_SGPR: 6
; COMPUTE_PGM_RSRC2:TRAP_HANDLER: 0
; COMPUTE_PGM_RSRC2:TGID_X_EN: 1
; COMPUTE_PGM_RSRC2:TGID_Y_EN: 1
; COMPUTE_PGM_RSRC2:TGID_Z_EN: 0
; COMPUTE_PGM_RSRC2:TIDIG_COMP_CNT: 0
	.section	.text._ZN9rocsparseL18gtsv_LBM_wv_kernelILj256ELj2EdEEviiiPKT1_S3_S3_PS1_S4_S4_Pi,"axG",@progbits,_ZN9rocsparseL18gtsv_LBM_wv_kernelILj256ELj2EdEEviiiPKT1_S3_S3_PS1_S4_S4_Pi,comdat
	.globl	_ZN9rocsparseL18gtsv_LBM_wv_kernelILj256ELj2EdEEviiiPKT1_S3_S3_PS1_S4_S4_Pi ; -- Begin function _ZN9rocsparseL18gtsv_LBM_wv_kernelILj256ELj2EdEEviiiPKT1_S3_S3_PS1_S4_S4_Pi
	.p2align	8
	.type	_ZN9rocsparseL18gtsv_LBM_wv_kernelILj256ELj2EdEEviiiPKT1_S3_S3_PS1_S4_S4_Pi,@function
_ZN9rocsparseL18gtsv_LBM_wv_kernelILj256ELj2EdEEviiiPKT1_S3_S3_PS1_S4_S4_Pi: ; @_ZN9rocsparseL18gtsv_LBM_wv_kernelILj256ELj2EdEEviiiPKT1_S3_S3_PS1_S4_S4_Pi
; %bb.0:
	s_load_dword s25, s[4:5], 0x0
	v_lshl_or_b32 v0, s6, 8, v0
	s_waitcnt lgkmcnt(0)
	s_lshr_b32 s24, s25, 1
	v_cmp_gt_i32_e32 vcc, s24, v0
	s_and_saveexec_b64 s[0:1], vcc
	s_cbranch_execz .LBB90_26
; %bb.1:
	s_load_dwordx2 s[16:17], s[4:5], 0x10
	s_load_dwordx8 s[8:15], s[4:5], 0x20
	v_ashrrev_i32_e32 v1, 31, v0
	v_lshlrev_b64 v[6:7], 3, v[0:1]
	s_load_dwordx2 s[6:7], s[4:5], 0x40
	s_waitcnt lgkmcnt(0)
	v_mov_b32_e32 v2, s17
	v_add_co_u32_e32 v1, vcc, s16, v6
	v_addc_co_u32_e32 v2, vcc, v2, v7, vcc
	global_load_dwordx2 v[8:9], v[1:2], off
	v_add_u32_e32 v1, s24, v0
	v_mov_b32_e32 v2, 0
	v_lshlrev_b64 v[10:11], 3, v[1:2]
	v_mov_b32_e32 v4, s9
	v_add_co_u32_e32 v3, vcc, s8, v10
	v_addc_co_u32_e32 v4, vcc, v4, v11, vcc
	global_load_dwordx2 v[12:13], v[3:4], off
	v_mov_b32_e32 v4, s11
	v_add_co_u32_e32 v3, vcc, s10, v6
	v_addc_co_u32_e32 v4, vcc, v4, v7, vcc
	v_mov_b32_e32 v5, s13
	v_add_co_u32_e32 v10, vcc, s12, v10
	s_cmp_lt_i32 s25, 1
	v_addc_co_u32_e32 v11, vcc, v5, v11, vcc
	v_mov_b32_e32 v5, v2
	s_waitcnt vmcnt(1)
	global_store_dwordx2 v[3:4], v[8:9], off
	s_waitcnt vmcnt(1)
	global_store_dwordx2 v[10:11], v[12:13], off
	s_cbranch_scc1 .LBB90_19
; %bb.2:
	s_load_dwordx2 s[4:5], s[4:5], 0x18
	s_mov_b32 s20, 0x372fe950
	s_and_b32 s26, s25, 0x7ffffffe
	s_mov_b64 s[18:19], 0
	s_mov_b32 s21, 0x3fe3c6ef
	s_waitcnt lgkmcnt(0)
	v_mov_b32_e32 v2, s5
	v_add_co_u32_e32 v5, vcc, s4, v6
	v_addc_co_u32_e32 v6, vcc, v2, v7, vcc
	global_load_dwordx2 v[7:8], v[5:6], off
	v_mov_b32_e32 v5, 0
	v_mov_b32_e32 v2, 2
	;; [unrolled: 1-line block ×4, first 2 shown]
	s_branch .LBB90_5
.LBB90_3:                               ;   in Loop: Header=BB90_5 Depth=1
	s_or_b64 exec, exec, s[22:23]
	v_fma_f64 v[19:20], -v[6:7], v[21:22], v[11:12]
	v_mov_b32_e32 v6, s24
.LBB90_4:                               ;   in Loop: Header=BB90_5 Depth=1
	s_or_b64 exec, exec, s[2:3]
	v_add_u32_e32 v5, v6, v5
	v_cmp_le_i32_e32 vcc, s25, v5
	v_mov_b32_e32 v7, v19
	s_or_b64 s[18:19], vcc, s[18:19]
	v_mov_b32_e32 v8, v20
	s_andn2_b64 exec, exec, s[18:19]
	s_cbranch_execz .LBB90_18
.LBB90_5:                               ; =>This Inner Loop Header: Depth=1
	v_add_u32_e32 v17, v5, v0
	v_ashrrev_i32_e32 v18, 31, v17
	v_lshlrev_b64 v[15:16], 3, v[17:18]
	v_mov_b32_e32 v11, 0
	v_add_co_u32_e32 v9, vcc, s8, v15
	v_addc_co_u32_e32 v10, vcc, v36, v16, vcc
	global_load_dwordx2 v[13:14], v[9:10], off
	v_mov_b32_e32 v9, 0
	v_mov_b32_e32 v12, 0
	;; [unrolled: 1-line block ×3, first 2 shown]
	v_cmp_gt_u32_e64 s[0:1], s24, v5
	s_and_saveexec_b64 s[2:3], s[0:1]
	s_cbranch_execz .LBB90_7
; %bb.6:                                ;   in Loop: Header=BB90_5 Depth=1
	v_add_u32_e32 v9, v1, v5
	v_ashrrev_i32_e32 v10, 31, v9
	v_lshlrev_b64 v[9:10], 3, v[9:10]
	v_mov_b32_e32 v6, s17
	v_add_co_u32_e32 v9, vcc, s16, v9
	v_addc_co_u32_e32 v10, vcc, v6, v10, vcc
	global_load_dwordx2 v[9:10], v[9:10], off
.LBB90_7:                               ;   in Loop: Header=BB90_5 Depth=1
	s_or_b64 exec, exec, s[2:3]
	s_and_saveexec_b64 s[2:3], s[0:1]
	s_cbranch_execz .LBB90_9
; %bb.8:                                ;   in Loop: Header=BB90_5 Depth=1
	v_add_u32_e32 v11, v1, v5
	v_ashrrev_i32_e32 v12, 31, v11
	v_lshlrev_b64 v[11:12], 3, v[11:12]
	v_mov_b32_e32 v6, s5
	v_add_co_u32_e32 v11, vcc, s4, v11
	v_addc_co_u32_e32 v12, vcc, v6, v12, vcc
	global_load_dwordx2 v[11:12], v[11:12], off
.LBB90_9:                               ;   in Loop: Header=BB90_5 Depth=1
	s_or_b64 exec, exec, s[2:3]
	v_mov_b32_e32 v19, 0
	v_mov_b32_e32 v20, 0
	s_and_saveexec_b64 s[2:3], s[0:1]
	s_cbranch_execz .LBB90_11
; %bb.10:                               ;   in Loop: Header=BB90_5 Depth=1
	v_add_u32_e32 v19, v1, v5
	v_ashrrev_i32_e32 v20, 31, v19
	v_lshlrev_b64 v[19:20], 3, v[19:20]
	v_mov_b32_e32 v6, s9
	v_add_co_u32_e32 v19, vcc, s8, v19
	v_addc_co_u32_e32 v20, vcc, v6, v20, vcc
	global_load_dwordx2 v[19:20], v[19:20], off
.LBB90_11:                              ;   in Loop: Header=BB90_5 Depth=1
	s_or_b64 exec, exec, s[2:3]
	s_waitcnt vmcnt(0)
	v_cmp_gt_f64_e32 vcc, 0, v[9:10]
	v_cmp_gt_f64_e64 s[2:3], 0, v[11:12]
	v_xor_b32_e32 v6, 0x80000000, v10
	v_mov_b32_e32 v21, v9
	v_mov_b32_e32 v23, v11
	;; [unrolled: 1-line block ×3, first 2 shown]
	v_xor_b32_e32 v28, 0x80000000, v20
	v_mov_b32_e32 v27, v19
	v_cndmask_b32_e32 v22, v10, v6, vcc
	v_cmp_ngt_f64_e32 vcc, 0, v[21:22]
	v_xor_b32_e32 v6, 0x80000000, v12
	v_cndmask_b32_e64 v24, v12, v6, s[2:3]
	v_cmp_gt_f64_e64 s[2:3], 0, v[13:14]
	v_xor_b32_e32 v6, 0x80000000, v14
	v_cndmask_b32_e32 v22, 0, v22, vcc
	v_cndmask_b32_e32 v21, 0, v9, vcc
	v_cmp_lt_f64_e32 vcc, v[23:24], v[21:22]
	v_cndmask_b32_e64 v26, v14, v6, s[2:3]
	v_cmp_gt_f64_e64 s[2:3], 0, v[19:20]
	v_xor_b32_e32 v6, 0x80000000, v8
	v_cndmask_b32_e32 v24, v24, v22, vcc
	v_cndmask_b32_e32 v23, v11, v21, vcc
	v_cmp_lt_f64_e32 vcc, v[25:26], v[23:24]
	v_mul_f64 v[21:22], v[13:14], v[9:10]
	v_cndmask_b32_e64 v28, v20, v28, s[2:3]
	v_cmp_gt_f64_e64 s[2:3], 0, v[7:8]
	v_mov_b32_e32 v25, v7
	v_cndmask_b32_e32 v24, v26, v24, vcc
	v_cndmask_b32_e32 v23, v13, v23, vcc
	v_cmp_lt_f64_e32 vcc, v[27:28], v[23:24]
	v_cndmask_b32_e64 v26, v8, v6, s[2:3]
	v_cmp_gt_f64_e64 s[2:3], 0, v[21:22]
	v_xor_b32_e32 v6, 0x80000000, v22
	v_mov_b32_e32 v29, v21
	v_cndmask_b32_e32 v24, v28, v24, vcc
	v_cndmask_b32_e32 v23, v19, v23, vcc
	v_cndmask_b32_e64 v30, v22, v6, s[2:3]
	v_mul_f64 v[23:24], v[25:26], v[23:24]
	v_mul_f64 v[25:26], v[29:30], s[20:21]
	v_cmp_ne_u32_e64 s[2:3], s24, v5
	v_cmp_nge_f64_e32 vcc, v[23:24], v[25:26]
	s_and_b64 s[2:3], s[2:3], vcc
	s_and_saveexec_b64 s[22:23], s[2:3]
	s_xor_b64 s[22:23], exec, s[22:23]
	s_cbranch_execz .LBB90_15
; %bb.12:                               ;   in Loop: Header=BB90_5 Depth=1
	v_fma_f64 v[37:38], v[7:8], v[11:12], -v[21:22]
	v_ashrrev_i32_e32 v6, 31, v5
	v_lshlrev_b64 v[33:34], 2, v[17:18]
	v_lshlrev_b64 v[17:18], 3, v[5:6]
	v_mov_b32_e32 v31, s11
	v_mov_b32_e32 v32, s13
	;; [unrolled: 1-line block ×4, first 2 shown]
	v_div_scale_f64 v[25:26], s[2:3], v[37:38], v[37:38], 1.0
	v_div_scale_f64 v[27:28], vcc, 1.0, v[37:38], 1.0
	v_add_co_u32_e64 v39, s[2:3], s12, v15
	v_rcp_f64_e32 v[21:22], v[25:26]
	v_fma_f64 v[23:24], -v[25:26], v[21:22], 1.0
	v_fma_f64 v[22:23], v[21:22], v[23:24], v[21:22]
	v_add_u32_e32 v21, v1, v5
	v_mov_b32_e32 v24, s13
	v_addc_co_u32_e64 v40, s[2:3], v24, v16, s[2:3]
	v_add_co_u32_e64 v43, s[2:3], v3, v17
	v_addc_co_u32_e64 v44, s[2:3], v4, v18, s[2:3]
	v_fma_f64 v[29:30], -v[25:26], v[22:23], 1.0
	v_fma_f64 v[29:30], v[22:23], v[29:30], v[22:23]
	v_ashrrev_i32_e32 v22, 31, v21
	v_lshlrev_b64 v[23:24], 3, v[21:22]
	v_add_co_u32_e64 v17, s[2:3], s10, v23
	v_addc_co_u32_e64 v18, s[2:3], v31, v24, s[2:3]
	v_mul_f64 v[41:42], v[27:28], v[29:30]
	v_fma_f64 v[45:46], -v[25:26], v[41:42], v[27:28]
	v_add_co_u32_e64 v25, s[2:3], s12, v23
	global_load_dwordx2 v[27:28], v[17:18], off
	v_addc_co_u32_e64 v26, s[2:3], v32, v24, s[2:3]
	global_load_dwordx2 v[31:32], v[43:44], off
	v_div_fmas_f64 v[41:42], v[45:46], v[29:30], v[41:42]
	global_load_dwordx2 v[29:30], v[25:26], off
	v_add_co_u32_e32 v45, vcc, s14, v15
	v_addc_co_u32_e32 v46, vcc, v47, v16, vcc
	v_add_co_u32_e32 v47, vcc, s6, v33
	v_addc_co_u32_e32 v48, vcc, v6, v34, vcc
	global_load_dwordx2 v[33:34], v[39:40], off
	v_div_fixup_f64 v[15:16], v[41:42], v[37:38], 1.0
	s_waitcnt vmcnt(3)
	v_mul_f64 v[37:38], v[13:14], v[27:28]
	s_waitcnt vmcnt(1)
	v_mul_f64 v[41:42], v[13:14], v[29:30]
	v_mul_f64 v[13:14], v[19:20], -v[13:14]
	v_fma_f64 v[37:38], v[11:12], v[31:32], -v[37:38]
	s_waitcnt vmcnt(0)
	v_fma_f64 v[11:12], v[11:12], v[33:34], -v[41:42]
	v_mul_f64 v[37:38], v[15:16], v[37:38]
	v_mul_f64 v[13:14], v[15:16], v[13:14]
	;; [unrolled: 1-line block ×3, first 2 shown]
	global_store_dwordx2 v[43:44], v[37:38], off
	global_store_dwordx2 v[39:40], v[11:12], off
	;; [unrolled: 1-line block ×3, first 2 shown]
	global_store_dword v[47:48], v2, off
	s_and_saveexec_b64 s[2:3], s[0:1]
	s_cbranch_execz .LBB90_14
; %bb.13:                               ;   in Loop: Header=BB90_5 Depth=1
	v_mul_f64 v[11:12], v[9:10], v[31:32]
	v_mul_f64 v[9:10], v[9:10], v[33:34]
	;; [unrolled: 1-line block ×3, first 2 shown]
	v_mov_b32_e32 v19, s15
	v_mov_b32_e32 v20, s7
	v_fma_f64 v[11:12], v[7:8], v[27:28], -v[11:12]
	v_fma_f64 v[6:7], v[7:8], v[29:30], -v[9:10]
	v_mul_f64 v[13:14], v[15:16], v[13:14]
	v_lshlrev_b64 v[8:9], 2, v[21:22]
	v_mul_f64 v[10:11], v[15:16], v[11:12]
	v_mul_f64 v[6:7], v[15:16], v[6:7]
	v_add_co_u32_e32 v15, vcc, s14, v23
	v_addc_co_u32_e32 v16, vcc, v19, v24, vcc
	v_add_co_u32_e32 v8, vcc, s6, v8
	v_addc_co_u32_e32 v9, vcc, v20, v9, vcc
	global_store_dwordx2 v[15:16], v[13:14], off
	global_store_dwordx2 v[17:18], v[10:11], off
	;; [unrolled: 1-line block ×3, first 2 shown]
	global_store_dword v[8:9], v2, off
.LBB90_14:                              ;   in Loop: Header=BB90_5 Depth=1
	s_or_b64 exec, exec, s[2:3]
                                        ; implicit-def: $vgpr21_vgpr22
                                        ; implicit-def: $vgpr11_vgpr12
                                        ; implicit-def: $vgpr7_vgpr8
                                        ; implicit-def: $vgpr13_vgpr14
                                        ; implicit-def: $vgpr15_vgpr16
                                        ; implicit-def: $vgpr17_vgpr18
                                        ; implicit-def: $vgpr9_vgpr10
.LBB90_15:                              ;   in Loop: Header=BB90_5 Depth=1
	s_or_saveexec_b64 s[2:3], s[22:23]
	v_mov_b32_e32 v19, 0
	v_mov_b32_e32 v20, 0
	;; [unrolled: 1-line block ×3, first 2 shown]
	s_xor_b64 exec, exec, s[2:3]
	s_cbranch_execz .LBB90_4
; %bb.16:                               ;   in Loop: Header=BB90_5 Depth=1
	v_div_scale_f64 v[23:24], s[22:23], v[7:8], v[7:8], 1.0
	v_ashrrev_i32_e32 v6, 31, v5
	v_mov_b32_e32 v28, s13
	v_lshlrev_b64 v[19:20], 3, v[5:6]
	v_add_co_u32_e32 v27, vcc, s12, v15
	v_addc_co_u32_e32 v28, vcc, v28, v16, vcc
	v_add_co_u32_e32 v29, vcc, v3, v19
	v_addc_co_u32_e32 v30, vcc, v4, v20, vcc
	global_load_dwordx2 v[19:20], v[29:30], off
	global_load_dwordx2 v[31:32], v[27:28], off
	v_lshlrev_b64 v[17:18], 2, v[17:18]
	v_rcp_f64_e32 v[25:26], v[23:24]
	v_fma_f64 v[33:34], -v[23:24], v[25:26], 1.0
	v_fma_f64 v[25:26], v[25:26], v[33:34], v[25:26]
	v_div_scale_f64 v[33:34], vcc, 1.0, v[7:8], 1.0
	v_fma_f64 v[37:38], -v[23:24], v[25:26], 1.0
	v_fma_f64 v[25:26], v[25:26], v[37:38], v[25:26]
	v_mul_f64 v[37:38], v[33:34], v[25:26]
	v_fma_f64 v[23:24], -v[23:24], v[37:38], v[33:34]
	v_mov_b32_e32 v33, s7
	v_div_fmas_f64 v[23:24], v[23:24], v[25:26], v[37:38]
	v_add_co_u32_e32 v15, vcc, s14, v15
	v_div_fixup_f64 v[6:7], v[23:24], v[7:8], 1.0
	v_mov_b32_e32 v8, s15
	v_addc_co_u32_e32 v16, vcc, v8, v16, vcc
	v_add_co_u32_e32 v17, vcc, s6, v17
	v_addc_co_u32_e32 v18, vcc, v33, v18, vcc
	s_waitcnt vmcnt(1)
	v_mul_f64 v[23:24], v[6:7], v[19:20]
	s_waitcnt vmcnt(0)
	v_mul_f64 v[25:26], v[6:7], v[31:32]
	v_mul_f64 v[13:14], v[6:7], v[13:14]
	global_store_dwordx2 v[29:30], v[23:24], off
	global_store_dwordx2 v[27:28], v[25:26], off
	;; [unrolled: 1-line block ×3, first 2 shown]
	global_store_dword v[17:18], v35, off
	s_and_saveexec_b64 s[22:23], s[0:1]
	s_cbranch_execz .LBB90_3
; %bb.17:                               ;   in Loop: Header=BB90_5 Depth=1
	v_add_u32_e32 v13, v1, v5
	v_ashrrev_i32_e32 v14, 31, v13
	v_lshlrev_b64 v[13:14], 3, v[13:14]
	v_mov_b32_e32 v8, s11
	v_add_co_u32_e32 v13, vcc, s10, v13
	v_addc_co_u32_e32 v14, vcc, v8, v14, vcc
	global_load_dwordx2 v[15:16], v[13:14], off
	v_mul_f64 v[8:9], v[9:10], v[6:7]
	s_waitcnt vmcnt(0)
	v_fma_f64 v[8:9], -v[8:9], v[19:20], v[15:16]
	global_store_dwordx2 v[13:14], v[8:9], off
	s_branch .LBB90_3
.LBB90_18:
	s_or_b64 exec, exec, s[18:19]
.LBB90_19:
	v_subrev_u32_e32 v2, s24, v5
	v_add_u32_e32 v5, v2, v0
	v_ashrrev_i32_e32 v6, 31, v5
	v_lshlrev_b64 v[5:6], 2, v[5:6]
	v_mov_b32_e32 v7, s7
	v_add_co_u32_e32 v5, vcc, s6, v5
	v_addc_co_u32_e32 v6, vcc, v7, v6, vcc
	s_waitcnt vmcnt(0)
	buffer_wbinvl1_vol
	global_load_dword v5, v[5:6], off
	s_waitcnt vmcnt(0)
	v_mul_lo_u32 v5, v5, s24
	v_sub_u32_e32 v5, v2, v5
	v_cmp_lt_i32_e32 vcc, -1, v5
	s_and_b64 exec, exec, vcc
	s_cbranch_execz .LBB90_26
; %bb.20:
	v_subrev_u32_e32 v2, s24, v0
	s_and_b32 s4, s25, -2
	s_mov_b64 s[0:1], 0
	v_mov_b32_e32 v11, s7
	v_mov_b32_e32 v12, s15
	s_branch .LBB90_22
.LBB90_21:                              ;   in Loop: Header=BB90_22 Depth=1
	s_or_b64 exec, exec, s[2:3]
	v_sub_u32_e32 v5, v5, v6
	v_cmp_gt_i32_e32 vcc, 0, v5
	s_or_b64 s[0:1], vcc, s[0:1]
	s_andn2_b64 exec, exec, s[0:1]
	s_cbranch_execz .LBB90_26
.LBB90_22:                              ; =>This Inner Loop Header: Depth=1
	v_add_u32_e32 v6, v5, v0
	s_waitcnt vmcnt(0)
	v_ashrrev_i32_e32 v7, 31, v6
	v_lshlrev_b64 v[8:9], 2, v[6:7]
	v_add_co_u32_e32 v8, vcc, s6, v8
	v_addc_co_u32_e32 v9, vcc, v11, v9, vcc
	global_load_dword v13, v[8:9], off
	v_lshlrev_b64 v[9:10], 3, v[6:7]
	v_add_co_u32_e32 v6, vcc, s14, v9
	v_addc_co_u32_e32 v7, vcc, v12, v10, vcc
	global_load_dwordx2 v[7:8], v[6:7], off
	s_waitcnt vmcnt(1)
	v_cmp_ne_u32_e32 vcc, 1, v13
	s_and_saveexec_b64 s[2:3], vcc
	s_xor_b64 s[2:3], exec, s[2:3]
	s_cbranch_execz .LBB90_24
; %bb.23:                               ;   in Loop: Header=BB90_22 Depth=1
	v_add_u32_e32 v13, v1, v5
	v_ashrrev_i32_e32 v14, 31, v13
	v_lshlrev_b64 v[13:14], 3, v[13:14]
	v_mov_b32_e32 v6, s11
	v_add_co_u32_e32 v15, vcc, s10, v13
	v_addc_co_u32_e32 v16, vcc, v6, v14, vcc
	v_ashrrev_i32_e32 v6, 31, v5
	v_lshlrev_b64 v[17:18], 3, v[5:6]
	v_mov_b32_e32 v6, s13
	v_add_co_u32_e32 v17, vcc, v3, v17
	v_addc_co_u32_e32 v18, vcc, v4, v18, vcc
	v_add_co_u32_e32 v13, vcc, s12, v13
	v_addc_co_u32_e32 v14, vcc, v6, v14, vcc
	global_load_dwordx2 v[19:20], v[15:16], off
	global_load_dwordx2 v[21:22], v[17:18], off
	v_add_co_u32_e32 v9, vcc, s12, v9
	v_addc_co_u32_e32 v10, vcc, v6, v10, vcc
	global_load_dwordx2 v[23:24], v[13:14], off
	global_load_dwordx2 v[25:26], v[9:10], off
	v_add_u32_e32 v27, v2, v5
	v_ashrrev_i32_e32 v28, 31, v27
	v_lshlrev_b64 v[27:28], 3, v[27:28]
	v_mov_b32_e32 v6, s15
	v_add_co_u32_e32 v29, vcc, s14, v27
	v_addc_co_u32_e32 v30, vcc, v6, v28, vcc
	v_mov_b32_e32 v31, s11
	v_mov_b32_e32 v32, s13
	s_waitcnt vmcnt(2)
	v_fma_f64 v[19:20], -v[7:8], v[19:20], v[21:22]
	v_add_co_u32_e32 v21, vcc, s10, v27
	v_addc_co_u32_e32 v22, vcc, v31, v28, vcc
	s_waitcnt vmcnt(0)
	v_fma_f64 v[6:7], -v[7:8], v[23:24], v[25:26]
	v_add_co_u32_e32 v23, vcc, s12, v27
	global_load_dwordx2 v[25:26], v[29:30], off
	s_nop 0
	global_store_dwordx2 v[17:18], v[19:20], off
	global_store_dwordx2 v[9:10], v[6:7], off
	v_addc_co_u32_e32 v24, vcc, v32, v28, vcc
	global_load_dwordx2 v[6:7], v[15:16], off
	global_load_dwordx2 v[8:9], v[21:22], off
	;; [unrolled: 1-line block ×4, first 2 shown]
	s_waitcnt vmcnt(2)
	v_fma_f64 v[6:7], -v[25:26], v[6:7], v[8:9]
	s_waitcnt vmcnt(0)
	v_fma_f64 v[8:9], -v[25:26], v[17:18], v[19:20]
	global_store_dwordx2 v[21:22], v[6:7], off
	global_store_dwordx2 v[23:24], v[8:9], off
                                        ; implicit-def: $vgpr7_vgpr8
                                        ; implicit-def: $vgpr9_vgpr10
.LBB90_24:                              ;   in Loop: Header=BB90_22 Depth=1
	s_or_saveexec_b64 s[2:3], s[2:3]
	v_mov_b32_e32 v6, s4
	s_xor_b64 exec, exec, s[2:3]
	s_cbranch_execz .LBB90_21
; %bb.25:                               ;   in Loop: Header=BB90_22 Depth=1
	v_add_u32_e32 v13, v1, v5
	v_ashrrev_i32_e32 v14, 31, v13
	v_lshlrev_b64 v[13:14], 3, v[13:14]
	v_mov_b32_e32 v6, s11
	v_add_co_u32_e32 v15, vcc, s10, v13
	v_addc_co_u32_e32 v16, vcc, v6, v14, vcc
	v_ashrrev_i32_e32 v6, 31, v5
	v_lshlrev_b64 v[17:18], 3, v[5:6]
	v_mov_b32_e32 v6, s13
	v_add_co_u32_e32 v17, vcc, v3, v17
	v_addc_co_u32_e32 v18, vcc, v4, v18, vcc
	v_add_co_u32_e32 v13, vcc, s12, v13
	v_addc_co_u32_e32 v14, vcc, v6, v14, vcc
	global_load_dwordx2 v[19:20], v[15:16], off
	global_load_dwordx2 v[21:22], v[17:18], off
	v_add_co_u32_e32 v9, vcc, s12, v9
	v_addc_co_u32_e32 v10, vcc, v6, v10, vcc
	global_load_dwordx2 v[15:16], v[13:14], off
	global_load_dwordx2 v[23:24], v[9:10], off
	s_waitcnt vmcnt(2)
	v_fma_f64 v[13:14], -v[7:8], v[19:20], v[21:22]
	s_waitcnt vmcnt(0)
	v_fma_f64 v[6:7], -v[7:8], v[15:16], v[23:24]
	global_store_dwordx2 v[17:18], v[13:14], off
	global_store_dwordx2 v[9:10], v[6:7], off
	v_mov_b32_e32 v6, s24
	s_branch .LBB90_21
.LBB90_26:
	s_endpgm
	.section	.rodata,"a",@progbits
	.p2align	6, 0x0
	.amdhsa_kernel _ZN9rocsparseL18gtsv_LBM_wv_kernelILj256ELj2EdEEviiiPKT1_S3_S3_PS1_S4_S4_Pi
		.amdhsa_group_segment_fixed_size 0
		.amdhsa_private_segment_fixed_size 0
		.amdhsa_kernarg_size 72
		.amdhsa_user_sgpr_count 6
		.amdhsa_user_sgpr_private_segment_buffer 1
		.amdhsa_user_sgpr_dispatch_ptr 0
		.amdhsa_user_sgpr_queue_ptr 0
		.amdhsa_user_sgpr_kernarg_segment_ptr 1
		.amdhsa_user_sgpr_dispatch_id 0
		.amdhsa_user_sgpr_flat_scratch_init 0
		.amdhsa_user_sgpr_private_segment_size 0
		.amdhsa_uses_dynamic_stack 0
		.amdhsa_system_sgpr_private_segment_wavefront_offset 0
		.amdhsa_system_sgpr_workgroup_id_x 1
		.amdhsa_system_sgpr_workgroup_id_y 0
		.amdhsa_system_sgpr_workgroup_id_z 0
		.amdhsa_system_sgpr_workgroup_info 0
		.amdhsa_system_vgpr_workitem_id 0
		.amdhsa_next_free_vgpr 49
		.amdhsa_next_free_sgpr 27
		.amdhsa_reserve_vcc 1
		.amdhsa_reserve_flat_scratch 0
		.amdhsa_float_round_mode_32 0
		.amdhsa_float_round_mode_16_64 0
		.amdhsa_float_denorm_mode_32 3
		.amdhsa_float_denorm_mode_16_64 3
		.amdhsa_dx10_clamp 1
		.amdhsa_ieee_mode 1
		.amdhsa_fp16_overflow 0
		.amdhsa_exception_fp_ieee_invalid_op 0
		.amdhsa_exception_fp_denorm_src 0
		.amdhsa_exception_fp_ieee_div_zero 0
		.amdhsa_exception_fp_ieee_overflow 0
		.amdhsa_exception_fp_ieee_underflow 0
		.amdhsa_exception_fp_ieee_inexact 0
		.amdhsa_exception_int_div_zero 0
	.end_amdhsa_kernel
	.section	.text._ZN9rocsparseL18gtsv_LBM_wv_kernelILj256ELj2EdEEviiiPKT1_S3_S3_PS1_S4_S4_Pi,"axG",@progbits,_ZN9rocsparseL18gtsv_LBM_wv_kernelILj256ELj2EdEEviiiPKT1_S3_S3_PS1_S4_S4_Pi,comdat
.Lfunc_end90:
	.size	_ZN9rocsparseL18gtsv_LBM_wv_kernelILj256ELj2EdEEviiiPKT1_S3_S3_PS1_S4_S4_Pi, .Lfunc_end90-_ZN9rocsparseL18gtsv_LBM_wv_kernelILj256ELj2EdEEviiiPKT1_S3_S3_PS1_S4_S4_Pi
                                        ; -- End function
	.set _ZN9rocsparseL18gtsv_LBM_wv_kernelILj256ELj2EdEEviiiPKT1_S3_S3_PS1_S4_S4_Pi.num_vgpr, 49
	.set _ZN9rocsparseL18gtsv_LBM_wv_kernelILj256ELj2EdEEviiiPKT1_S3_S3_PS1_S4_S4_Pi.num_agpr, 0
	.set _ZN9rocsparseL18gtsv_LBM_wv_kernelILj256ELj2EdEEviiiPKT1_S3_S3_PS1_S4_S4_Pi.numbered_sgpr, 27
	.set _ZN9rocsparseL18gtsv_LBM_wv_kernelILj256ELj2EdEEviiiPKT1_S3_S3_PS1_S4_S4_Pi.num_named_barrier, 0
	.set _ZN9rocsparseL18gtsv_LBM_wv_kernelILj256ELj2EdEEviiiPKT1_S3_S3_PS1_S4_S4_Pi.private_seg_size, 0
	.set _ZN9rocsparseL18gtsv_LBM_wv_kernelILj256ELj2EdEEviiiPKT1_S3_S3_PS1_S4_S4_Pi.uses_vcc, 1
	.set _ZN9rocsparseL18gtsv_LBM_wv_kernelILj256ELj2EdEEviiiPKT1_S3_S3_PS1_S4_S4_Pi.uses_flat_scratch, 0
	.set _ZN9rocsparseL18gtsv_LBM_wv_kernelILj256ELj2EdEEviiiPKT1_S3_S3_PS1_S4_S4_Pi.has_dyn_sized_stack, 0
	.set _ZN9rocsparseL18gtsv_LBM_wv_kernelILj256ELj2EdEEviiiPKT1_S3_S3_PS1_S4_S4_Pi.has_recursion, 0
	.set _ZN9rocsparseL18gtsv_LBM_wv_kernelILj256ELj2EdEEviiiPKT1_S3_S3_PS1_S4_S4_Pi.has_indirect_call, 0
	.section	.AMDGPU.csdata,"",@progbits
; Kernel info:
; codeLenInByte = 2284
; TotalNumSgprs: 31
; NumVgprs: 49
; ScratchSize: 0
; MemoryBound: 1
; FloatMode: 240
; IeeeMode: 1
; LDSByteSize: 0 bytes/workgroup (compile time only)
; SGPRBlocks: 3
; VGPRBlocks: 12
; NumSGPRsForWavesPerEU: 31
; NumVGPRsForWavesPerEU: 49
; Occupancy: 4
; WaveLimiterHint : 0
; COMPUTE_PGM_RSRC2:SCRATCH_EN: 0
; COMPUTE_PGM_RSRC2:USER_SGPR: 6
; COMPUTE_PGM_RSRC2:TRAP_HANDLER: 0
; COMPUTE_PGM_RSRC2:TGID_X_EN: 1
; COMPUTE_PGM_RSRC2:TGID_Y_EN: 0
; COMPUTE_PGM_RSRC2:TGID_Z_EN: 0
; COMPUTE_PGM_RSRC2:TIDIG_COMP_CNT: 0
	.section	.text._ZN9rocsparseL19gtsv_LBM_rhs_kernelILj256ELj2ELj8EdEEviiiPKT2_S3_S3_PS1_S3_PKi,"axG",@progbits,_ZN9rocsparseL19gtsv_LBM_rhs_kernelILj256ELj2ELj8EdEEviiiPKT2_S3_S3_PS1_S3_PKi,comdat
	.globl	_ZN9rocsparseL19gtsv_LBM_rhs_kernelILj256ELj2ELj8EdEEviiiPKT2_S3_S3_PS1_S3_PKi ; -- Begin function _ZN9rocsparseL19gtsv_LBM_rhs_kernelILj256ELj2ELj8EdEEviiiPKT2_S3_S3_PS1_S3_PKi
	.p2align	8
	.type	_ZN9rocsparseL19gtsv_LBM_rhs_kernelILj256ELj2ELj8EdEEviiiPKT2_S3_S3_PS1_S3_PKi,@function
_ZN9rocsparseL19gtsv_LBM_rhs_kernelILj256ELj2ELj8EdEEviiiPKT2_S3_S3_PS1_S3_PKi: ; @_ZN9rocsparseL19gtsv_LBM_rhs_kernelILj256ELj2ELj8EdEEviiiPKT2_S3_S3_PS1_S3_PKi
; %bb.0:
	s_load_dword s21, s[4:5], 0x0
	v_lshl_or_b32 v0, s6, 8, v0
	s_waitcnt lgkmcnt(0)
	s_lshr_b32 s20, s21, 1
	v_cmp_gt_i32_e32 vcc, s20, v0
	s_and_saveexec_b64 s[0:1], vcc
	s_cbranch_execz .LBB91_23
; %bb.1:
	s_load_dwordx4 s[8:11], s[4:5], 0x28
	s_load_dwordx2 s[16:17], s[4:5], 0x38
	s_cmp_lt_i32 s21, 1
	v_add_u32_e32 v51, s20, v0
	s_mul_i32 s22, s7, s21
	s_cbranch_scc1 .LBB91_15
; %bb.2:
	s_load_dwordx4 s[12:15], s[4:5], 0x10
	s_load_dwordx2 s[6:7], s[4:5], 0x20
	v_ashrrev_i32_e32 v1, 31, v0
	v_lshlrev_b64 v[1:2], 3, v[0:1]
	s_lshl_b32 s23, s22, 3
	s_waitcnt lgkmcnt(0)
	v_mov_b32_e32 v3, s15
	v_add_co_u32_e32 v1, vcc, s14, v1
	v_addc_co_u32_e32 v2, vcc, v3, v2, vcc
	global_load_dwordx2 v[5:6], v[1:2], off
	s_add_i32 s24, s23, s21
	s_add_i32 s25, s24, s21
	;; [unrolled: 1-line block ×7, first 2 shown]
	s_and_b32 s31, s21, 0x7ffffffe
	v_mov_b32_e32 v2, 0
	s_mov_b64 s[4:5], 0
	v_mov_b32_e32 v53, s7
	v_mov_b32_e32 v52, 0
	s_branch .LBB91_5
.LBB91_3:                               ;   in Loop: Header=BB91_5 Depth=1
	s_or_b64 exec, exec, s[18:19]
	v_fma_f64 v[9:10], -v[5:6], v[27:28], v[7:8]
	v_mov_b32_e32 v1, s20
.LBB91_4:                               ;   in Loop: Header=BB91_5 Depth=1
	s_or_b64 exec, exec, s[2:3]
	v_add_u32_e32 v52, v1, v52
	v_cmp_le_i32_e32 vcc, s21, v52
	v_mov_b32_e32 v5, v9
	s_or_b64 s[4:5], vcc, s[4:5]
	v_mov_b32_e32 v6, v10
	s_andn2_b64 exec, exec, s[4:5]
	s_cbranch_execz .LBB91_14
.LBB91_5:                               ; =>This Inner Loop Header: Depth=1
	v_add_u32_e32 v11, v52, v0
	v_ashrrev_i32_e32 v12, 31, v11
	v_lshlrev_b64 v[3:4], 3, v[11:12]
	v_mov_b32_e32 v7, 0
	v_add_co_u32_e32 v3, vcc, s6, v3
	v_addc_co_u32_e32 v4, vcc, v53, v4, vcc
	global_load_dwordx2 v[9:10], v[3:4], off
	v_mov_b32_e32 v3, 0
	v_mov_b32_e32 v8, 0
	;; [unrolled: 1-line block ×3, first 2 shown]
	v_cmp_gt_u32_e64 s[0:1], s20, v52
	s_and_saveexec_b64 s[2:3], s[0:1]
	s_cbranch_execz .LBB91_7
; %bb.6:                                ;   in Loop: Header=BB91_5 Depth=1
	v_add_u32_e32 v3, v51, v52
	v_ashrrev_i32_e32 v4, 31, v3
	v_lshlrev_b64 v[3:4], 3, v[3:4]
	v_mov_b32_e32 v1, s13
	v_add_co_u32_e32 v3, vcc, s12, v3
	v_addc_co_u32_e32 v4, vcc, v1, v4, vcc
	global_load_dwordx2 v[3:4], v[3:4], off
.LBB91_7:                               ;   in Loop: Header=BB91_5 Depth=1
	s_or_b64 exec, exec, s[2:3]
	s_and_saveexec_b64 s[2:3], s[0:1]
	s_cbranch_execz .LBB91_9
; %bb.8:                                ;   in Loop: Header=BB91_5 Depth=1
	v_add_u32_e32 v7, v51, v52
	v_ashrrev_i32_e32 v8, 31, v7
	v_lshlrev_b64 v[7:8], 3, v[7:8]
	v_mov_b32_e32 v1, s15
	v_add_co_u32_e32 v7, vcc, s14, v7
	v_addc_co_u32_e32 v8, vcc, v1, v8, vcc
	global_load_dwordx2 v[7:8], v[7:8], off
.LBB91_9:                               ;   in Loop: Header=BB91_5 Depth=1
	s_or_b64 exec, exec, s[2:3]
	v_lshlrev_b64 v[12:13], 2, v[11:12]
	v_mov_b32_e32 v1, s17
	v_add_co_u32_e32 v12, vcc, s16, v12
	v_addc_co_u32_e32 v13, vcc, v1, v13, vcc
	v_add_u32_e32 v1, s23, v11
	global_load_dword v45, v[12:13], off
	v_lshlrev_b64 v[13:14], 3, v[1:2]
	v_add_u32_e32 v1, s24, v11
	v_mov_b32_e32 v27, s9
	v_add_co_u32_e32 v13, vcc, s8, v13
	v_lshlrev_b64 v[15:16], 3, v[1:2]
	v_addc_co_u32_e32 v14, vcc, v27, v14, vcc
	v_add_u32_e32 v1, s25, v11
	v_add_co_u32_e32 v15, vcc, s8, v15
	v_lshlrev_b64 v[17:18], 3, v[1:2]
	v_addc_co_u32_e32 v16, vcc, v27, v16, vcc
	v_add_u32_e32 v1, s26, v11
	;; [unrolled: 4-line block ×6, first 2 shown]
	v_add_co_u32_e32 v25, vcc, s8, v25
	v_lshlrev_b64 v[11:12], 3, v[1:2]
	v_addc_co_u32_e32 v26, vcc, v27, v26, vcc
	v_add_co_u32_e32 v11, vcc, s8, v11
	global_load_dwordx2 v[29:30], v[13:14], off
	global_load_dwordx2 v[31:32], v[15:16], off
	;; [unrolled: 1-line block ×4, first 2 shown]
	v_addc_co_u32_e32 v12, vcc, v27, v12, vcc
	global_load_dwordx2 v[37:38], v[21:22], off
	global_load_dwordx2 v[39:40], v[23:24], off
	;; [unrolled: 1-line block ×4, first 2 shown]
	s_waitcnt vmcnt(9)
	v_mul_f64 v[27:28], v[9:10], v[3:4]
	v_cmp_ne_u32_e64 s[2:3], s20, v52
	s_waitcnt vmcnt(8)
	v_cmp_ne_u32_e32 vcc, 1, v45
	s_and_b64 s[2:3], s[2:3], vcc
	s_and_saveexec_b64 s[18:19], s[2:3]
	s_xor_b64 s[2:3], exec, s[18:19]
	s_cbranch_execz .LBB91_11
; %bb.10:                               ;   in Loop: Header=BB91_5 Depth=1
	v_fma_f64 v[27:28], v[5:6], v[7:8], -v[27:28]
	v_add_u32_e32 v76, v51, v52
	v_add_u32_e32 v1, s23, v76
	v_mov_b32_e32 v78, s9
	v_div_scale_f64 v[45:46], s[18:19], v[27:28], v[27:28], 1.0
	v_rcp_f64_e32 v[47:48], v[45:46]
	v_fma_f64 v[49:50], -v[45:46], v[47:48], 1.0
	v_fma_f64 v[47:48], v[47:48], v[49:50], v[47:48]
	v_fma_f64 v[49:50], -v[45:46], v[47:48], 1.0
	v_fma_f64 v[47:48], v[47:48], v[49:50], v[47:48]
	v_div_scale_f64 v[49:50], vcc, 1.0, v[27:28], 1.0
	v_mul_f64 v[54:55], v[49:50], v[47:48]
	v_fma_f64 v[45:46], -v[45:46], v[54:55], v[49:50]
	s_nop 1
	v_div_fmas_f64 v[45:46], v[45:46], v[47:48], v[54:55]
	v_div_fixup_f64 v[27:28], v[45:46], v[27:28], 1.0
	v_lshlrev_b64 v[45:46], 3, v[1:2]
	v_add_u32_e32 v1, s24, v76
	v_add_co_u32_e32 v45, vcc, s8, v45
	v_lshlrev_b64 v[49:50], 3, v[1:2]
	v_addc_co_u32_e32 v46, vcc, v78, v46, vcc
	v_add_u32_e32 v1, s25, v76
	v_add_co_u32_e32 v49, vcc, s8, v49
	v_lshlrev_b64 v[56:57], 3, v[1:2]
	v_addc_co_u32_e32 v50, vcc, v78, v50, vcc
	;; [unrolled: 4-line block ×4, first 2 shown]
	v_add_u32_e32 v1, s28, v76
	global_load_dwordx2 v[47:48], v[45:46], off
	global_load_dwordx2 v[54:55], v[49:50], off
	;; [unrolled: 1-line block ×4, first 2 shown]
	v_add_co_u32_e32 v64, vcc, s8, v64
	v_lshlrev_b64 v[68:69], 3, v[1:2]
	v_addc_co_u32_e32 v65, vcc, v78, v65, vcc
	v_add_u32_e32 v1, s29, v76
	v_add_co_u32_e32 v68, vcc, s8, v68
	v_lshlrev_b64 v[72:73], 3, v[1:2]
	v_addc_co_u32_e32 v69, vcc, v78, v69, vcc
	v_add_u32_e32 v1, s30, v76
	v_add_co_u32_e32 v72, vcc, s8, v72
	v_lshlrev_b64 v[76:77], 3, v[1:2]
	v_addc_co_u32_e32 v73, vcc, v78, v73, vcc
	v_add_co_u32_e32 v76, vcc, s8, v76
	v_addc_co_u32_e32 v77, vcc, v78, v77, vcc
	global_load_dwordx2 v[66:67], v[64:65], off
	global_load_dwordx2 v[70:71], v[68:69], off
	;; [unrolled: 1-line block ×4, first 2 shown]
	s_waitcnt vmcnt(15)
	v_mul_f64 v[29:30], v[27:28], v[29:30]
	s_waitcnt vmcnt(14)
	v_mul_f64 v[31:32], v[27:28], v[31:32]
	;; [unrolled: 2-line block ×16, first 2 shown]
	v_mul_f64 v[78:79], v[9:10], v[47:48]
	v_fma_f64 v[78:79], v[7:8], v[29:30], -v[78:79]
	global_store_dwordx2 v[13:14], v[78:79], off
	v_mul_f64 v[13:14], v[9:10], v[54:55]
	v_fma_f64 v[13:14], v[7:8], v[31:32], -v[13:14]
	global_store_dwordx2 v[15:16], v[13:14], off
	v_mul_f64 v[13:14], v[9:10], v[58:59]
                                        ; implicit-def: $vgpr15_vgpr16
	v_fma_f64 v[13:14], v[7:8], v[33:34], -v[13:14]
	global_store_dwordx2 v[17:18], v[13:14], off
	v_mul_f64 v[13:14], v[9:10], v[62:63]
                                        ; implicit-def: $vgpr17_vgpr18
	v_fma_f64 v[13:14], v[7:8], v[35:36], -v[13:14]
	global_store_dwordx2 v[19:20], v[13:14], off
	v_mul_f64 v[13:14], v[9:10], v[66:67]
                                        ; implicit-def: $vgpr19_vgpr20
	v_fma_f64 v[13:14], v[7:8], v[37:38], -v[13:14]
	global_store_dwordx2 v[21:22], v[13:14], off
	v_mul_f64 v[13:14], v[9:10], v[70:71]
                                        ; implicit-def: $vgpr21_vgpr22
	v_fma_f64 v[13:14], v[7:8], v[39:40], -v[13:14]
	global_store_dwordx2 v[23:24], v[13:14], off
	v_mul_f64 v[13:14], v[9:10], v[74:75]
	v_mul_f64 v[9:10], v[9:10], v[27:28]
                                        ; implicit-def: $vgpr23_vgpr24
	v_fma_f64 v[13:14], v[7:8], v[41:42], -v[13:14]
	v_fma_f64 v[7:8], v[7:8], v[43:44], -v[9:10]
	global_store_dwordx2 v[25:26], v[13:14], off
	global_store_dwordx2 v[11:12], v[7:8], off
	v_mul_f64 v[7:8], v[3:4], v[29:30]
                                        ; implicit-def: $vgpr13_vgpr14
                                        ; implicit-def: $vgpr29_vgpr30
                                        ; implicit-def: $vgpr25_vgpr26
                                        ; implicit-def: $vgpr11_vgpr12
	v_fma_f64 v[7:8], v[5:6], v[47:48], -v[7:8]
	global_store_dwordx2 v[45:46], v[7:8], off
	v_mul_f64 v[7:8], v[3:4], v[31:32]
                                        ; implicit-def: $vgpr31_vgpr32
	v_fma_f64 v[7:8], v[5:6], v[54:55], -v[7:8]
	global_store_dwordx2 v[49:50], v[7:8], off
	v_mul_f64 v[7:8], v[3:4], v[33:34]
                                        ; implicit-def: $vgpr33_vgpr34
	v_fma_f64 v[7:8], v[5:6], v[58:59], -v[7:8]
	global_store_dwordx2 v[56:57], v[7:8], off
	v_mul_f64 v[7:8], v[3:4], v[35:36]
                                        ; implicit-def: $vgpr35_vgpr36
	v_fma_f64 v[7:8], v[5:6], v[62:63], -v[7:8]
	global_store_dwordx2 v[60:61], v[7:8], off
	v_mul_f64 v[7:8], v[3:4], v[37:38]
                                        ; implicit-def: $vgpr37_vgpr38
	v_fma_f64 v[7:8], v[5:6], v[66:67], -v[7:8]
	global_store_dwordx2 v[64:65], v[7:8], off
	v_mul_f64 v[7:8], v[3:4], v[39:40]
                                        ; implicit-def: $vgpr39_vgpr40
	v_fma_f64 v[7:8], v[5:6], v[70:71], -v[7:8]
	global_store_dwordx2 v[68:69], v[7:8], off
	v_mul_f64 v[7:8], v[3:4], v[41:42]
	v_mul_f64 v[3:4], v[3:4], v[43:44]
                                        ; implicit-def: $vgpr41_vgpr42
                                        ; implicit-def: $vgpr43_vgpr44
	v_fma_f64 v[7:8], v[5:6], v[74:75], -v[7:8]
	v_fma_f64 v[3:4], v[5:6], v[27:28], -v[3:4]
                                        ; implicit-def: $vgpr5_vgpr6
                                        ; implicit-def: $vgpr27_vgpr28
	global_store_dwordx2 v[72:73], v[7:8], off
	global_store_dwordx2 v[76:77], v[3:4], off
                                        ; implicit-def: $vgpr3_vgpr4
                                        ; implicit-def: $vgpr7_vgpr8
.LBB91_11:                              ;   in Loop: Header=BB91_5 Depth=1
	s_or_saveexec_b64 s[2:3], s[2:3]
	v_mov_b32_e32 v9, 0
	v_mov_b32_e32 v10, 0
	;; [unrolled: 1-line block ×3, first 2 shown]
	s_xor_b64 exec, exec, s[2:3]
	s_cbranch_execz .LBB91_4
; %bb.12:                               ;   in Loop: Header=BB91_5 Depth=1
	v_div_scale_f64 v[9:10], s[18:19], v[5:6], v[5:6], 1.0
	v_rcp_f64_e32 v[45:46], v[9:10]
	v_fma_f64 v[47:48], -v[9:10], v[45:46], 1.0
	v_fma_f64 v[45:46], v[45:46], v[47:48], v[45:46]
	v_div_scale_f64 v[47:48], vcc, 1.0, v[5:6], 1.0
	v_fma_f64 v[49:50], -v[9:10], v[45:46], 1.0
	v_fma_f64 v[45:46], v[45:46], v[49:50], v[45:46]
	v_mul_f64 v[49:50], v[47:48], v[45:46]
	v_fma_f64 v[9:10], -v[9:10], v[49:50], v[47:48]
	v_div_fmas_f64 v[9:10], v[9:10], v[45:46], v[49:50]
	v_div_fixup_f64 v[5:6], v[9:10], v[5:6], 1.0
	s_waitcnt vmcnt(7)
	v_mul_f64 v[49:50], v[5:6], v[29:30]
	s_waitcnt vmcnt(6)
	v_mul_f64 v[47:48], v[5:6], v[31:32]
	;; [unrolled: 2-line block ×8, first 2 shown]
	global_store_dwordx2 v[13:14], v[49:50], off
	global_store_dwordx2 v[15:16], v[47:48], off
	;; [unrolled: 1-line block ×8, first 2 shown]
	s_and_saveexec_b64 s[18:19], s[0:1]
	s_cbranch_execz .LBB91_3
; %bb.13:                               ;   in Loop: Header=BB91_5 Depth=1
	v_add_u32_e32 v21, v51, v52
	v_add_u32_e32 v1, s23, v21
	v_lshlrev_b64 v[11:12], 3, v[1:2]
	v_mov_b32_e32 v22, s9
	v_add_co_u32_e32 v11, vcc, s8, v11
	v_addc_co_u32_e32 v12, vcc, v22, v12, vcc
	global_load_dwordx2 v[13:14], v[11:12], off
	v_add_u32_e32 v1, s24, v21
	v_lshlrev_b64 v[15:16], 3, v[1:2]
	v_add_u32_e32 v1, s25, v21
	v_add_co_u32_e32 v15, vcc, s8, v15
	v_addc_co_u32_e32 v16, vcc, v22, v16, vcc
	global_load_dwordx2 v[17:18], v[15:16], off
	v_lshlrev_b64 v[19:20], 3, v[1:2]
	v_add_u32_e32 v1, s26, v21
	v_add_co_u32_e32 v19, vcc, s8, v19
	v_addc_co_u32_e32 v20, vcc, v22, v20, vcc
	s_waitcnt vmcnt(1)
	v_fma_f64 v[13:14], -v[3:4], v[49:50], v[13:14]
	global_store_dwordx2 v[11:12], v[13:14], off
	global_load_dwordx2 v[11:12], v[19:20], off
	s_waitcnt vmcnt(2)
	v_fma_f64 v[13:14], -v[3:4], v[47:48], v[17:18]
	v_lshlrev_b64 v[17:18], 3, v[1:2]
	v_add_u32_e32 v1, s27, v21
	v_add_co_u32_e32 v17, vcc, s8, v17
	v_addc_co_u32_e32 v18, vcc, v22, v18, vcc
	global_store_dwordx2 v[15:16], v[13:14], off
	global_load_dwordx2 v[13:14], v[17:18], off
	v_lshlrev_b64 v[15:16], 3, v[1:2]
	v_add_u32_e32 v1, s28, v21
	v_add_co_u32_e32 v15, vcc, s8, v15
	v_addc_co_u32_e32 v16, vcc, v22, v16, vcc
	s_waitcnt vmcnt(2)
	v_fma_f64 v[11:12], -v[3:4], v[45:46], v[11:12]
	global_store_dwordx2 v[19:20], v[11:12], off
	global_load_dwordx2 v[11:12], v[15:16], off
	s_waitcnt vmcnt(2)
	v_fma_f64 v[13:14], -v[3:4], v[33:34], v[13:14]
	v_lshlrev_b64 v[19:20], 3, v[1:2]
	v_add_u32_e32 v1, s29, v21
	v_add_co_u32_e32 v19, vcc, s8, v19
	v_addc_co_u32_e32 v20, vcc, v22, v20, vcc
	s_waitcnt vmcnt(0)
	v_fma_f64 v[11:12], -v[3:4], v[35:36], v[11:12]
	global_store_dwordx2 v[17:18], v[13:14], off
	global_store_dwordx2 v[15:16], v[11:12], off
	global_load_dwordx2 v[11:12], v[19:20], off
	v_lshlrev_b64 v[13:14], 3, v[1:2]
	v_add_u32_e32 v1, s30, v21
	v_add_co_u32_e32 v13, vcc, s8, v13
	v_addc_co_u32_e32 v14, vcc, v22, v14, vcc
	v_lshlrev_b64 v[15:16], 3, v[1:2]
	s_waitcnt vmcnt(0)
	v_fma_f64 v[11:12], -v[3:4], v[31:32], v[11:12]
	global_store_dwordx2 v[19:20], v[11:12], off
	global_load_dwordx2 v[11:12], v[13:14], off
	s_waitcnt vmcnt(0)
	v_fma_f64 v[11:12], -v[3:4], v[29:30], v[11:12]
	global_store_dwordx2 v[13:14], v[11:12], off
	v_add_co_u32_e32 v11, vcc, s8, v15
	v_addc_co_u32_e32 v12, vcc, v22, v16, vcc
	global_load_dwordx2 v[13:14], v[11:12], off
	s_waitcnt vmcnt(0)
	v_fma_f64 v[3:4], -v[3:4], v[9:10], v[13:14]
	global_store_dwordx2 v[11:12], v[3:4], off
	s_branch .LBB91_3
.LBB91_14:
	s_or_b64 exec, exec, s[4:5]
	s_branch .LBB91_16
.LBB91_15:
	v_mov_b32_e32 v52, 0
.LBB91_16:
	v_subrev_u32_e32 v3, s20, v52
	v_add_u32_e32 v1, v3, v0
	v_ashrrev_i32_e32 v2, 31, v1
	v_lshlrev_b64 v[1:2], 2, v[1:2]
	s_waitcnt lgkmcnt(0)
	v_mov_b32_e32 v4, s17
	v_add_co_u32_e32 v1, vcc, s16, v1
	v_addc_co_u32_e32 v2, vcc, v4, v2, vcc
	s_waitcnt vmcnt(0)
	buffer_wbinvl1_vol
	global_load_dword v1, v[1:2], off
	s_waitcnt vmcnt(0)
	v_mul_lo_u32 v1, v1, s20
	v_sub_u32_e32 v7, v3, v1
	v_cmp_lt_i32_e32 vcc, -1, v7
	s_and_b64 exec, exec, vcc
	s_cbranch_execz .LBB91_23
; %bb.17:
	s_lshl_b32 s4, s22, 3
	s_add_i32 s5, s4, s21
	s_add_i32 s6, s5, s21
	;; [unrolled: 1-line block ×7, first 2 shown]
	s_and_b32 s18, s21, -2
	s_mov_b64 s[0:1], 0
	v_mov_b32_e32 v8, s17
	v_mov_b32_e32 v9, s11
	;; [unrolled: 1-line block ×3, first 2 shown]
	s_branch .LBB91_19
.LBB91_18:                              ;   in Loop: Header=BB91_19 Depth=1
	s_or_b64 exec, exec, s[2:3]
	v_sub_u32_e32 v7, v7, v1
	v_cmp_gt_i32_e32 vcc, 0, v7
	s_or_b64 s[0:1], vcc, s[0:1]
	s_andn2_b64 exec, exec, s[0:1]
	s_cbranch_execz .LBB91_23
.LBB91_19:                              ; =>This Inner Loop Header: Depth=1
	v_add_u32_e32 v5, v7, v0
	v_ashrrev_i32_e32 v6, 31, v5
	s_waitcnt vmcnt(0)
	v_lshlrev_b64 v[3:4], 2, v[5:6]
	v_add_co_u32_e32 v3, vcc, s16, v3
	v_addc_co_u32_e32 v4, vcc, v8, v4, vcc
	global_load_dword v1, v[3:4], off
	v_lshlrev_b64 v[3:4], 3, v[5:6]
	v_add_co_u32_e32 v3, vcc, s10, v3
	v_addc_co_u32_e32 v4, vcc, v9, v4, vcc
	global_load_dwordx2 v[3:4], v[3:4], off
	s_waitcnt vmcnt(1)
	v_cmp_ne_u32_e32 vcc, 1, v1
	s_and_saveexec_b64 s[2:3], vcc
	s_xor_b64 s[2:3], exec, s[2:3]
	s_cbranch_execz .LBB91_21
; %bb.20:                               ;   in Loop: Header=BB91_19 Depth=1
	v_add_u32_e32 v6, v51, v7
	v_add_u32_e32 v1, s4, v6
	v_lshlrev_b64 v[10:11], 3, v[1:2]
	v_mov_b32_e32 v1, s9
	v_add_co_u32_e32 v10, vcc, s8, v10
	v_addc_co_u32_e32 v11, vcc, v1, v11, vcc
	v_add_u32_e32 v1, s5, v6
	v_lshlrev_b64 v[12:13], 3, v[1:2]
	v_add_u32_e32 v1, s6, v6
	v_lshlrev_b64 v[14:15], 3, v[1:2]
	;; [unrolled: 2-line block ×8, first 2 shown]
	v_mov_b32_e32 v1, s9
	v_add_co_u32_e32 v26, vcc, s8, v26
	v_addc_co_u32_e32 v27, vcc, v1, v27, vcc
	global_load_dwordx2 v[10:11], v[10:11], off
	v_add_co_u32_e32 v12, vcc, s8, v12
	global_load_dwordx2 v[28:29], v[26:27], off
	v_addc_co_u32_e32 v13, vcc, v1, v13, vcc
	v_mov_b32_e32 v6, s9
	v_add_co_u32_e32 v14, vcc, s8, v14
	v_addc_co_u32_e32 v15, vcc, v6, v15, vcc
	v_mov_b32_e32 v30, s9
	v_add_co_u32_e32 v16, vcc, s8, v16
	v_addc_co_u32_e32 v17, vcc, v30, v17, vcc
	v_mov_b32_e32 v36, s9
	global_load_dwordx2 v[30:31], v[12:13], off
	global_load_dwordx2 v[32:33], v[14:15], off
	;; [unrolled: 1-line block ×3, first 2 shown]
	v_add_co_u32_e32 v12, vcc, s8, v18
	v_addc_co_u32_e32 v13, vcc, v36, v19, vcc
	v_mov_b32_e32 v37, s9
	v_add_co_u32_e32 v14, vcc, s8, v20
	v_addc_co_u32_e32 v15, vcc, v37, v21, vcc
	v_mov_b32_e32 v38, s9
	v_add_co_u32_e32 v16, vcc, s8, v22
	v_addc_co_u32_e32 v17, vcc, v38, v23, vcc
	v_add_u32_e32 v1, s5, v5
	v_mov_b32_e32 v39, s9
	v_add_co_u32_e32 v18, vcc, s8, v24
	v_lshlrev_b64 v[20:21], 3, v[1:2]
	v_addc_co_u32_e32 v19, vcc, v39, v25, vcc
	v_mov_b32_e32 v40, s9
	v_add_u32_e32 v1, s6, v5
	s_waitcnt vmcnt(3)
	v_fma_f64 v[22:23], -v[3:4], v[10:11], v[28:29]
	global_load_dwordx2 v[24:25], v[12:13], off
	global_load_dwordx2 v[28:29], v[14:15], off
	;; [unrolled: 1-line block ×4, first 2 shown]
	v_add_co_u32_e32 v12, vcc, s8, v20
	v_addc_co_u32_e32 v13, vcc, v40, v21, vcc
	v_lshlrev_b64 v[16:17], 3, v[1:2]
	v_add_u32_e32 v1, s7, v5
	global_store_dwordx2 v[26:27], v[22:23], off
	global_load_dwordx2 v[14:15], v[12:13], off
	v_add_co_u32_e32 v16, vcc, s8, v16
	v_addc_co_u32_e32 v17, vcc, v6, v17, vcc
	s_waitcnt vmcnt(0)
	v_fma_f64 v[14:15], -v[3:4], v[30:31], v[14:15]
	global_store_dwordx2 v[12:13], v[14:15], off
	global_load_dwordx2 v[12:13], v[16:17], off
	v_lshlrev_b64 v[14:15], 3, v[1:2]
	v_add_u32_e32 v1, s12, v5
	v_add_co_u32_e32 v14, vcc, s8, v14
	v_addc_co_u32_e32 v15, vcc, v6, v15, vcc
	s_waitcnt vmcnt(0)
	v_fma_f64 v[12:13], -v[3:4], v[32:33], v[12:13]
	global_store_dwordx2 v[16:17], v[12:13], off
	global_load_dwordx2 v[12:13], v[14:15], off
	v_lshlrev_b64 v[16:17], 3, v[1:2]
	v_add_u32_e32 v1, s13, v5
	v_add_co_u32_e32 v16, vcc, s8, v16
	v_addc_co_u32_e32 v17, vcc, v6, v17, vcc
	s_waitcnt vmcnt(0)
	v_fma_f64 v[12:13], -v[3:4], v[34:35], v[12:13]
	global_store_dwordx2 v[14:15], v[12:13], off
	global_load_dwordx2 v[12:13], v[16:17], off
	v_lshlrev_b64 v[14:15], 3, v[1:2]
	v_add_u32_e32 v1, s14, v5
	v_add_co_u32_e32 v14, vcc, s8, v14
	v_addc_co_u32_e32 v15, vcc, v6, v15, vcc
	s_waitcnt vmcnt(0)
	v_fma_f64 v[12:13], -v[3:4], v[24:25], v[12:13]
	global_store_dwordx2 v[16:17], v[12:13], off
	global_load_dwordx2 v[12:13], v[14:15], off
	v_lshlrev_b64 v[16:17], 3, v[1:2]
	v_add_u32_e32 v1, s15, v5
	v_add_co_u32_e32 v16, vcc, s8, v16
	v_addc_co_u32_e32 v17, vcc, v6, v17, vcc
	v_lshlrev_b64 v[5:6], 3, v[1:2]
	v_subrev_u32_e32 v1, s20, v7
	v_add_co_u32_e32 v5, vcc, s8, v5
	s_waitcnt vmcnt(0)
	v_fma_f64 v[12:13], -v[3:4], v[28:29], v[12:13]
	global_store_dwordx2 v[14:15], v[12:13], off
	global_load_dwordx2 v[12:13], v[16:17], off
	v_mov_b32_e32 v14, s9
	v_addc_co_u32_e32 v6, vcc, v14, v6, vcc
	v_add_u32_e32 v14, v1, v0
	v_ashrrev_i32_e32 v15, 31, v14
	v_add_u32_e32 v1, s4, v14
	s_waitcnt vmcnt(0)
	v_fma_f64 v[12:13], -v[3:4], v[36:37], v[12:13]
	global_store_dwordx2 v[16:17], v[12:13], off
	global_load_dwordx2 v[12:13], v[5:6], off
	v_lshlrev_b64 v[15:16], 3, v[14:15]
	v_mov_b32_e32 v17, s9
	v_add_co_u32_e32 v15, vcc, s10, v15
	v_addc_co_u32_e32 v16, vcc, v9, v16, vcc
	s_waitcnt vmcnt(0)
	v_fma_f64 v[3:4], -v[3:4], v[38:39], v[12:13]
	global_load_dwordx2 v[12:13], v[15:16], off
	v_lshlrev_b64 v[15:16], 3, v[1:2]
	v_add_u32_e32 v1, s5, v14
	v_add_co_u32_e32 v15, vcc, s8, v15
	v_addc_co_u32_e32 v16, vcc, v17, v16, vcc
	global_store_dwordx2 v[5:6], v[3:4], off
	global_load_dwordx2 v[3:4], v[15:16], off
	v_lshlrev_b64 v[5:6], 3, v[1:2]
	v_add_u32_e32 v1, s6, v14
	v_add_co_u32_e32 v5, vcc, s8, v5
	s_waitcnt vmcnt(0)
	v_fma_f64 v[3:4], -v[12:13], v[10:11], v[3:4]
	v_mov_b32_e32 v10, s9
	v_addc_co_u32_e32 v6, vcc, v10, v6, vcc
	v_lshlrev_b64 v[10:11], 3, v[1:2]
	v_add_u32_e32 v1, s7, v14
	v_add_co_u32_e32 v10, vcc, s8, v10
	global_store_dwordx2 v[15:16], v[3:4], off
	global_load_dwordx2 v[3:4], v[5:6], off
	v_mov_b32_e32 v15, s9
	v_addc_co_u32_e32 v11, vcc, v15, v11, vcc
	s_waitcnt vmcnt(0)
	v_fma_f64 v[3:4], -v[12:13], v[30:31], v[3:4]
	global_store_dwordx2 v[5:6], v[3:4], off
	global_load_dwordx2 v[3:4], v[10:11], off
	v_lshlrev_b64 v[5:6], 3, v[1:2]
	v_add_u32_e32 v1, s12, v14
	v_add_co_u32_e32 v5, vcc, s8, v5
	v_addc_co_u32_e32 v6, vcc, v15, v6, vcc
	s_waitcnt vmcnt(0)
	v_fma_f64 v[3:4], -v[12:13], v[32:33], v[3:4]
	global_store_dwordx2 v[10:11], v[3:4], off
	global_load_dwordx2 v[3:4], v[5:6], off
	v_lshlrev_b64 v[10:11], 3, v[1:2]
	v_add_u32_e32 v1, s13, v14
	v_add_co_u32_e32 v10, vcc, s8, v10
	;; [unrolled: 8-line block ×4, first 2 shown]
	v_addc_co_u32_e32 v11, vcc, v15, v11, vcc
	s_waitcnt vmcnt(0)
	v_fma_f64 v[3:4], -v[12:13], v[28:29], v[3:4]
	global_store_dwordx2 v[5:6], v[3:4], off
	global_load_dwordx2 v[3:4], v[10:11], off
	v_lshlrev_b64 v[5:6], 3, v[1:2]
	s_waitcnt vmcnt(0)
	v_fma_f64 v[3:4], -v[12:13], v[36:37], v[3:4]
	global_store_dwordx2 v[10:11], v[3:4], off
	v_add_co_u32_e32 v3, vcc, s8, v5
	v_addc_co_u32_e32 v4, vcc, v15, v6, vcc
	global_load_dwordx2 v[5:6], v[3:4], off
	s_waitcnt vmcnt(0)
	v_fma_f64 v[5:6], -v[12:13], v[38:39], v[5:6]
	global_store_dwordx2 v[3:4], v[5:6], off
                                        ; implicit-def: $vgpr5
                                        ; implicit-def: $vgpr3_vgpr4
.LBB91_21:                              ;   in Loop: Header=BB91_19 Depth=1
	s_or_saveexec_b64 s[2:3], s[2:3]
	v_mov_b32_e32 v1, s18
	s_xor_b64 exec, exec, s[2:3]
	s_cbranch_execz .LBB91_18
; %bb.22:                               ;   in Loop: Header=BB91_19 Depth=1
	v_add_u32_e32 v6, v51, v7
	v_add_u32_e32 v1, s4, v6
	v_lshlrev_b64 v[10:11], 3, v[1:2]
	v_mov_b32_e32 v1, s9
	v_add_co_u32_e32 v10, vcc, s8, v10
	v_addc_co_u32_e32 v11, vcc, v1, v11, vcc
	v_add_u32_e32 v1, s4, v5
	v_lshlrev_b64 v[12:13], 3, v[1:2]
	v_mov_b32_e32 v1, s9
	v_add_co_u32_e32 v12, vcc, s8, v12
	v_addc_co_u32_e32 v13, vcc, v1, v13, vcc
	global_load_dwordx2 v[14:15], v[10:11], off
	global_load_dwordx2 v[16:17], v[12:13], off
	v_add_u32_e32 v1, s5, v6
	v_lshlrev_b64 v[10:11], 3, v[1:2]
	v_add_u32_e32 v1, s5, v5
	v_mov_b32_e32 v20, s9
	v_lshlrev_b64 v[18:19], 3, v[1:2]
	v_add_co_u32_e32 v10, vcc, s8, v10
	v_addc_co_u32_e32 v11, vcc, v20, v11, vcc
	v_mov_b32_e32 v21, s9
	v_add_u32_e32 v1, s6, v6
	s_waitcnt vmcnt(0)
	v_fma_f64 v[14:15], -v[3:4], v[14:15], v[16:17]
	v_add_co_u32_e32 v16, vcc, s8, v18
	v_addc_co_u32_e32 v17, vcc, v21, v19, vcc
	global_store_dwordx2 v[12:13], v[14:15], off
	global_load_dwordx2 v[12:13], v[10:11], off
	s_nop 0
	global_load_dwordx2 v[14:15], v[16:17], off
	v_lshlrev_b64 v[10:11], 3, v[1:2]
	v_add_u32_e32 v1, s6, v5
	v_lshlrev_b64 v[18:19], 3, v[1:2]
	v_add_co_u32_e32 v10, vcc, s8, v10
	v_addc_co_u32_e32 v11, vcc, v20, v11, vcc
	v_add_u32_e32 v1, s7, v6
	s_waitcnt vmcnt(0)
	v_fma_f64 v[12:13], -v[3:4], v[12:13], v[14:15]
	v_add_co_u32_e32 v14, vcc, s8, v18
	v_addc_co_u32_e32 v15, vcc, v21, v19, vcc
	global_store_dwordx2 v[16:17], v[12:13], off
	global_load_dwordx2 v[12:13], v[10:11], off
	s_nop 0
	global_load_dwordx2 v[16:17], v[14:15], off
	v_lshlrev_b64 v[10:11], 3, v[1:2]
	v_add_u32_e32 v1, s7, v5
	v_lshlrev_b64 v[18:19], 3, v[1:2]
	v_add_co_u32_e32 v10, vcc, s8, v10
	v_addc_co_u32_e32 v11, vcc, v20, v11, vcc
	;; [unrolled: 14-line block ×5, first 2 shown]
	v_add_u32_e32 v1, s15, v6
	s_waitcnt vmcnt(0)
	v_fma_f64 v[12:13], -v[3:4], v[12:13], v[14:15]
	v_add_co_u32_e32 v14, vcc, s8, v18
	v_addc_co_u32_e32 v15, vcc, v21, v19, vcc
	v_mov_b32_e32 v18, s9
	v_mov_b32_e32 v19, s9
	global_store_dwordx2 v[16:17], v[12:13], off
	global_load_dwordx2 v[12:13], v[10:11], off
	s_nop 0
	global_load_dwordx2 v[16:17], v[14:15], off
	v_lshlrev_b64 v[10:11], 3, v[1:2]
	v_add_u32_e32 v1, s15, v5
	v_lshlrev_b64 v[5:6], 3, v[1:2]
	v_add_co_u32_e32 v10, vcc, s8, v10
	v_addc_co_u32_e32 v11, vcc, v18, v11, vcc
	v_add_co_u32_e32 v5, vcc, s8, v5
	v_addc_co_u32_e32 v6, vcc, v19, v6, vcc
	v_mov_b32_e32 v1, s20
	s_waitcnt vmcnt(0)
	v_fma_f64 v[12:13], -v[3:4], v[12:13], v[16:17]
	global_store_dwordx2 v[14:15], v[12:13], off
	global_load_dwordx2 v[12:13], v[10:11], off
	s_nop 0
	global_load_dwordx2 v[14:15], v[5:6], off
	s_waitcnt vmcnt(0)
	v_fma_f64 v[3:4], -v[3:4], v[12:13], v[14:15]
	global_store_dwordx2 v[5:6], v[3:4], off
	s_branch .LBB91_18
.LBB91_23:
	s_endpgm
	.section	.rodata,"a",@progbits
	.p2align	6, 0x0
	.amdhsa_kernel _ZN9rocsparseL19gtsv_LBM_rhs_kernelILj256ELj2ELj8EdEEviiiPKT2_S3_S3_PS1_S3_PKi
		.amdhsa_group_segment_fixed_size 0
		.amdhsa_private_segment_fixed_size 0
		.amdhsa_kernarg_size 64
		.amdhsa_user_sgpr_count 6
		.amdhsa_user_sgpr_private_segment_buffer 1
		.amdhsa_user_sgpr_dispatch_ptr 0
		.amdhsa_user_sgpr_queue_ptr 0
		.amdhsa_user_sgpr_kernarg_segment_ptr 1
		.amdhsa_user_sgpr_dispatch_id 0
		.amdhsa_user_sgpr_flat_scratch_init 0
		.amdhsa_user_sgpr_private_segment_size 0
		.amdhsa_uses_dynamic_stack 0
		.amdhsa_system_sgpr_private_segment_wavefront_offset 0
		.amdhsa_system_sgpr_workgroup_id_x 1
		.amdhsa_system_sgpr_workgroup_id_y 1
		.amdhsa_system_sgpr_workgroup_id_z 0
		.amdhsa_system_sgpr_workgroup_info 0
		.amdhsa_system_vgpr_workitem_id 0
		.amdhsa_next_free_vgpr 80
		.amdhsa_next_free_sgpr 32
		.amdhsa_reserve_vcc 1
		.amdhsa_reserve_flat_scratch 0
		.amdhsa_float_round_mode_32 0
		.amdhsa_float_round_mode_16_64 0
		.amdhsa_float_denorm_mode_32 3
		.amdhsa_float_denorm_mode_16_64 3
		.amdhsa_dx10_clamp 1
		.amdhsa_ieee_mode 1
		.amdhsa_fp16_overflow 0
		.amdhsa_exception_fp_ieee_invalid_op 0
		.amdhsa_exception_fp_denorm_src 0
		.amdhsa_exception_fp_ieee_div_zero 0
		.amdhsa_exception_fp_ieee_overflow 0
		.amdhsa_exception_fp_ieee_underflow 0
		.amdhsa_exception_fp_ieee_inexact 0
		.amdhsa_exception_int_div_zero 0
	.end_amdhsa_kernel
	.section	.text._ZN9rocsparseL19gtsv_LBM_rhs_kernelILj256ELj2ELj8EdEEviiiPKT2_S3_S3_PS1_S3_PKi,"axG",@progbits,_ZN9rocsparseL19gtsv_LBM_rhs_kernelILj256ELj2ELj8EdEEviiiPKT2_S3_S3_PS1_S3_PKi,comdat
.Lfunc_end91:
	.size	_ZN9rocsparseL19gtsv_LBM_rhs_kernelILj256ELj2ELj8EdEEviiiPKT2_S3_S3_PS1_S3_PKi, .Lfunc_end91-_ZN9rocsparseL19gtsv_LBM_rhs_kernelILj256ELj2ELj8EdEEviiiPKT2_S3_S3_PS1_S3_PKi
                                        ; -- End function
	.set _ZN9rocsparseL19gtsv_LBM_rhs_kernelILj256ELj2ELj8EdEEviiiPKT2_S3_S3_PS1_S3_PKi.num_vgpr, 80
	.set _ZN9rocsparseL19gtsv_LBM_rhs_kernelILj256ELj2ELj8EdEEviiiPKT2_S3_S3_PS1_S3_PKi.num_agpr, 0
	.set _ZN9rocsparseL19gtsv_LBM_rhs_kernelILj256ELj2ELj8EdEEviiiPKT2_S3_S3_PS1_S3_PKi.numbered_sgpr, 32
	.set _ZN9rocsparseL19gtsv_LBM_rhs_kernelILj256ELj2ELj8EdEEviiiPKT2_S3_S3_PS1_S3_PKi.num_named_barrier, 0
	.set _ZN9rocsparseL19gtsv_LBM_rhs_kernelILj256ELj2ELj8EdEEviiiPKT2_S3_S3_PS1_S3_PKi.private_seg_size, 0
	.set _ZN9rocsparseL19gtsv_LBM_rhs_kernelILj256ELj2ELj8EdEEviiiPKT2_S3_S3_PS1_S3_PKi.uses_vcc, 1
	.set _ZN9rocsparseL19gtsv_LBM_rhs_kernelILj256ELj2ELj8EdEEviiiPKT2_S3_S3_PS1_S3_PKi.uses_flat_scratch, 0
	.set _ZN9rocsparseL19gtsv_LBM_rhs_kernelILj256ELj2ELj8EdEEviiiPKT2_S3_S3_PS1_S3_PKi.has_dyn_sized_stack, 0
	.set _ZN9rocsparseL19gtsv_LBM_rhs_kernelILj256ELj2ELj8EdEEviiiPKT2_S3_S3_PS1_S3_PKi.has_recursion, 0
	.set _ZN9rocsparseL19gtsv_LBM_rhs_kernelILj256ELj2ELj8EdEEviiiPKT2_S3_S3_PS1_S3_PKi.has_indirect_call, 0
	.section	.AMDGPU.csdata,"",@progbits
; Kernel info:
; codeLenInByte = 4288
; TotalNumSgprs: 36
; NumVgprs: 80
; ScratchSize: 0
; MemoryBound: 0
; FloatMode: 240
; IeeeMode: 1
; LDSByteSize: 0 bytes/workgroup (compile time only)
; SGPRBlocks: 4
; VGPRBlocks: 19
; NumSGPRsForWavesPerEU: 36
; NumVGPRsForWavesPerEU: 80
; Occupancy: 3
; WaveLimiterHint : 0
; COMPUTE_PGM_RSRC2:SCRATCH_EN: 0
; COMPUTE_PGM_RSRC2:USER_SGPR: 6
; COMPUTE_PGM_RSRC2:TRAP_HANDLER: 0
; COMPUTE_PGM_RSRC2:TGID_X_EN: 1
; COMPUTE_PGM_RSRC2:TGID_Y_EN: 1
; COMPUTE_PGM_RSRC2:TGID_Z_EN: 0
; COMPUTE_PGM_RSRC2:TIDIG_COMP_CNT: 0
	.section	.text._ZN9rocsparseL19gtsv_LBM_rhs_kernelILj256ELj2ELj4EdEEviiiPKT2_S3_S3_PS1_S3_PKi,"axG",@progbits,_ZN9rocsparseL19gtsv_LBM_rhs_kernelILj256ELj2ELj4EdEEviiiPKT2_S3_S3_PS1_S3_PKi,comdat
	.globl	_ZN9rocsparseL19gtsv_LBM_rhs_kernelILj256ELj2ELj4EdEEviiiPKT2_S3_S3_PS1_S3_PKi ; -- Begin function _ZN9rocsparseL19gtsv_LBM_rhs_kernelILj256ELj2ELj4EdEEviiiPKT2_S3_S3_PS1_S3_PKi
	.p2align	8
	.type	_ZN9rocsparseL19gtsv_LBM_rhs_kernelILj256ELj2ELj4EdEEviiiPKT2_S3_S3_PS1_S3_PKi,@function
_ZN9rocsparseL19gtsv_LBM_rhs_kernelILj256ELj2ELj4EdEEviiiPKT2_S3_S3_PS1_S3_PKi: ; @_ZN9rocsparseL19gtsv_LBM_rhs_kernelILj256ELj2ELj4EdEEviiiPKT2_S3_S3_PS1_S3_PKi
; %bb.0:
	s_load_dword s21, s[4:5], 0x0
	v_lshl_or_b32 v0, s6, 8, v0
	s_waitcnt lgkmcnt(0)
	s_lshr_b32 s20, s21, 1
	v_cmp_gt_i32_e32 vcc, s20, v0
	s_and_saveexec_b64 s[0:1], vcc
	s_cbranch_execz .LBB92_23
; %bb.1:
	s_load_dwordx4 s[8:11], s[4:5], 0x28
	s_load_dwordx2 s[16:17], s[4:5], 0x38
	s_cmp_lt_i32 s21, 1
	v_add_u32_e32 v31, s20, v0
	s_mul_i32 s22, s7, s21
	s_cbranch_scc1 .LBB92_15
; %bb.2:
	s_load_dwordx4 s[12:15], s[4:5], 0x10
	s_load_dwordx2 s[6:7], s[4:5], 0x20
	v_ashrrev_i32_e32 v1, 31, v0
	v_lshlrev_b64 v[1:2], 3, v[0:1]
	s_lshl_b32 s23, s22, 2
	s_waitcnt lgkmcnt(0)
	v_mov_b32_e32 v3, s15
	v_add_co_u32_e32 v1, vcc, s14, v1
	v_addc_co_u32_e32 v2, vcc, v3, v2, vcc
	global_load_dwordx2 v[7:8], v[1:2], off
	s_add_i32 s24, s23, s21
	s_add_i32 s25, s24, s21
	;; [unrolled: 1-line block ×3, first 2 shown]
	s_and_b32 s27, s21, 0x7ffffffe
	v_mov_b32_e32 v2, 0
	s_mov_b64 s[4:5], 0
	v_mov_b32_e32 v33, s7
	v_mov_b32_e32 v32, 0
	s_branch .LBB92_5
.LBB92_3:                               ;   in Loop: Header=BB92_5 Depth=1
	s_or_b64 exec, exec, s[18:19]
	v_fma_f64 v[11:12], -v[7:8], v[27:28], v[3:4]
	v_mov_b32_e32 v1, s20
.LBB92_4:                               ;   in Loop: Header=BB92_5 Depth=1
	s_or_b64 exec, exec, s[2:3]
	v_add_u32_e32 v32, v1, v32
	v_cmp_le_i32_e32 vcc, s21, v32
	v_mov_b32_e32 v7, v11
	s_or_b64 s[4:5], vcc, s[4:5]
	v_mov_b32_e32 v8, v12
	s_andn2_b64 exec, exec, s[4:5]
	s_cbranch_execz .LBB92_14
.LBB92_5:                               ; =>This Inner Loop Header: Depth=1
	v_add_u32_e32 v17, v32, v0
	v_ashrrev_i32_e32 v18, 31, v17
	v_lshlrev_b64 v[3:4], 3, v[17:18]
	v_mov_b32_e32 v5, 0
	v_add_co_u32_e32 v3, vcc, s6, v3
	v_addc_co_u32_e32 v4, vcc, v33, v4, vcc
	global_load_dwordx2 v[11:12], v[3:4], off
	v_mov_b32_e32 v3, 0
	v_mov_b32_e32 v4, 0
	;; [unrolled: 1-line block ×3, first 2 shown]
	v_cmp_gt_u32_e64 s[0:1], s20, v32
	s_and_saveexec_b64 s[2:3], s[0:1]
	s_cbranch_execz .LBB92_7
; %bb.6:                                ;   in Loop: Header=BB92_5 Depth=1
	v_add_u32_e32 v5, v31, v32
	v_ashrrev_i32_e32 v6, 31, v5
	v_lshlrev_b64 v[5:6], 3, v[5:6]
	v_mov_b32_e32 v1, s13
	v_add_co_u32_e32 v5, vcc, s12, v5
	v_addc_co_u32_e32 v6, vcc, v1, v6, vcc
	global_load_dwordx2 v[5:6], v[5:6], off
.LBB92_7:                               ;   in Loop: Header=BB92_5 Depth=1
	s_or_b64 exec, exec, s[2:3]
	s_and_saveexec_b64 s[2:3], s[0:1]
	s_cbranch_execz .LBB92_9
; %bb.8:                                ;   in Loop: Header=BB92_5 Depth=1
	v_add_u32_e32 v3, v31, v32
	v_ashrrev_i32_e32 v4, 31, v3
	v_lshlrev_b64 v[3:4], 3, v[3:4]
	v_mov_b32_e32 v1, s15
	v_add_co_u32_e32 v3, vcc, s14, v3
	v_addc_co_u32_e32 v4, vcc, v1, v4, vcc
	global_load_dwordx2 v[3:4], v[3:4], off
.LBB92_9:                               ;   in Loop: Header=BB92_5 Depth=1
	s_or_b64 exec, exec, s[2:3]
	v_lshlrev_b64 v[9:10], 2, v[17:18]
	v_mov_b32_e32 v1, s17
	v_add_co_u32_e32 v9, vcc, s16, v9
	v_addc_co_u32_e32 v10, vcc, v1, v10, vcc
	v_add_u32_e32 v1, s23, v17
	global_load_dword v29, v[9:10], off
	v_lshlrev_b64 v[9:10], 3, v[1:2]
	v_add_u32_e32 v1, s24, v17
	s_waitcnt vmcnt(5)
	v_mov_b32_e32 v19, s9
	v_add_co_u32_e32 v9, vcc, s8, v9
	v_lshlrev_b64 v[13:14], 3, v[1:2]
	v_addc_co_u32_e32 v10, vcc, v19, v10, vcc
	v_add_u32_e32 v1, s25, v17
	v_add_co_u32_e32 v13, vcc, s8, v13
	v_lshlrev_b64 v[15:16], 3, v[1:2]
	v_addc_co_u32_e32 v14, vcc, v19, v14, vcc
	v_add_u32_e32 v1, s26, v17
	v_add_co_u32_e32 v15, vcc, s8, v15
	v_lshlrev_b64 v[17:18], 3, v[1:2]
	v_addc_co_u32_e32 v16, vcc, v19, v16, vcc
	v_add_co_u32_e32 v17, vcc, s8, v17
	v_addc_co_u32_e32 v18, vcc, v19, v18, vcc
	global_load_dwordx2 v[19:20], v[9:10], off
	global_load_dwordx2 v[21:22], v[13:14], off
	;; [unrolled: 1-line block ×4, first 2 shown]
	s_waitcnt vmcnt(5)
	v_mul_f64 v[27:28], v[11:12], v[5:6]
	v_cmp_ne_u32_e64 s[2:3], s20, v32
	s_waitcnt vmcnt(4)
	v_cmp_ne_u32_e32 vcc, 1, v29
	s_and_b64 s[2:3], s[2:3], vcc
	s_and_saveexec_b64 s[18:19], s[2:3]
	s_xor_b64 s[2:3], exec, s[18:19]
	s_cbranch_execz .LBB92_11
; %bb.10:                               ;   in Loop: Header=BB92_5 Depth=1
	v_fma_f64 v[27:28], v[7:8], v[3:4], -v[27:28]
	v_add_u32_e32 v40, v31, v32
	v_add_u32_e32 v1, s23, v40
	v_lshlrev_b64 v[34:35], 3, v[1:2]
	v_add_u32_e32 v1, s24, v40
	v_mov_b32_e32 v44, s9
	v_lshlrev_b64 v[36:37], 3, v[1:2]
	v_add_co_u32_e32 v34, vcc, s8, v34
	v_div_scale_f64 v[29:30], s[18:19], v[27:28], v[27:28], 1.0
	v_add_u32_e32 v1, s25, v40
	v_addc_co_u32_e32 v35, vcc, v44, v35, vcc
	v_lshlrev_b64 v[38:39], 3, v[1:2]
	v_add_co_u32_e32 v36, vcc, s8, v36
	v_add_u32_e32 v1, s26, v40
	v_addc_co_u32_e32 v37, vcc, v44, v37, vcc
	v_lshlrev_b64 v[40:41], 3, v[1:2]
	v_add_co_u32_e32 v38, vcc, s8, v38
	v_addc_co_u32_e32 v39, vcc, v44, v39, vcc
	v_rcp_f64_e32 v[42:43], v[29:30]
	v_add_co_u32_e32 v40, vcc, s8, v40
	v_addc_co_u32_e32 v41, vcc, v44, v41, vcc
	global_load_dwordx2 v[44:45], v[34:35], off
	global_load_dwordx2 v[46:47], v[36:37], off
	;; [unrolled: 1-line block ×4, first 2 shown]
	v_fma_f64 v[52:53], -v[29:30], v[42:43], 1.0
	v_fma_f64 v[42:43], v[42:43], v[52:53], v[42:43]
	v_div_scale_f64 v[52:53], vcc, 1.0, v[27:28], 1.0
	v_fma_f64 v[54:55], -v[29:30], v[42:43], 1.0
	v_fma_f64 v[42:43], v[42:43], v[54:55], v[42:43]
	v_mul_f64 v[54:55], v[52:53], v[42:43]
	v_fma_f64 v[29:30], -v[29:30], v[54:55], v[52:53]
	v_div_fmas_f64 v[29:30], v[29:30], v[42:43], v[54:55]
	v_div_fixup_f64 v[27:28], v[29:30], v[27:28], 1.0
	s_waitcnt vmcnt(3)
	v_mul_f64 v[29:30], v[27:28], v[44:45]
	s_waitcnt vmcnt(2)
	v_mul_f64 v[42:43], v[27:28], v[46:47]
	;; [unrolled: 2-line block ×4, first 2 shown]
	v_mul_f64 v[19:20], v[27:28], v[19:20]
	v_mul_f64 v[21:22], v[27:28], v[21:22]
	;; [unrolled: 1-line block ×12, first 2 shown]
	v_fma_f64 v[19:20], v[3:4], v[19:20], -v[27:28]
	v_fma_f64 v[21:22], v[3:4], v[21:22], -v[48:49]
	;; [unrolled: 1-line block ×8, first 2 shown]
	global_store_dwordx2 v[9:10], v[19:20], off
	global_store_dwordx2 v[13:14], v[21:22], off
	global_store_dwordx2 v[15:16], v[23:24], off
	global_store_dwordx2 v[17:18], v[3:4], off
	global_store_dwordx2 v[34:35], v[11:12], off
	global_store_dwordx2 v[36:37], v[25:26], off
	global_store_dwordx2 v[38:39], v[27:28], off
	global_store_dwordx2 v[40:41], v[5:6], off
                                        ; implicit-def: $vgpr7_vgpr8
                                        ; implicit-def: $vgpr5_vgpr6
                                        ; implicit-def: $vgpr3_vgpr4
                                        ; implicit-def: $vgpr27_vgpr28
                                        ; implicit-def: $vgpr9_vgpr10
                                        ; implicit-def: $vgpr19_vgpr20
                                        ; implicit-def: $vgpr13_vgpr14
                                        ; implicit-def: $vgpr21_vgpr22
                                        ; implicit-def: $vgpr15_vgpr16
                                        ; implicit-def: $vgpr23_vgpr24
                                        ; implicit-def: $vgpr17_vgpr18
                                        ; implicit-def: $vgpr25_vgpr26
.LBB92_11:                              ;   in Loop: Header=BB92_5 Depth=1
	s_or_saveexec_b64 s[2:3], s[2:3]
	v_mov_b32_e32 v11, 0
	v_mov_b32_e32 v12, 0
	v_mov_b32_e32 v1, s27
	s_xor_b64 exec, exec, s[2:3]
	s_cbranch_execz .LBB92_4
; %bb.12:                               ;   in Loop: Header=BB92_5 Depth=1
	v_div_scale_f64 v[11:12], s[18:19], v[7:8], v[7:8], 1.0
	v_rcp_f64_e32 v[29:30], v[11:12]
	v_fma_f64 v[34:35], -v[11:12], v[29:30], 1.0
	v_fma_f64 v[29:30], v[29:30], v[34:35], v[29:30]
	v_div_scale_f64 v[34:35], vcc, 1.0, v[7:8], 1.0
	v_fma_f64 v[36:37], -v[11:12], v[29:30], 1.0
	v_fma_f64 v[29:30], v[29:30], v[36:37], v[29:30]
	v_mul_f64 v[36:37], v[34:35], v[29:30]
	v_fma_f64 v[11:12], -v[11:12], v[36:37], v[34:35]
	v_div_fmas_f64 v[11:12], v[11:12], v[29:30], v[36:37]
	v_div_fixup_f64 v[7:8], v[11:12], v[7:8], 1.0
	s_waitcnt vmcnt(3)
	v_mul_f64 v[29:30], v[7:8], v[19:20]
	s_waitcnt vmcnt(2)
	v_mul_f64 v[21:22], v[7:8], v[21:22]
	;; [unrolled: 2-line block ×4, first 2 shown]
	global_store_dwordx2 v[9:10], v[29:30], off
	global_store_dwordx2 v[13:14], v[21:22], off
	;; [unrolled: 1-line block ×4, first 2 shown]
	s_and_saveexec_b64 s[18:19], s[0:1]
	s_cbranch_execz .LBB92_3
; %bb.13:                               ;   in Loop: Header=BB92_5 Depth=1
	v_add_u32_e32 v25, v31, v32
	v_add_u32_e32 v1, s23, v25
	v_lshlrev_b64 v[9:10], 3, v[1:2]
	v_add_u32_e32 v1, s24, v25
	v_mov_b32_e32 v34, s9
	v_add_co_u32_e32 v9, vcc, s8, v9
	v_lshlrev_b64 v[13:14], 3, v[1:2]
	v_addc_co_u32_e32 v10, vcc, v34, v10, vcc
	v_add_co_u32_e32 v13, vcc, s8, v13
	v_addc_co_u32_e32 v14, vcc, v34, v14, vcc
	global_load_dwordx2 v[15:16], v[9:10], off
	global_load_dwordx2 v[17:18], v[13:14], off
	v_add_u32_e32 v1, s25, v25
	v_lshlrev_b64 v[23:24], 3, v[1:2]
	v_add_u32_e32 v1, s26, v25
	v_lshlrev_b64 v[25:26], 3, v[1:2]
	s_waitcnt vmcnt(1)
	v_fma_f64 v[15:16], -v[5:6], v[29:30], v[15:16]
	s_waitcnt vmcnt(0)
	v_fma_f64 v[17:18], -v[5:6], v[21:22], v[17:18]
	v_add_co_u32_e32 v21, vcc, s8, v23
	v_addc_co_u32_e32 v22, vcc, v34, v24, vcc
	v_add_co_u32_e32 v23, vcc, s8, v25
	global_store_dwordx2 v[9:10], v[15:16], off
	global_store_dwordx2 v[13:14], v[17:18], off
	v_addc_co_u32_e32 v24, vcc, v34, v26, vcc
	global_load_dwordx2 v[9:10], v[21:22], off
	global_load_dwordx2 v[13:14], v[23:24], off
	s_waitcnt vmcnt(1)
	v_fma_f64 v[9:10], -v[5:6], v[11:12], v[9:10]
	s_waitcnt vmcnt(0)
	v_fma_f64 v[5:6], -v[5:6], v[19:20], v[13:14]
	global_store_dwordx2 v[21:22], v[9:10], off
	global_store_dwordx2 v[23:24], v[5:6], off
	s_branch .LBB92_3
.LBB92_14:
	s_or_b64 exec, exec, s[4:5]
	s_branch .LBB92_16
.LBB92_15:
	v_mov_b32_e32 v32, 0
.LBB92_16:
	v_subrev_u32_e32 v3, s20, v32
	v_add_u32_e32 v1, v3, v0
	v_ashrrev_i32_e32 v2, 31, v1
	v_lshlrev_b64 v[1:2], 2, v[1:2]
	s_waitcnt lgkmcnt(0)
	v_mov_b32_e32 v4, s17
	v_add_co_u32_e32 v1, vcc, s16, v1
	v_addc_co_u32_e32 v2, vcc, v4, v2, vcc
	s_waitcnt vmcnt(0)
	buffer_wbinvl1_vol
	global_load_dword v1, v[1:2], off
	s_waitcnt vmcnt(0)
	v_mul_lo_u32 v1, v1, s20
	v_sub_u32_e32 v7, v3, v1
	v_cmp_lt_i32_e32 vcc, -1, v7
	s_and_b64 exec, exec, vcc
	s_cbranch_execz .LBB92_23
; %bb.17:
	s_lshl_b32 s4, s22, 2
	s_add_i32 s5, s4, s21
	s_add_i32 s6, s5, s21
	;; [unrolled: 1-line block ×3, first 2 shown]
	s_and_b32 s12, s21, -2
	s_mov_b64 s[0:1], 0
	v_mov_b32_e32 v8, s17
	v_mov_b32_e32 v9, s11
	;; [unrolled: 1-line block ×3, first 2 shown]
	s_branch .LBB92_19
.LBB92_18:                              ;   in Loop: Header=BB92_19 Depth=1
	s_or_b64 exec, exec, s[2:3]
	v_sub_u32_e32 v7, v7, v1
	v_cmp_gt_i32_e32 vcc, 0, v7
	s_or_b64 s[0:1], vcc, s[0:1]
	s_andn2_b64 exec, exec, s[0:1]
	s_cbranch_execz .LBB92_23
.LBB92_19:                              ; =>This Inner Loop Header: Depth=1
	v_add_u32_e32 v5, v7, v0
	v_ashrrev_i32_e32 v6, 31, v5
	s_waitcnt vmcnt(0)
	v_lshlrev_b64 v[3:4], 2, v[5:6]
	v_add_co_u32_e32 v3, vcc, s16, v3
	v_addc_co_u32_e32 v4, vcc, v8, v4, vcc
	global_load_dword v1, v[3:4], off
	v_lshlrev_b64 v[3:4], 3, v[5:6]
	v_add_co_u32_e32 v3, vcc, s10, v3
	v_addc_co_u32_e32 v4, vcc, v9, v4, vcc
	global_load_dwordx2 v[3:4], v[3:4], off
	s_waitcnt vmcnt(1)
	v_cmp_ne_u32_e32 vcc, 1, v1
	s_and_saveexec_b64 s[2:3], vcc
	s_xor_b64 s[2:3], exec, s[2:3]
	s_cbranch_execz .LBB92_21
; %bb.20:                               ;   in Loop: Header=BB92_19 Depth=1
	v_add_u32_e32 v6, v31, v7
	v_add_u32_e32 v1, s4, v6
	v_lshlrev_b64 v[10:11], 3, v[1:2]
	v_mov_b32_e32 v1, s9
	v_add_co_u32_e32 v10, vcc, s8, v10
	v_addc_co_u32_e32 v11, vcc, v1, v11, vcc
	v_add_u32_e32 v1, s5, v6
	v_lshlrev_b64 v[12:13], 3, v[1:2]
	v_add_u32_e32 v1, s6, v6
	v_lshlrev_b64 v[14:15], 3, v[1:2]
	;; [unrolled: 2-line block ×4, first 2 shown]
	v_mov_b32_e32 v1, s9
	v_add_co_u32_e32 v18, vcc, s8, v18
	v_addc_co_u32_e32 v19, vcc, v1, v19, vcc
	global_load_dwordx2 v[10:11], v[10:11], off
	v_add_co_u32_e32 v12, vcc, s8, v12
	global_load_dwordx2 v[20:21], v[18:19], off
	v_addc_co_u32_e32 v13, vcc, v1, v13, vcc
	v_mov_b32_e32 v6, s9
	v_add_co_u32_e32 v14, vcc, s8, v14
	v_addc_co_u32_e32 v15, vcc, v6, v15, vcc
	v_mov_b32_e32 v22, s9
	v_add_co_u32_e32 v16, vcc, s8, v16
	v_addc_co_u32_e32 v17, vcc, v22, v17, vcc
	global_load_dwordx2 v[22:23], v[12:13], off
	global_load_dwordx2 v[24:25], v[14:15], off
	;; [unrolled: 1-line block ×3, first 2 shown]
	v_add_u32_e32 v1, s5, v5
	v_lshlrev_b64 v[14:15], 3, v[1:2]
	v_add_u32_e32 v1, s6, v5
	v_add_co_u32_e32 v14, vcc, s8, v14
	v_addc_co_u32_e32 v15, vcc, v6, v15, vcc
	v_lshlrev_b64 v[16:17], 3, v[1:2]
	v_add_u32_e32 v1, s7, v5
	v_add_co_u32_e32 v16, vcc, s8, v16
	v_addc_co_u32_e32 v17, vcc, v6, v17, vcc
	v_lshlrev_b64 v[5:6], 3, v[1:2]
	v_subrev_u32_e32 v1, s20, v7
	v_add_co_u32_e32 v5, vcc, s8, v5
	s_waitcnt vmcnt(3)
	v_fma_f64 v[12:13], -v[3:4], v[10:11], v[20:21]
	global_store_dwordx2 v[18:19], v[12:13], off
	global_load_dwordx2 v[12:13], v[14:15], off
	s_waitcnt vmcnt(0)
	v_fma_f64 v[12:13], -v[3:4], v[22:23], v[12:13]
	global_store_dwordx2 v[14:15], v[12:13], off
	global_load_dwordx2 v[12:13], v[16:17], off
	v_mov_b32_e32 v14, s9
	v_addc_co_u32_e32 v6, vcc, v14, v6, vcc
	v_add_u32_e32 v14, v1, v0
	v_ashrrev_i32_e32 v15, 31, v14
	v_add_u32_e32 v1, s4, v14
	s_waitcnt vmcnt(0)
	v_fma_f64 v[12:13], -v[3:4], v[24:25], v[12:13]
	global_store_dwordx2 v[16:17], v[12:13], off
	global_load_dwordx2 v[12:13], v[5:6], off
	v_lshlrev_b64 v[15:16], 3, v[14:15]
	v_mov_b32_e32 v17, s9
	v_add_co_u32_e32 v15, vcc, s10, v15
	v_addc_co_u32_e32 v16, vcc, v9, v16, vcc
	s_waitcnt vmcnt(0)
	v_fma_f64 v[3:4], -v[3:4], v[26:27], v[12:13]
	global_load_dwordx2 v[12:13], v[15:16], off
	v_lshlrev_b64 v[15:16], 3, v[1:2]
	v_add_u32_e32 v1, s5, v14
	v_add_co_u32_e32 v15, vcc, s8, v15
	v_addc_co_u32_e32 v16, vcc, v17, v16, vcc
	global_store_dwordx2 v[5:6], v[3:4], off
	global_load_dwordx2 v[3:4], v[15:16], off
	v_lshlrev_b64 v[5:6], 3, v[1:2]
	v_add_u32_e32 v1, s6, v14
	v_add_co_u32_e32 v5, vcc, s8, v5
	s_waitcnt vmcnt(0)
	v_fma_f64 v[3:4], -v[12:13], v[10:11], v[3:4]
	v_mov_b32_e32 v10, s9
	v_addc_co_u32_e32 v6, vcc, v10, v6, vcc
	v_lshlrev_b64 v[10:11], 3, v[1:2]
	v_add_u32_e32 v1, s7, v14
	v_add_co_u32_e32 v10, vcc, s8, v10
	global_store_dwordx2 v[15:16], v[3:4], off
	global_load_dwordx2 v[3:4], v[5:6], off
	v_mov_b32_e32 v15, s9
	v_addc_co_u32_e32 v11, vcc, v15, v11, vcc
	s_waitcnt vmcnt(0)
	v_fma_f64 v[3:4], -v[12:13], v[22:23], v[3:4]
	global_store_dwordx2 v[5:6], v[3:4], off
	global_load_dwordx2 v[3:4], v[10:11], off
	v_lshlrev_b64 v[5:6], 3, v[1:2]
	s_waitcnt vmcnt(0)
	v_fma_f64 v[3:4], -v[12:13], v[24:25], v[3:4]
	global_store_dwordx2 v[10:11], v[3:4], off
	v_add_co_u32_e32 v3, vcc, s8, v5
	v_addc_co_u32_e32 v4, vcc, v15, v6, vcc
	global_load_dwordx2 v[5:6], v[3:4], off
	s_waitcnt vmcnt(0)
	v_fma_f64 v[5:6], -v[12:13], v[26:27], v[5:6]
	global_store_dwordx2 v[3:4], v[5:6], off
                                        ; implicit-def: $vgpr5
                                        ; implicit-def: $vgpr3_vgpr4
.LBB92_21:                              ;   in Loop: Header=BB92_19 Depth=1
	s_or_saveexec_b64 s[2:3], s[2:3]
	v_mov_b32_e32 v1, s12
	s_xor_b64 exec, exec, s[2:3]
	s_cbranch_execz .LBB92_18
; %bb.22:                               ;   in Loop: Header=BB92_19 Depth=1
	v_add_u32_e32 v6, v31, v7
	v_add_u32_e32 v1, s4, v6
	v_lshlrev_b64 v[10:11], 3, v[1:2]
	v_mov_b32_e32 v1, s9
	v_add_co_u32_e32 v10, vcc, s8, v10
	v_addc_co_u32_e32 v11, vcc, v1, v11, vcc
	v_add_u32_e32 v1, s4, v5
	v_lshlrev_b64 v[12:13], 3, v[1:2]
	v_mov_b32_e32 v1, s9
	v_add_co_u32_e32 v12, vcc, s8, v12
	v_addc_co_u32_e32 v13, vcc, v1, v13, vcc
	global_load_dwordx2 v[14:15], v[10:11], off
	global_load_dwordx2 v[16:17], v[12:13], off
	v_add_u32_e32 v1, s5, v6
	v_lshlrev_b64 v[10:11], 3, v[1:2]
	v_add_u32_e32 v1, s5, v5
	v_mov_b32_e32 v20, s9
	v_lshlrev_b64 v[18:19], 3, v[1:2]
	v_add_co_u32_e32 v10, vcc, s8, v10
	v_addc_co_u32_e32 v11, vcc, v20, v11, vcc
	v_mov_b32_e32 v21, s9
	v_add_u32_e32 v1, s6, v6
	s_waitcnt vmcnt(0)
	v_fma_f64 v[14:15], -v[3:4], v[14:15], v[16:17]
	v_add_co_u32_e32 v16, vcc, s8, v18
	v_addc_co_u32_e32 v17, vcc, v21, v19, vcc
	global_store_dwordx2 v[12:13], v[14:15], off
	global_load_dwordx2 v[12:13], v[10:11], off
	s_nop 0
	global_load_dwordx2 v[14:15], v[16:17], off
	v_lshlrev_b64 v[10:11], 3, v[1:2]
	v_add_u32_e32 v1, s6, v5
	v_lshlrev_b64 v[18:19], 3, v[1:2]
	v_add_co_u32_e32 v10, vcc, s8, v10
	v_addc_co_u32_e32 v11, vcc, v20, v11, vcc
	v_add_u32_e32 v1, s7, v6
	s_waitcnt vmcnt(0)
	v_fma_f64 v[12:13], -v[3:4], v[12:13], v[14:15]
	v_add_co_u32_e32 v14, vcc, s8, v18
	v_addc_co_u32_e32 v15, vcc, v21, v19, vcc
	v_mov_b32_e32 v18, s9
	v_mov_b32_e32 v19, s9
	global_store_dwordx2 v[16:17], v[12:13], off
	global_load_dwordx2 v[12:13], v[10:11], off
	s_nop 0
	global_load_dwordx2 v[16:17], v[14:15], off
	v_lshlrev_b64 v[10:11], 3, v[1:2]
	v_add_u32_e32 v1, s7, v5
	v_lshlrev_b64 v[5:6], 3, v[1:2]
	v_add_co_u32_e32 v10, vcc, s8, v10
	v_addc_co_u32_e32 v11, vcc, v18, v11, vcc
	v_add_co_u32_e32 v5, vcc, s8, v5
	v_addc_co_u32_e32 v6, vcc, v19, v6, vcc
	v_mov_b32_e32 v1, s20
	s_waitcnt vmcnt(0)
	v_fma_f64 v[12:13], -v[3:4], v[12:13], v[16:17]
	global_store_dwordx2 v[14:15], v[12:13], off
	global_load_dwordx2 v[12:13], v[10:11], off
	s_nop 0
	global_load_dwordx2 v[14:15], v[5:6], off
	s_waitcnt vmcnt(0)
	v_fma_f64 v[3:4], -v[3:4], v[12:13], v[14:15]
	global_store_dwordx2 v[5:6], v[3:4], off
	s_branch .LBB92_18
.LBB92_23:
	s_endpgm
	.section	.rodata,"a",@progbits
	.p2align	6, 0x0
	.amdhsa_kernel _ZN9rocsparseL19gtsv_LBM_rhs_kernelILj256ELj2ELj4EdEEviiiPKT2_S3_S3_PS1_S3_PKi
		.amdhsa_group_segment_fixed_size 0
		.amdhsa_private_segment_fixed_size 0
		.amdhsa_kernarg_size 64
		.amdhsa_user_sgpr_count 6
		.amdhsa_user_sgpr_private_segment_buffer 1
		.amdhsa_user_sgpr_dispatch_ptr 0
		.amdhsa_user_sgpr_queue_ptr 0
		.amdhsa_user_sgpr_kernarg_segment_ptr 1
		.amdhsa_user_sgpr_dispatch_id 0
		.amdhsa_user_sgpr_flat_scratch_init 0
		.amdhsa_user_sgpr_private_segment_size 0
		.amdhsa_uses_dynamic_stack 0
		.amdhsa_system_sgpr_private_segment_wavefront_offset 0
		.amdhsa_system_sgpr_workgroup_id_x 1
		.amdhsa_system_sgpr_workgroup_id_y 1
		.amdhsa_system_sgpr_workgroup_id_z 0
		.amdhsa_system_sgpr_workgroup_info 0
		.amdhsa_system_vgpr_workitem_id 0
		.amdhsa_next_free_vgpr 58
		.amdhsa_next_free_sgpr 28
		.amdhsa_reserve_vcc 1
		.amdhsa_reserve_flat_scratch 0
		.amdhsa_float_round_mode_32 0
		.amdhsa_float_round_mode_16_64 0
		.amdhsa_float_denorm_mode_32 3
		.amdhsa_float_denorm_mode_16_64 3
		.amdhsa_dx10_clamp 1
		.amdhsa_ieee_mode 1
		.amdhsa_fp16_overflow 0
		.amdhsa_exception_fp_ieee_invalid_op 0
		.amdhsa_exception_fp_denorm_src 0
		.amdhsa_exception_fp_ieee_div_zero 0
		.amdhsa_exception_fp_ieee_overflow 0
		.amdhsa_exception_fp_ieee_underflow 0
		.amdhsa_exception_fp_ieee_inexact 0
		.amdhsa_exception_int_div_zero 0
	.end_amdhsa_kernel
	.section	.text._ZN9rocsparseL19gtsv_LBM_rhs_kernelILj256ELj2ELj4EdEEviiiPKT2_S3_S3_PS1_S3_PKi,"axG",@progbits,_ZN9rocsparseL19gtsv_LBM_rhs_kernelILj256ELj2ELj4EdEEviiiPKT2_S3_S3_PS1_S3_PKi,comdat
.Lfunc_end92:
	.size	_ZN9rocsparseL19gtsv_LBM_rhs_kernelILj256ELj2ELj4EdEEviiiPKT2_S3_S3_PS1_S3_PKi, .Lfunc_end92-_ZN9rocsparseL19gtsv_LBM_rhs_kernelILj256ELj2ELj4EdEEviiiPKT2_S3_S3_PS1_S3_PKi
                                        ; -- End function
	.set _ZN9rocsparseL19gtsv_LBM_rhs_kernelILj256ELj2ELj4EdEEviiiPKT2_S3_S3_PS1_S3_PKi.num_vgpr, 58
	.set _ZN9rocsparseL19gtsv_LBM_rhs_kernelILj256ELj2ELj4EdEEviiiPKT2_S3_S3_PS1_S3_PKi.num_agpr, 0
	.set _ZN9rocsparseL19gtsv_LBM_rhs_kernelILj256ELj2ELj4EdEEviiiPKT2_S3_S3_PS1_S3_PKi.numbered_sgpr, 28
	.set _ZN9rocsparseL19gtsv_LBM_rhs_kernelILj256ELj2ELj4EdEEviiiPKT2_S3_S3_PS1_S3_PKi.num_named_barrier, 0
	.set _ZN9rocsparseL19gtsv_LBM_rhs_kernelILj256ELj2ELj4EdEEviiiPKT2_S3_S3_PS1_S3_PKi.private_seg_size, 0
	.set _ZN9rocsparseL19gtsv_LBM_rhs_kernelILj256ELj2ELj4EdEEviiiPKT2_S3_S3_PS1_S3_PKi.uses_vcc, 1
	.set _ZN9rocsparseL19gtsv_LBM_rhs_kernelILj256ELj2ELj4EdEEviiiPKT2_S3_S3_PS1_S3_PKi.uses_flat_scratch, 0
	.set _ZN9rocsparseL19gtsv_LBM_rhs_kernelILj256ELj2ELj4EdEEviiiPKT2_S3_S3_PS1_S3_PKi.has_dyn_sized_stack, 0
	.set _ZN9rocsparseL19gtsv_LBM_rhs_kernelILj256ELj2ELj4EdEEviiiPKT2_S3_S3_PS1_S3_PKi.has_recursion, 0
	.set _ZN9rocsparseL19gtsv_LBM_rhs_kernelILj256ELj2ELj4EdEEviiiPKT2_S3_S3_PS1_S3_PKi.has_indirect_call, 0
	.section	.AMDGPU.csdata,"",@progbits
; Kernel info:
; codeLenInByte = 2620
; TotalNumSgprs: 32
; NumVgprs: 58
; ScratchSize: 0
; MemoryBound: 0
; FloatMode: 240
; IeeeMode: 1
; LDSByteSize: 0 bytes/workgroup (compile time only)
; SGPRBlocks: 3
; VGPRBlocks: 14
; NumSGPRsForWavesPerEU: 32
; NumVGPRsForWavesPerEU: 58
; Occupancy: 4
; WaveLimiterHint : 0
; COMPUTE_PGM_RSRC2:SCRATCH_EN: 0
; COMPUTE_PGM_RSRC2:USER_SGPR: 6
; COMPUTE_PGM_RSRC2:TRAP_HANDLER: 0
; COMPUTE_PGM_RSRC2:TGID_X_EN: 1
; COMPUTE_PGM_RSRC2:TGID_Y_EN: 1
; COMPUTE_PGM_RSRC2:TGID_Z_EN: 0
; COMPUTE_PGM_RSRC2:TIDIG_COMP_CNT: 0
	.section	.text._ZN9rocsparseL19gtsv_LBM_rhs_kernelILj256ELj2ELj2EdEEviiiPKT2_S3_S3_PS1_S3_PKi,"axG",@progbits,_ZN9rocsparseL19gtsv_LBM_rhs_kernelILj256ELj2ELj2EdEEviiiPKT2_S3_S3_PS1_S3_PKi,comdat
	.globl	_ZN9rocsparseL19gtsv_LBM_rhs_kernelILj256ELj2ELj2EdEEviiiPKT2_S3_S3_PS1_S3_PKi ; -- Begin function _ZN9rocsparseL19gtsv_LBM_rhs_kernelILj256ELj2ELj2EdEEviiiPKT2_S3_S3_PS1_S3_PKi
	.p2align	8
	.type	_ZN9rocsparseL19gtsv_LBM_rhs_kernelILj256ELj2ELj2EdEEviiiPKT2_S3_S3_PS1_S3_PKi,@function
_ZN9rocsparseL19gtsv_LBM_rhs_kernelILj256ELj2ELj2EdEEviiiPKT2_S3_S3_PS1_S3_PKi: ; @_ZN9rocsparseL19gtsv_LBM_rhs_kernelILj256ELj2ELj2EdEEviiiPKT2_S3_S3_PS1_S3_PKi
; %bb.0:
	s_load_dword s21, s[4:5], 0x0
	v_lshl_or_b32 v0, s6, 8, v0
	s_waitcnt lgkmcnt(0)
	s_lshr_b32 s20, s21, 1
	v_cmp_gt_i32_e32 vcc, s20, v0
	s_and_saveexec_b64 s[0:1], vcc
	s_cbranch_execz .LBB93_23
; %bb.1:
	s_load_dwordx4 s[8:11], s[4:5], 0x28
	s_load_dwordx2 s[16:17], s[4:5], 0x38
	s_cmp_lt_i32 s21, 1
	v_add_u32_e32 v21, s20, v0
	s_mul_i32 s22, s7, s21
	s_cbranch_scc1 .LBB93_15
; %bb.2:
	s_load_dwordx4 s[12:15], s[4:5], 0x10
	s_load_dwordx2 s[6:7], s[4:5], 0x20
	v_ashrrev_i32_e32 v1, 31, v0
	v_lshlrev_b64 v[1:2], 3, v[0:1]
	s_lshl_b32 s23, s22, 1
	s_waitcnt lgkmcnt(0)
	v_mov_b32_e32 v3, s15
	v_add_co_u32_e32 v1, vcc, s14, v1
	v_addc_co_u32_e32 v2, vcc, v3, v2, vcc
	global_load_dwordx2 v[3:4], v[1:2], off
	s_add_i32 s24, s23, s21
	s_and_b32 s25, s21, 0x7ffffffe
	v_mov_b32_e32 v2, 0
	s_mov_b64 s[4:5], 0
	v_mov_b32_e32 v23, s7
	v_mov_b32_e32 v22, 0
	s_branch .LBB93_5
.LBB93_3:                               ;   in Loop: Header=BB93_5 Depth=1
	s_or_b64 exec, exec, s[18:19]
	v_fma_f64 v[9:10], -v[3:4], v[19:20], v[5:6]
	v_mov_b32_e32 v1, s20
.LBB93_4:                               ;   in Loop: Header=BB93_5 Depth=1
	s_or_b64 exec, exec, s[2:3]
	v_add_u32_e32 v22, v1, v22
	v_cmp_le_i32_e32 vcc, s21, v22
	v_mov_b32_e32 v3, v9
	s_or_b64 s[4:5], vcc, s[4:5]
	v_mov_b32_e32 v4, v10
	s_andn2_b64 exec, exec, s[4:5]
	s_cbranch_execz .LBB93_14
.LBB93_5:                               ; =>This Inner Loop Header: Depth=1
	v_add_u32_e32 v13, v22, v0
	v_ashrrev_i32_e32 v14, 31, v13
	v_lshlrev_b64 v[5:6], 3, v[13:14]
	v_mov_b32_e32 v7, 0
	v_add_co_u32_e32 v5, vcc, s6, v5
	v_addc_co_u32_e32 v6, vcc, v23, v6, vcc
	global_load_dwordx2 v[9:10], v[5:6], off
	v_mov_b32_e32 v5, 0
	v_mov_b32_e32 v6, 0
	;; [unrolled: 1-line block ×3, first 2 shown]
	v_cmp_gt_u32_e64 s[0:1], s20, v22
	s_and_saveexec_b64 s[2:3], s[0:1]
	s_cbranch_execz .LBB93_7
; %bb.6:                                ;   in Loop: Header=BB93_5 Depth=1
	v_add_u32_e32 v7, v21, v22
	v_ashrrev_i32_e32 v8, 31, v7
	v_lshlrev_b64 v[7:8], 3, v[7:8]
	v_mov_b32_e32 v1, s13
	v_add_co_u32_e32 v7, vcc, s12, v7
	v_addc_co_u32_e32 v8, vcc, v1, v8, vcc
	global_load_dwordx2 v[7:8], v[7:8], off
.LBB93_7:                               ;   in Loop: Header=BB93_5 Depth=1
	s_or_b64 exec, exec, s[2:3]
	s_and_saveexec_b64 s[2:3], s[0:1]
	s_cbranch_execz .LBB93_9
; %bb.8:                                ;   in Loop: Header=BB93_5 Depth=1
	v_add_u32_e32 v5, v21, v22
	v_ashrrev_i32_e32 v6, 31, v5
	v_lshlrev_b64 v[5:6], 3, v[5:6]
	v_mov_b32_e32 v1, s15
	v_add_co_u32_e32 v5, vcc, s14, v5
	v_addc_co_u32_e32 v6, vcc, v1, v6, vcc
	global_load_dwordx2 v[5:6], v[5:6], off
.LBB93_9:                               ;   in Loop: Header=BB93_5 Depth=1
	s_or_b64 exec, exec, s[2:3]
	v_lshlrev_b64 v[11:12], 2, v[13:14]
	v_mov_b32_e32 v1, s17
	v_add_co_u32_e32 v11, vcc, s16, v11
	v_addc_co_u32_e32 v12, vcc, v1, v12, vcc
	v_add_u32_e32 v1, s23, v13
	global_load_dword v24, v[11:12], off
	v_lshlrev_b64 v[11:12], 3, v[1:2]
	v_add_u32_e32 v1, s24, v13
	s_waitcnt vmcnt(3)
	v_mov_b32_e32 v15, s9
	v_add_co_u32_e32 v11, vcc, s8, v11
	v_lshlrev_b64 v[13:14], 3, v[1:2]
	v_addc_co_u32_e32 v12, vcc, v15, v12, vcc
	v_add_co_u32_e32 v13, vcc, s8, v13
	v_addc_co_u32_e32 v14, vcc, v15, v14, vcc
	global_load_dwordx2 v[15:16], v[11:12], off
	global_load_dwordx2 v[17:18], v[13:14], off
	s_waitcnt vmcnt(3)
	v_mul_f64 v[19:20], v[9:10], v[7:8]
	v_cmp_ne_u32_e64 s[2:3], s20, v22
	s_waitcnt vmcnt(2)
	v_cmp_ne_u32_e32 vcc, 1, v24
	s_and_b64 s[2:3], s[2:3], vcc
	s_and_saveexec_b64 s[18:19], s[2:3]
	s_xor_b64 s[2:3], exec, s[18:19]
	s_cbranch_execz .LBB93_11
; %bb.10:                               ;   in Loop: Header=BB93_5 Depth=1
	v_fma_f64 v[19:20], v[3:4], v[5:6], -v[19:20]
	v_div_scale_f64 v[24:25], s[18:19], v[19:20], v[19:20], 1.0
	v_rcp_f64_e32 v[26:27], v[24:25]
	v_fma_f64 v[28:29], -v[24:25], v[26:27], 1.0
	v_fma_f64 v[26:27], v[26:27], v[28:29], v[26:27]
	v_fma_f64 v[28:29], -v[24:25], v[26:27], 1.0
	v_fma_f64 v[26:27], v[26:27], v[28:29], v[26:27]
	v_div_scale_f64 v[28:29], vcc, 1.0, v[19:20], 1.0
	v_mul_f64 v[30:31], v[28:29], v[26:27]
	v_fma_f64 v[24:25], -v[24:25], v[30:31], v[28:29]
	v_add_u32_e32 v28, v21, v22
	v_add_u32_e32 v1, s23, v28
	v_div_fmas_f64 v[24:25], v[24:25], v[26:27], v[30:31]
	v_lshlrev_b64 v[26:27], 3, v[1:2]
	v_add_u32_e32 v1, s24, v28
	v_mov_b32_e32 v30, s9
	v_add_co_u32_e32 v26, vcc, s8, v26
	v_lshlrev_b64 v[28:29], 3, v[1:2]
	v_addc_co_u32_e32 v27, vcc, v30, v27, vcc
	v_add_co_u32_e32 v28, vcc, s8, v28
	v_addc_co_u32_e32 v29, vcc, v30, v29, vcc
	global_load_dwordx2 v[30:31], v[28:29], off
	v_div_fixup_f64 v[19:20], v[24:25], v[19:20], 1.0
	global_load_dwordx2 v[24:25], v[26:27], off
	s_waitcnt vmcnt(3)
	v_mul_f64 v[15:16], v[19:20], v[15:16]
	s_waitcnt vmcnt(2)
	v_mul_f64 v[17:18], v[19:20], v[17:18]
	;; [unrolled: 2-line block ×4, first 2 shown]
	v_mul_f64 v[19:20], v[9:10], v[24:25]
	v_mul_f64 v[9:10], v[9:10], v[30:31]
	v_fma_f64 v[19:20], v[5:6], v[15:16], -v[19:20]
	v_fma_f64 v[5:6], v[5:6], v[17:18], -v[9:10]
	v_mul_f64 v[9:10], v[7:8], v[15:16]
	v_mul_f64 v[7:8], v[7:8], v[17:18]
                                        ; implicit-def: $vgpr15_vgpr16
                                        ; implicit-def: $vgpr17_vgpr18
	v_fma_f64 v[9:10], v[3:4], v[24:25], -v[9:10]
	v_fma_f64 v[3:4], v[3:4], v[30:31], -v[7:8]
	global_store_dwordx2 v[11:12], v[19:20], off
	global_store_dwordx2 v[13:14], v[5:6], off
	;; [unrolled: 1-line block ×4, first 2 shown]
                                        ; implicit-def: $vgpr19_vgpr20
                                        ; implicit-def: $vgpr5_vgpr6
                                        ; implicit-def: $vgpr3_vgpr4
                                        ; implicit-def: $vgpr11_vgpr12
                                        ; implicit-def: $vgpr13_vgpr14
                                        ; implicit-def: $vgpr7_vgpr8
.LBB93_11:                              ;   in Loop: Header=BB93_5 Depth=1
	s_or_saveexec_b64 s[2:3], s[2:3]
	v_mov_b32_e32 v9, 0
	v_mov_b32_e32 v10, 0
	v_mov_b32_e32 v1, s25
	s_xor_b64 exec, exec, s[2:3]
	s_cbranch_execz .LBB93_4
; %bb.12:                               ;   in Loop: Header=BB93_5 Depth=1
	v_div_scale_f64 v[9:10], s[18:19], v[3:4], v[3:4], 1.0
	v_rcp_f64_e32 v[24:25], v[9:10]
	v_fma_f64 v[26:27], -v[9:10], v[24:25], 1.0
	v_fma_f64 v[24:25], v[24:25], v[26:27], v[24:25]
	v_div_scale_f64 v[26:27], vcc, 1.0, v[3:4], 1.0
	v_fma_f64 v[28:29], -v[9:10], v[24:25], 1.0
	v_fma_f64 v[24:25], v[24:25], v[28:29], v[24:25]
	v_mul_f64 v[28:29], v[26:27], v[24:25]
	v_fma_f64 v[9:10], -v[9:10], v[28:29], v[26:27]
	v_div_fmas_f64 v[9:10], v[9:10], v[24:25], v[28:29]
	v_div_fixup_f64 v[3:4], v[9:10], v[3:4], 1.0
	s_waitcnt vmcnt(1)
	v_mul_f64 v[9:10], v[3:4], v[15:16]
	s_waitcnt vmcnt(0)
	v_mul_f64 v[15:16], v[3:4], v[17:18]
	global_store_dwordx2 v[11:12], v[9:10], off
	global_store_dwordx2 v[13:14], v[15:16], off
	s_and_saveexec_b64 s[18:19], s[0:1]
	s_cbranch_execz .LBB93_3
; %bb.13:                               ;   in Loop: Header=BB93_5 Depth=1
	v_add_u32_e32 v13, v21, v22
	v_add_u32_e32 v1, s23, v13
	v_lshlrev_b64 v[11:12], 3, v[1:2]
	v_add_u32_e32 v1, s24, v13
	v_mov_b32_e32 v17, s9
	v_add_co_u32_e32 v11, vcc, s8, v11
	v_lshlrev_b64 v[13:14], 3, v[1:2]
	v_addc_co_u32_e32 v12, vcc, v17, v12, vcc
	v_add_co_u32_e32 v13, vcc, s8, v13
	v_addc_co_u32_e32 v14, vcc, v17, v14, vcc
	global_load_dwordx2 v[17:18], v[11:12], off
	global_load_dwordx2 v[24:25], v[13:14], off
	s_waitcnt vmcnt(1)
	v_fma_f64 v[9:10], -v[7:8], v[9:10], v[17:18]
	s_waitcnt vmcnt(0)
	v_fma_f64 v[7:8], -v[7:8], v[15:16], v[24:25]
	global_store_dwordx2 v[11:12], v[9:10], off
	global_store_dwordx2 v[13:14], v[7:8], off
	s_branch .LBB93_3
.LBB93_14:
	s_or_b64 exec, exec, s[4:5]
	s_branch .LBB93_16
.LBB93_15:
	v_mov_b32_e32 v22, 0
.LBB93_16:
	v_subrev_u32_e32 v3, s20, v22
	v_add_u32_e32 v1, v3, v0
	v_ashrrev_i32_e32 v2, 31, v1
	v_lshlrev_b64 v[1:2], 2, v[1:2]
	s_waitcnt lgkmcnt(0)
	v_mov_b32_e32 v4, s17
	v_add_co_u32_e32 v1, vcc, s16, v1
	v_addc_co_u32_e32 v2, vcc, v4, v2, vcc
	s_waitcnt vmcnt(0)
	buffer_wbinvl1_vol
	global_load_dword v1, v[1:2], off
	s_waitcnt vmcnt(0)
	v_mul_lo_u32 v1, v1, s20
	v_sub_u32_e32 v7, v3, v1
	v_cmp_lt_i32_e32 vcc, -1, v7
	s_and_b64 exec, exec, vcc
	s_cbranch_execz .LBB93_23
; %bb.17:
	s_lshl_b32 s4, s22, 1
	s_add_i32 s5, s4, s21
	s_and_b32 s6, s21, -2
	s_mov_b64 s[0:1], 0
	v_mov_b32_e32 v8, s17
	v_mov_b32_e32 v9, s11
	;; [unrolled: 1-line block ×3, first 2 shown]
	s_branch .LBB93_19
.LBB93_18:                              ;   in Loop: Header=BB93_19 Depth=1
	s_or_b64 exec, exec, s[2:3]
	v_sub_u32_e32 v7, v7, v1
	v_cmp_gt_i32_e32 vcc, 0, v7
	s_or_b64 s[0:1], vcc, s[0:1]
	s_andn2_b64 exec, exec, s[0:1]
	s_cbranch_execz .LBB93_23
.LBB93_19:                              ; =>This Inner Loop Header: Depth=1
	v_add_u32_e32 v5, v7, v0
	v_ashrrev_i32_e32 v6, 31, v5
	s_waitcnt vmcnt(0)
	v_lshlrev_b64 v[3:4], 2, v[5:6]
	v_add_co_u32_e32 v3, vcc, s16, v3
	v_addc_co_u32_e32 v4, vcc, v8, v4, vcc
	global_load_dword v1, v[3:4], off
	v_lshlrev_b64 v[3:4], 3, v[5:6]
	v_add_co_u32_e32 v3, vcc, s10, v3
	v_addc_co_u32_e32 v4, vcc, v9, v4, vcc
	global_load_dwordx2 v[3:4], v[3:4], off
	s_waitcnt vmcnt(1)
	v_cmp_ne_u32_e32 vcc, 1, v1
	s_and_saveexec_b64 s[2:3], vcc
	s_xor_b64 s[2:3], exec, s[2:3]
	s_cbranch_execz .LBB93_21
; %bb.20:                               ;   in Loop: Header=BB93_19 Depth=1
	v_add_u32_e32 v6, v21, v7
	v_add_u32_e32 v1, s4, v6
	v_lshlrev_b64 v[10:11], 3, v[1:2]
	v_mov_b32_e32 v1, s9
	v_add_co_u32_e32 v10, vcc, s8, v10
	v_addc_co_u32_e32 v11, vcc, v1, v11, vcc
	v_add_u32_e32 v1, s5, v6
	v_lshlrev_b64 v[12:13], 3, v[1:2]
	v_add_u32_e32 v1, s4, v5
	v_lshlrev_b64 v[14:15], 3, v[1:2]
	v_mov_b32_e32 v1, s9
	v_add_co_u32_e32 v14, vcc, s8, v14
	v_addc_co_u32_e32 v15, vcc, v1, v15, vcc
	global_load_dwordx2 v[16:17], v[10:11], off
	global_load_dwordx2 v[18:19], v[14:15], off
	v_add_co_u32_e32 v10, vcc, s8, v12
	v_addc_co_u32_e32 v11, vcc, v1, v13, vcc
	v_add_u32_e32 v1, s5, v5
	v_lshlrev_b64 v[5:6], 3, v[1:2]
	global_load_dwordx2 v[10:11], v[10:11], off
	v_add_co_u32_e32 v5, vcc, s8, v5
	v_subrev_u32_e32 v1, s20, v7
	v_mov_b32_e32 v20, s9
	s_waitcnt vmcnt(1)
	v_fma_f64 v[12:13], -v[3:4], v[16:17], v[18:19]
	v_mov_b32_e32 v18, s9
	v_addc_co_u32_e32 v6, vcc, v18, v6, vcc
	global_store_dwordx2 v[14:15], v[12:13], off
	global_load_dwordx2 v[12:13], v[5:6], off
	v_add_u32_e32 v14, v1, v0
	v_ashrrev_i32_e32 v15, 31, v14
	v_lshlrev_b64 v[18:19], 3, v[14:15]
	v_add_u32_e32 v1, s4, v14
	v_add_co_u32_e32 v18, vcc, s10, v18
	v_addc_co_u32_e32 v19, vcc, v9, v19, vcc
	v_mov_b32_e32 v15, s9
	s_waitcnt vmcnt(0)
	v_fma_f64 v[3:4], -v[3:4], v[10:11], v[12:13]
	global_load_dwordx2 v[12:13], v[18:19], off
	v_lshlrev_b64 v[18:19], 3, v[1:2]
	v_add_u32_e32 v1, s5, v14
	v_add_co_u32_e32 v18, vcc, s8, v18
	v_addc_co_u32_e32 v19, vcc, v20, v19, vcc
	global_store_dwordx2 v[5:6], v[3:4], off
	global_load_dwordx2 v[3:4], v[18:19], off
	v_lshlrev_b64 v[5:6], 3, v[1:2]
	s_waitcnt vmcnt(0)
	v_fma_f64 v[3:4], -v[12:13], v[16:17], v[3:4]
	global_store_dwordx2 v[18:19], v[3:4], off
	v_add_co_u32_e32 v3, vcc, s8, v5
	v_addc_co_u32_e32 v4, vcc, v15, v6, vcc
	global_load_dwordx2 v[5:6], v[3:4], off
	s_waitcnt vmcnt(0)
	v_fma_f64 v[5:6], -v[12:13], v[10:11], v[5:6]
	global_store_dwordx2 v[3:4], v[5:6], off
                                        ; implicit-def: $vgpr5
                                        ; implicit-def: $vgpr3_vgpr4
.LBB93_21:                              ;   in Loop: Header=BB93_19 Depth=1
	s_or_saveexec_b64 s[2:3], s[2:3]
	v_mov_b32_e32 v1, s6
	s_xor_b64 exec, exec, s[2:3]
	s_cbranch_execz .LBB93_18
; %bb.22:                               ;   in Loop: Header=BB93_19 Depth=1
	v_add_u32_e32 v6, v21, v7
	v_add_u32_e32 v1, s4, v6
	v_lshlrev_b64 v[10:11], 3, v[1:2]
	v_mov_b32_e32 v1, s9
	v_add_co_u32_e32 v10, vcc, s8, v10
	v_addc_co_u32_e32 v11, vcc, v1, v11, vcc
	v_add_u32_e32 v1, s4, v5
	v_lshlrev_b64 v[12:13], 3, v[1:2]
	v_mov_b32_e32 v1, s9
	v_add_co_u32_e32 v12, vcc, s8, v12
	v_addc_co_u32_e32 v13, vcc, v1, v13, vcc
	global_load_dwordx2 v[14:15], v[10:11], off
	global_load_dwordx2 v[16:17], v[12:13], off
	v_add_u32_e32 v1, s5, v6
	v_lshlrev_b64 v[10:11], 3, v[1:2]
	v_add_u32_e32 v1, s5, v5
	v_mov_b32_e32 v18, s9
	v_lshlrev_b64 v[5:6], 3, v[1:2]
	v_add_co_u32_e32 v10, vcc, s8, v10
	v_addc_co_u32_e32 v11, vcc, v18, v11, vcc
	v_mov_b32_e32 v19, s9
	v_add_co_u32_e32 v5, vcc, s8, v5
	v_addc_co_u32_e32 v6, vcc, v19, v6, vcc
	v_mov_b32_e32 v1, s20
	s_waitcnt vmcnt(0)
	v_fma_f64 v[14:15], -v[3:4], v[14:15], v[16:17]
	global_store_dwordx2 v[12:13], v[14:15], off
	global_load_dwordx2 v[12:13], v[10:11], off
	s_nop 0
	global_load_dwordx2 v[14:15], v[5:6], off
	s_waitcnt vmcnt(0)
	v_fma_f64 v[3:4], -v[3:4], v[12:13], v[14:15]
	global_store_dwordx2 v[5:6], v[3:4], off
	s_branch .LBB93_18
.LBB93_23:
	s_endpgm
	.section	.rodata,"a",@progbits
	.p2align	6, 0x0
	.amdhsa_kernel _ZN9rocsparseL19gtsv_LBM_rhs_kernelILj256ELj2ELj2EdEEviiiPKT2_S3_S3_PS1_S3_PKi
		.amdhsa_group_segment_fixed_size 0
		.amdhsa_private_segment_fixed_size 0
		.amdhsa_kernarg_size 64
		.amdhsa_user_sgpr_count 6
		.amdhsa_user_sgpr_private_segment_buffer 1
		.amdhsa_user_sgpr_dispatch_ptr 0
		.amdhsa_user_sgpr_queue_ptr 0
		.amdhsa_user_sgpr_kernarg_segment_ptr 1
		.amdhsa_user_sgpr_dispatch_id 0
		.amdhsa_user_sgpr_flat_scratch_init 0
		.amdhsa_user_sgpr_private_segment_size 0
		.amdhsa_uses_dynamic_stack 0
		.amdhsa_system_sgpr_private_segment_wavefront_offset 0
		.amdhsa_system_sgpr_workgroup_id_x 1
		.amdhsa_system_sgpr_workgroup_id_y 1
		.amdhsa_system_sgpr_workgroup_id_z 0
		.amdhsa_system_sgpr_workgroup_info 0
		.amdhsa_system_vgpr_workitem_id 0
		.amdhsa_next_free_vgpr 32
		.amdhsa_next_free_sgpr 26
		.amdhsa_reserve_vcc 1
		.amdhsa_reserve_flat_scratch 0
		.amdhsa_float_round_mode_32 0
		.amdhsa_float_round_mode_16_64 0
		.amdhsa_float_denorm_mode_32 3
		.amdhsa_float_denorm_mode_16_64 3
		.amdhsa_dx10_clamp 1
		.amdhsa_ieee_mode 1
		.amdhsa_fp16_overflow 0
		.amdhsa_exception_fp_ieee_invalid_op 0
		.amdhsa_exception_fp_denorm_src 0
		.amdhsa_exception_fp_ieee_div_zero 0
		.amdhsa_exception_fp_ieee_overflow 0
		.amdhsa_exception_fp_ieee_underflow 0
		.amdhsa_exception_fp_ieee_inexact 0
		.amdhsa_exception_int_div_zero 0
	.end_amdhsa_kernel
	.section	.text._ZN9rocsparseL19gtsv_LBM_rhs_kernelILj256ELj2ELj2EdEEviiiPKT2_S3_S3_PS1_S3_PKi,"axG",@progbits,_ZN9rocsparseL19gtsv_LBM_rhs_kernelILj256ELj2ELj2EdEEviiiPKT2_S3_S3_PS1_S3_PKi,comdat
.Lfunc_end93:
	.size	_ZN9rocsparseL19gtsv_LBM_rhs_kernelILj256ELj2ELj2EdEEviiiPKT2_S3_S3_PS1_S3_PKi, .Lfunc_end93-_ZN9rocsparseL19gtsv_LBM_rhs_kernelILj256ELj2ELj2EdEEviiiPKT2_S3_S3_PS1_S3_PKi
                                        ; -- End function
	.set _ZN9rocsparseL19gtsv_LBM_rhs_kernelILj256ELj2ELj2EdEEviiiPKT2_S3_S3_PS1_S3_PKi.num_vgpr, 32
	.set _ZN9rocsparseL19gtsv_LBM_rhs_kernelILj256ELj2ELj2EdEEviiiPKT2_S3_S3_PS1_S3_PKi.num_agpr, 0
	.set _ZN9rocsparseL19gtsv_LBM_rhs_kernelILj256ELj2ELj2EdEEviiiPKT2_S3_S3_PS1_S3_PKi.numbered_sgpr, 26
	.set _ZN9rocsparseL19gtsv_LBM_rhs_kernelILj256ELj2ELj2EdEEviiiPKT2_S3_S3_PS1_S3_PKi.num_named_barrier, 0
	.set _ZN9rocsparseL19gtsv_LBM_rhs_kernelILj256ELj2ELj2EdEEviiiPKT2_S3_S3_PS1_S3_PKi.private_seg_size, 0
	.set _ZN9rocsparseL19gtsv_LBM_rhs_kernelILj256ELj2ELj2EdEEviiiPKT2_S3_S3_PS1_S3_PKi.uses_vcc, 1
	.set _ZN9rocsparseL19gtsv_LBM_rhs_kernelILj256ELj2ELj2EdEEviiiPKT2_S3_S3_PS1_S3_PKi.uses_flat_scratch, 0
	.set _ZN9rocsparseL19gtsv_LBM_rhs_kernelILj256ELj2ELj2EdEEviiiPKT2_S3_S3_PS1_S3_PKi.has_dyn_sized_stack, 0
	.set _ZN9rocsparseL19gtsv_LBM_rhs_kernelILj256ELj2ELj2EdEEviiiPKT2_S3_S3_PS1_S3_PKi.has_recursion, 0
	.set _ZN9rocsparseL19gtsv_LBM_rhs_kernelILj256ELj2ELj2EdEEviiiPKT2_S3_S3_PS1_S3_PKi.has_indirect_call, 0
	.section	.AMDGPU.csdata,"",@progbits
; Kernel info:
; codeLenInByte = 1800
; TotalNumSgprs: 30
; NumVgprs: 32
; ScratchSize: 0
; MemoryBound: 0
; FloatMode: 240
; IeeeMode: 1
; LDSByteSize: 0 bytes/workgroup (compile time only)
; SGPRBlocks: 3
; VGPRBlocks: 7
; NumSGPRsForWavesPerEU: 30
; NumVGPRsForWavesPerEU: 32
; Occupancy: 8
; WaveLimiterHint : 0
; COMPUTE_PGM_RSRC2:SCRATCH_EN: 0
; COMPUTE_PGM_RSRC2:USER_SGPR: 6
; COMPUTE_PGM_RSRC2:TRAP_HANDLER: 0
; COMPUTE_PGM_RSRC2:TGID_X_EN: 1
; COMPUTE_PGM_RSRC2:TGID_Y_EN: 1
; COMPUTE_PGM_RSRC2:TGID_Z_EN: 0
; COMPUTE_PGM_RSRC2:TIDIG_COMP_CNT: 0
	.section	.text._ZN9rocsparseL19gtsv_LBM_rhs_kernelILj256ELj2ELj1EdEEviiiPKT2_S3_S3_PS1_S3_PKi,"axG",@progbits,_ZN9rocsparseL19gtsv_LBM_rhs_kernelILj256ELj2ELj1EdEEviiiPKT2_S3_S3_PS1_S3_PKi,comdat
	.globl	_ZN9rocsparseL19gtsv_LBM_rhs_kernelILj256ELj2ELj1EdEEviiiPKT2_S3_S3_PS1_S3_PKi ; -- Begin function _ZN9rocsparseL19gtsv_LBM_rhs_kernelILj256ELj2ELj1EdEEviiiPKT2_S3_S3_PS1_S3_PKi
	.p2align	8
	.type	_ZN9rocsparseL19gtsv_LBM_rhs_kernelILj256ELj2ELj1EdEEviiiPKT2_S3_S3_PS1_S3_PKi,@function
_ZN9rocsparseL19gtsv_LBM_rhs_kernelILj256ELj2ELj1EdEEviiiPKT2_S3_S3_PS1_S3_PKi: ; @_ZN9rocsparseL19gtsv_LBM_rhs_kernelILj256ELj2ELj1EdEEviiiPKT2_S3_S3_PS1_S3_PKi
; %bb.0:
	s_load_dword s22, s[4:5], 0x0
	v_lshl_or_b32 v0, s6, 8, v0
	s_waitcnt lgkmcnt(0)
	s_lshr_b32 s20, s22, 1
	v_cmp_gt_i32_e32 vcc, s20, v0
	s_and_saveexec_b64 s[0:1], vcc
	s_cbranch_execz .LBB94_23
; %bb.1:
	s_load_dwordx4 s[8:11], s[4:5], 0x28
	s_load_dwordx2 s[16:17], s[4:5], 0x38
	s_cmp_lt_i32 s22, 1
	s_mul_i32 s21, s22, s7
	s_cbranch_scc1 .LBB94_15
; %bb.2:
	s_load_dwordx4 s[12:15], s[4:5], 0x10
	s_load_dwordx2 s[6:7], s[4:5], 0x20
	v_ashrrev_i32_e32 v1, 31, v0
	v_lshlrev_b64 v[1:2], 3, v[0:1]
	v_add_u32_e32 v18, s20, v0
	s_waitcnt lgkmcnt(0)
	v_mov_b32_e32 v3, s15
	v_add_co_u32_e32 v1, vcc, s14, v1
	v_addc_co_u32_e32 v2, vcc, v3, v2, vcc
	global_load_dwordx2 v[3:4], v[1:2], off
	v_add_u32_e32 v19, s21, v18
	s_and_b32 s23, s22, 0x7ffffffe
	v_mov_b32_e32 v2, 0
	s_mov_b64 s[4:5], 0
	v_mov_b32_e32 v20, s7
	v_mov_b32_e32 v17, 0
	s_branch .LBB94_5
.LBB94_3:                               ;   in Loop: Header=BB94_5 Depth=1
	s_or_b64 exec, exec, s[18:19]
	v_fma_f64 v[9:10], -v[3:4], v[15:16], v[5:6]
	v_mov_b32_e32 v1, s20
.LBB94_4:                               ;   in Loop: Header=BB94_5 Depth=1
	s_or_b64 exec, exec, s[2:3]
	v_add_u32_e32 v17, v1, v17
	v_cmp_le_i32_e32 vcc, s22, v17
	v_mov_b32_e32 v3, v9
	s_or_b64 s[4:5], vcc, s[4:5]
	v_mov_b32_e32 v4, v10
	s_andn2_b64 exec, exec, s[4:5]
	s_cbranch_execz .LBB94_14
.LBB94_5:                               ; =>This Inner Loop Header: Depth=1
	v_add_u32_e32 v11, v17, v0
	v_ashrrev_i32_e32 v12, 31, v11
	v_lshlrev_b64 v[5:6], 3, v[11:12]
	v_mov_b32_e32 v7, 0
	v_add_co_u32_e32 v5, vcc, s6, v5
	v_addc_co_u32_e32 v6, vcc, v20, v6, vcc
	global_load_dwordx2 v[9:10], v[5:6], off
	v_mov_b32_e32 v5, 0
	v_cmp_gt_u32_e64 s[0:1], s20, v17
	v_mov_b32_e32 v6, 0
	v_mov_b32_e32 v8, 0
	s_waitcnt vmcnt(1)
	v_add_u32_e32 v13, v18, v17
	s_and_saveexec_b64 s[2:3], s[0:1]
	s_cbranch_execz .LBB94_7
; %bb.6:                                ;   in Loop: Header=BB94_5 Depth=1
	v_ashrrev_i32_e32 v14, 31, v13
	v_lshlrev_b64 v[7:8], 3, v[13:14]
	v_mov_b32_e32 v1, s13
	v_add_co_u32_e32 v7, vcc, s12, v7
	v_addc_co_u32_e32 v8, vcc, v1, v8, vcc
	global_load_dwordx2 v[7:8], v[7:8], off
.LBB94_7:                               ;   in Loop: Header=BB94_5 Depth=1
	s_or_b64 exec, exec, s[2:3]
	s_and_saveexec_b64 s[2:3], s[0:1]
	s_cbranch_execz .LBB94_9
; %bb.8:                                ;   in Loop: Header=BB94_5 Depth=1
	v_ashrrev_i32_e32 v14, 31, v13
	v_lshlrev_b64 v[5:6], 3, v[13:14]
	v_mov_b32_e32 v1, s15
	v_add_co_u32_e32 v5, vcc, s14, v5
	v_addc_co_u32_e32 v6, vcc, v1, v6, vcc
	global_load_dwordx2 v[5:6], v[5:6], off
.LBB94_9:                               ;   in Loop: Header=BB94_5 Depth=1
	s_or_b64 exec, exec, s[2:3]
	v_lshlrev_b64 v[12:13], 2, v[11:12]
	v_mov_b32_e32 v1, s17
	v_add_co_u32_e32 v12, vcc, s16, v12
	v_addc_co_u32_e32 v13, vcc, v1, v13, vcc
	v_add_u32_e32 v1, s21, v11
	global_load_dword v21, v[12:13], off
	v_lshlrev_b64 v[11:12], 3, v[1:2]
	v_mov_b32_e32 v1, s9
	v_add_co_u32_e32 v11, vcc, s8, v11
	v_addc_co_u32_e32 v12, vcc, v1, v12, vcc
	global_load_dwordx2 v[13:14], v[11:12], off
	s_waitcnt vmcnt(2)
	v_mul_f64 v[15:16], v[9:10], v[7:8]
	v_cmp_ne_u32_e64 s[2:3], s20, v17
	s_waitcnt vmcnt(1)
	v_cmp_ne_u32_e32 vcc, 1, v21
	s_and_b64 s[2:3], s[2:3], vcc
	s_and_saveexec_b64 s[18:19], s[2:3]
	s_xor_b64 s[2:3], exec, s[18:19]
	s_cbranch_execz .LBB94_11
; %bb.10:                               ;   in Loop: Header=BB94_5 Depth=1
	v_fma_f64 v[15:16], v[3:4], v[5:6], -v[15:16]
	v_add_u32_e32 v1, v19, v17
	v_mov_b32_e32 v27, s9
	v_div_scale_f64 v[21:22], s[18:19], v[15:16], v[15:16], 1.0
	v_rcp_f64_e32 v[23:24], v[21:22]
	v_fma_f64 v[25:26], -v[21:22], v[23:24], 1.0
	v_fma_f64 v[23:24], v[23:24], v[25:26], v[23:24]
	v_lshlrev_b64 v[25:26], 3, v[1:2]
	v_add_co_u32_e32 v25, vcc, s8, v25
	v_addc_co_u32_e32 v26, vcc, v27, v26, vcc
	v_div_scale_f64 v[27:28], vcc, 1.0, v[15:16], 1.0
	v_fma_f64 v[29:30], -v[21:22], v[23:24], 1.0
	v_fma_f64 v[23:24], v[23:24], v[29:30], v[23:24]
	v_mul_f64 v[29:30], v[27:28], v[23:24]
	v_fma_f64 v[21:22], -v[21:22], v[29:30], v[27:28]
	global_load_dwordx2 v[27:28], v[25:26], off
	v_div_fmas_f64 v[21:22], v[21:22], v[23:24], v[29:30]
	v_div_fixup_f64 v[15:16], v[21:22], v[15:16], 1.0
	s_waitcnt vmcnt(1)
	v_mul_f64 v[13:14], v[15:16], v[13:14]
	v_mul_f64 v[7:8], v[7:8], v[13:14]
	s_waitcnt vmcnt(0)
	v_mul_f64 v[21:22], v[15:16], v[27:28]
                                        ; implicit-def: $vgpr15_vgpr16
	v_mul_f64 v[9:10], v[9:10], v[21:22]
	v_fma_f64 v[3:4], v[3:4], v[21:22], -v[7:8]
                                        ; implicit-def: $vgpr7_vgpr8
	v_fma_f64 v[5:6], v[5:6], v[13:14], -v[9:10]
                                        ; implicit-def: $vgpr13_vgpr14
	global_store_dwordx2 v[11:12], v[5:6], off
	global_store_dwordx2 v[25:26], v[3:4], off
                                        ; implicit-def: $vgpr5_vgpr6
                                        ; implicit-def: $vgpr3_vgpr4
                                        ; implicit-def: $vgpr11_vgpr12
.LBB94_11:                              ;   in Loop: Header=BB94_5 Depth=1
	s_or_saveexec_b64 s[2:3], s[2:3]
	v_mov_b32_e32 v9, 0
	v_mov_b32_e32 v10, 0
	;; [unrolled: 1-line block ×3, first 2 shown]
	s_xor_b64 exec, exec, s[2:3]
	s_cbranch_execz .LBB94_4
; %bb.12:                               ;   in Loop: Header=BB94_5 Depth=1
	v_div_scale_f64 v[9:10], s[18:19], v[3:4], v[3:4], 1.0
	v_div_scale_f64 v[25:26], vcc, 1.0, v[3:4], 1.0
	v_rcp_f64_e32 v[21:22], v[9:10]
	v_fma_f64 v[23:24], -v[9:10], v[21:22], 1.0
	v_fma_f64 v[21:22], v[21:22], v[23:24], v[21:22]
	v_fma_f64 v[23:24], -v[9:10], v[21:22], 1.0
	v_fma_f64 v[21:22], v[21:22], v[23:24], v[21:22]
	v_mul_f64 v[23:24], v[25:26], v[21:22]
	v_fma_f64 v[9:10], -v[9:10], v[23:24], v[25:26]
	v_div_fmas_f64 v[9:10], v[9:10], v[21:22], v[23:24]
	v_div_fixup_f64 v[3:4], v[9:10], v[3:4], 1.0
	s_waitcnt vmcnt(0)
	v_mul_f64 v[9:10], v[3:4], v[13:14]
	global_store_dwordx2 v[11:12], v[9:10], off
	s_and_saveexec_b64 s[18:19], s[0:1]
	s_cbranch_execz .LBB94_3
; %bb.13:                               ;   in Loop: Header=BB94_5 Depth=1
	v_add_u32_e32 v1, v19, v17
	v_lshlrev_b64 v[11:12], 3, v[1:2]
	v_mov_b32_e32 v1, s9
	v_add_co_u32_e32 v11, vcc, s8, v11
	v_addc_co_u32_e32 v12, vcc, v1, v12, vcc
	global_load_dwordx2 v[13:14], v[11:12], off
	s_waitcnt vmcnt(0)
	v_fma_f64 v[7:8], -v[7:8], v[9:10], v[13:14]
	global_store_dwordx2 v[11:12], v[7:8], off
	s_branch .LBB94_3
.LBB94_14:
	s_or_b64 exec, exec, s[4:5]
	s_branch .LBB94_16
.LBB94_15:
	v_mov_b32_e32 v17, 0
.LBB94_16:
	v_subrev_u32_e32 v3, s20, v17
	v_add_u32_e32 v1, v3, v0
	v_ashrrev_i32_e32 v2, 31, v1
	v_lshlrev_b64 v[1:2], 2, v[1:2]
	s_waitcnt lgkmcnt(0)
	v_mov_b32_e32 v4, s17
	v_add_co_u32_e32 v1, vcc, s16, v1
	v_addc_co_u32_e32 v2, vcc, v4, v2, vcc
	s_waitcnt vmcnt(0)
	buffer_wbinvl1_vol
	global_load_dword v1, v[1:2], off
	s_waitcnt vmcnt(0)
	v_mul_lo_u32 v1, v1, s20
	v_sub_u32_e32 v7, v3, v1
	v_cmp_lt_i32_e32 vcc, -1, v7
	s_and_b64 exec, exec, vcc
	s_cbranch_execz .LBB94_23
; %bb.17:
	s_add_i32 s0, s21, s20
	v_add_u32_e32 v8, s0, v0
	s_and_b32 s4, s22, -2
	s_mov_b64 s[0:1], 0
	v_mov_b32_e32 v9, s17
	v_mov_b32_e32 v10, s11
	v_mov_b32_e32 v2, 0
	s_branch .LBB94_19
.LBB94_18:                              ;   in Loop: Header=BB94_19 Depth=1
	s_or_b64 exec, exec, s[2:3]
	v_sub_u32_e32 v7, v7, v1
	v_cmp_gt_i32_e32 vcc, 0, v7
	s_or_b64 s[0:1], vcc, s[0:1]
	s_andn2_b64 exec, exec, s[0:1]
	s_cbranch_execz .LBB94_23
.LBB94_19:                              ; =>This Inner Loop Header: Depth=1
	v_add_u32_e32 v5, v7, v0
	v_ashrrev_i32_e32 v6, 31, v5
	s_waitcnt vmcnt(0)
	v_lshlrev_b64 v[3:4], 2, v[5:6]
	v_add_co_u32_e32 v3, vcc, s16, v3
	v_addc_co_u32_e32 v4, vcc, v9, v4, vcc
	global_load_dword v1, v[3:4], off
	v_lshlrev_b64 v[3:4], 3, v[5:6]
	v_add_co_u32_e32 v3, vcc, s10, v3
	v_addc_co_u32_e32 v4, vcc, v10, v4, vcc
	global_load_dwordx2 v[3:4], v[3:4], off
	s_waitcnt vmcnt(1)
	v_cmp_ne_u32_e32 vcc, 1, v1
	s_and_saveexec_b64 s[2:3], vcc
	s_xor_b64 s[2:3], exec, s[2:3]
	s_cbranch_execz .LBB94_21
; %bb.20:                               ;   in Loop: Header=BB94_19 Depth=1
	v_add_u32_e32 v1, v8, v7
	v_lshlrev_b64 v[11:12], 3, v[1:2]
	v_mov_b32_e32 v1, s9
	v_add_co_u32_e32 v11, vcc, s8, v11
	v_addc_co_u32_e32 v12, vcc, v1, v12, vcc
	v_add_u32_e32 v1, s21, v5
	v_lshlrev_b64 v[5:6], 3, v[1:2]
	v_mov_b32_e32 v1, s9
	v_add_co_u32_e32 v5, vcc, s8, v5
	v_addc_co_u32_e32 v6, vcc, v1, v6, vcc
	global_load_dwordx2 v[13:14], v[11:12], off
	global_load_dwordx2 v[15:16], v[5:6], off
	v_subrev_u32_e32 v1, s20, v7
	v_add_u32_e32 v11, v1, v0
	v_ashrrev_i32_e32 v12, 31, v11
	v_add_u32_e32 v1, s21, v11
	v_lshlrev_b64 v[11:12], 3, v[11:12]
	v_mov_b32_e32 v17, s9
	v_add_co_u32_e32 v11, vcc, s10, v11
	v_addc_co_u32_e32 v12, vcc, v10, v12, vcc
	global_load_dwordx2 v[11:12], v[11:12], off
	s_waitcnt vmcnt(1)
	v_fma_f64 v[3:4], -v[3:4], v[13:14], v[15:16]
	v_lshlrev_b64 v[15:16], 3, v[1:2]
	global_store_dwordx2 v[5:6], v[3:4], off
	v_add_co_u32_e32 v3, vcc, s8, v15
	v_addc_co_u32_e32 v4, vcc, v17, v16, vcc
	global_load_dwordx2 v[5:6], v[3:4], off
	s_waitcnt vmcnt(0)
	v_fma_f64 v[5:6], -v[11:12], v[13:14], v[5:6]
	global_store_dwordx2 v[3:4], v[5:6], off
                                        ; implicit-def: $vgpr5
                                        ; implicit-def: $vgpr3_vgpr4
.LBB94_21:                              ;   in Loop: Header=BB94_19 Depth=1
	s_or_saveexec_b64 s[2:3], s[2:3]
	v_mov_b32_e32 v1, s4
	s_xor_b64 exec, exec, s[2:3]
	s_cbranch_execz .LBB94_18
; %bb.22:                               ;   in Loop: Header=BB94_19 Depth=1
	v_add_u32_e32 v1, v8, v7
	v_lshlrev_b64 v[11:12], 3, v[1:2]
	v_mov_b32_e32 v1, s9
	v_add_co_u32_e32 v11, vcc, s8, v11
	v_addc_co_u32_e32 v12, vcc, v1, v12, vcc
	v_add_u32_e32 v1, s21, v5
	v_lshlrev_b64 v[5:6], 3, v[1:2]
	v_mov_b32_e32 v1, s9
	v_add_co_u32_e32 v5, vcc, s8, v5
	v_addc_co_u32_e32 v6, vcc, v1, v6, vcc
	global_load_dwordx2 v[13:14], v[11:12], off
	global_load_dwordx2 v[15:16], v[5:6], off
	v_mov_b32_e32 v1, s20
	s_waitcnt vmcnt(0)
	v_fma_f64 v[3:4], -v[3:4], v[13:14], v[15:16]
	global_store_dwordx2 v[5:6], v[3:4], off
	s_branch .LBB94_18
.LBB94_23:
	s_endpgm
	.section	.rodata,"a",@progbits
	.p2align	6, 0x0
	.amdhsa_kernel _ZN9rocsparseL19gtsv_LBM_rhs_kernelILj256ELj2ELj1EdEEviiiPKT2_S3_S3_PS1_S3_PKi
		.amdhsa_group_segment_fixed_size 0
		.amdhsa_private_segment_fixed_size 0
		.amdhsa_kernarg_size 64
		.amdhsa_user_sgpr_count 6
		.amdhsa_user_sgpr_private_segment_buffer 1
		.amdhsa_user_sgpr_dispatch_ptr 0
		.amdhsa_user_sgpr_queue_ptr 0
		.amdhsa_user_sgpr_kernarg_segment_ptr 1
		.amdhsa_user_sgpr_dispatch_id 0
		.amdhsa_user_sgpr_flat_scratch_init 0
		.amdhsa_user_sgpr_private_segment_size 0
		.amdhsa_uses_dynamic_stack 0
		.amdhsa_system_sgpr_private_segment_wavefront_offset 0
		.amdhsa_system_sgpr_workgroup_id_x 1
		.amdhsa_system_sgpr_workgroup_id_y 1
		.amdhsa_system_sgpr_workgroup_id_z 0
		.amdhsa_system_sgpr_workgroup_info 0
		.amdhsa_system_vgpr_workitem_id 0
		.amdhsa_next_free_vgpr 31
		.amdhsa_next_free_sgpr 24
		.amdhsa_reserve_vcc 1
		.amdhsa_reserve_flat_scratch 0
		.amdhsa_float_round_mode_32 0
		.amdhsa_float_round_mode_16_64 0
		.amdhsa_float_denorm_mode_32 3
		.amdhsa_float_denorm_mode_16_64 3
		.amdhsa_dx10_clamp 1
		.amdhsa_ieee_mode 1
		.amdhsa_fp16_overflow 0
		.amdhsa_exception_fp_ieee_invalid_op 0
		.amdhsa_exception_fp_denorm_src 0
		.amdhsa_exception_fp_ieee_div_zero 0
		.amdhsa_exception_fp_ieee_overflow 0
		.amdhsa_exception_fp_ieee_underflow 0
		.amdhsa_exception_fp_ieee_inexact 0
		.amdhsa_exception_int_div_zero 0
	.end_amdhsa_kernel
	.section	.text._ZN9rocsparseL19gtsv_LBM_rhs_kernelILj256ELj2ELj1EdEEviiiPKT2_S3_S3_PS1_S3_PKi,"axG",@progbits,_ZN9rocsparseL19gtsv_LBM_rhs_kernelILj256ELj2ELj1EdEEviiiPKT2_S3_S3_PS1_S3_PKi,comdat
.Lfunc_end94:
	.size	_ZN9rocsparseL19gtsv_LBM_rhs_kernelILj256ELj2ELj1EdEEviiiPKT2_S3_S3_PS1_S3_PKi, .Lfunc_end94-_ZN9rocsparseL19gtsv_LBM_rhs_kernelILj256ELj2ELj1EdEEviiiPKT2_S3_S3_PS1_S3_PKi
                                        ; -- End function
	.set _ZN9rocsparseL19gtsv_LBM_rhs_kernelILj256ELj2ELj1EdEEviiiPKT2_S3_S3_PS1_S3_PKi.num_vgpr, 31
	.set _ZN9rocsparseL19gtsv_LBM_rhs_kernelILj256ELj2ELj1EdEEviiiPKT2_S3_S3_PS1_S3_PKi.num_agpr, 0
	.set _ZN9rocsparseL19gtsv_LBM_rhs_kernelILj256ELj2ELj1EdEEviiiPKT2_S3_S3_PS1_S3_PKi.numbered_sgpr, 24
	.set _ZN9rocsparseL19gtsv_LBM_rhs_kernelILj256ELj2ELj1EdEEviiiPKT2_S3_S3_PS1_S3_PKi.num_named_barrier, 0
	.set _ZN9rocsparseL19gtsv_LBM_rhs_kernelILj256ELj2ELj1EdEEviiiPKT2_S3_S3_PS1_S3_PKi.private_seg_size, 0
	.set _ZN9rocsparseL19gtsv_LBM_rhs_kernelILj256ELj2ELj1EdEEviiiPKT2_S3_S3_PS1_S3_PKi.uses_vcc, 1
	.set _ZN9rocsparseL19gtsv_LBM_rhs_kernelILj256ELj2ELj1EdEEviiiPKT2_S3_S3_PS1_S3_PKi.uses_flat_scratch, 0
	.set _ZN9rocsparseL19gtsv_LBM_rhs_kernelILj256ELj2ELj1EdEEviiiPKT2_S3_S3_PS1_S3_PKi.has_dyn_sized_stack, 0
	.set _ZN9rocsparseL19gtsv_LBM_rhs_kernelILj256ELj2ELj1EdEEviiiPKT2_S3_S3_PS1_S3_PKi.has_recursion, 0
	.set _ZN9rocsparseL19gtsv_LBM_rhs_kernelILj256ELj2ELj1EdEEviiiPKT2_S3_S3_PS1_S3_PKi.has_indirect_call, 0
	.section	.AMDGPU.csdata,"",@progbits
; Kernel info:
; codeLenInByte = 1360
; TotalNumSgprs: 28
; NumVgprs: 31
; ScratchSize: 0
; MemoryBound: 0
; FloatMode: 240
; IeeeMode: 1
; LDSByteSize: 0 bytes/workgroup (compile time only)
; SGPRBlocks: 3
; VGPRBlocks: 7
; NumSGPRsForWavesPerEU: 28
; NumVGPRsForWavesPerEU: 31
; Occupancy: 8
; WaveLimiterHint : 0
; COMPUTE_PGM_RSRC2:SCRATCH_EN: 0
; COMPUTE_PGM_RSRC2:USER_SGPR: 6
; COMPUTE_PGM_RSRC2:TRAP_HANDLER: 0
; COMPUTE_PGM_RSRC2:TGID_X_EN: 1
; COMPUTE_PGM_RSRC2:TGID_Y_EN: 1
; COMPUTE_PGM_RSRC2:TGID_Z_EN: 0
; COMPUTE_PGM_RSRC2:TIDIG_COMP_CNT: 0
	.section	.text._ZN9rocsparseL29gtsv_spike_block_level_kernelILj256ELj2EdEEviiiPT1_PKS1_S4_S2_S2_S2_S2_S2_,"axG",@progbits,_ZN9rocsparseL29gtsv_spike_block_level_kernelILj256ELj2EdEEviiiPT1_PKS1_S4_S2_S2_S2_S2_S2_,comdat
	.globl	_ZN9rocsparseL29gtsv_spike_block_level_kernelILj256ELj2EdEEviiiPT1_PKS1_S4_S2_S2_S2_S2_S2_ ; -- Begin function _ZN9rocsparseL29gtsv_spike_block_level_kernelILj256ELj2EdEEviiiPT1_PKS1_S4_S2_S2_S2_S2_S2_
	.p2align	8
	.type	_ZN9rocsparseL29gtsv_spike_block_level_kernelILj256ELj2EdEEviiiPT1_PKS1_S4_S2_S2_S2_S2_S2_,@function
_ZN9rocsparseL29gtsv_spike_block_level_kernelILj256ELj2EdEEviiiPT1_PKS1_S4_S2_S2_S2_S2_S2_: ; @_ZN9rocsparseL29gtsv_spike_block_level_kernelILj256ELj2EdEEviiiPT1_PKS1_S4_S2_S2_S2_S2_S2_
; %bb.0:
	s_load_dword s19, s[4:5], 0x0
	s_load_dwordx2 s[8:9], s[4:5], 0x18
	v_lshl_or_b32 v2, s6, 8, v0
	v_mov_b32_e32 v4, 0
	v_mov_b32_e32 v6, 0
	s_waitcnt lgkmcnt(0)
	s_lshr_b32 s18, s19, 1
	v_mov_b32_e32 v5, 0
	v_mov_b32_e32 v7, 0
	v_cmp_gt_i32_e64 s[0:1], s18, v2
	s_and_saveexec_b64 s[2:3], s[0:1]
	s_cbranch_execz .LBB95_2
; %bb.1:
	v_ashrrev_i32_e32 v3, 31, v2
	v_lshlrev_b64 v[6:7], 3, v[2:3]
	v_mov_b32_e32 v1, s9
	v_add_co_u32_e32 v6, vcc, s8, v6
	v_addc_co_u32_e32 v7, vcc, v1, v7, vcc
	global_load_dwordx2 v[6:7], v[6:7], off
.LBB95_2:
	s_or_b64 exec, exec, s[2:3]
	s_load_dwordx2 s[2:3], s[4:5], 0x20
	v_lshlrev_b32_e32 v10, 3, v0
	v_or_b32_e32 v11, 0x1000, v10
	v_add_u32_e32 v1, s18, v2
	s_waitcnt vmcnt(0)
	ds_write_b64 v10, v[6:7] offset:4096
	s_and_saveexec_b64 s[10:11], s[0:1]
	s_cbranch_execz .LBB95_4
; %bb.3:
	v_add_u32_e32 v3, s18, v2
	v_mov_b32_e32 v4, 0
	v_lshlrev_b64 v[3:4], 3, v[3:4]
	v_mov_b32_e32 v5, s9
	v_add_co_u32_e32 v3, vcc, s8, v3
	v_addc_co_u32_e32 v4, vcc, v5, v4, vcc
	global_load_dwordx2 v[4:5], v[3:4], off
.LBB95_4:
	s_or_b64 exec, exec, s[10:11]
	v_mov_b32_e32 v6, 0
	v_mov_b32_e32 v8, 0
	;; [unrolled: 1-line block ×4, first 2 shown]
	s_waitcnt vmcnt(0)
	ds_write_b64 v11, v[4:5] offset:2048
	s_and_saveexec_b64 s[8:9], s[0:1]
	s_cbranch_execz .LBB95_6
; %bb.5:
	v_ashrrev_i32_e32 v3, 31, v2
	v_lshlrev_b64 v[3:4], 3, v[2:3]
	s_waitcnt lgkmcnt(0)
	v_mov_b32_e32 v5, s3
	v_add_co_u32_e32 v3, vcc, s2, v3
	v_addc_co_u32_e32 v4, vcc, v5, v4, vcc
	global_load_dwordx2 v[8:9], v[3:4], off
.LBB95_6:
	s_or_b64 exec, exec, s[8:9]
	s_load_dwordx2 s[12:13], s[4:5], 0x10
	s_waitcnt vmcnt(0)
	ds_write_b64 v10, v[8:9]
	s_and_saveexec_b64 s[8:9], s[0:1]
	s_cbranch_execz .LBB95_8
; %bb.7:
	v_add_u32_e32 v3, s18, v2
	v_mov_b32_e32 v4, 0
	v_lshlrev_b64 v[3:4], 3, v[3:4]
	s_waitcnt lgkmcnt(0)
	v_mov_b32_e32 v5, s3
	v_add_co_u32_e32 v3, vcc, s2, v3
	v_addc_co_u32_e32 v4, vcc, v5, v4, vcc
	global_load_dwordx2 v[6:7], v[3:4], off
.LBB95_8:
	s_or_b64 exec, exec, s[8:9]
	s_waitcnt vmcnt(0)
	ds_write_b64 v10, v[6:7] offset:2048
	v_mov_b32_e32 v6, 0
	s_mul_i32 s19, s19, s7
	v_mov_b32_e32 v8, 0
	v_mov_b32_e32 v7, 0
	v_mov_b32_e32 v9, 0
	v_add_u32_e32 v4, s19, v2
	s_waitcnt lgkmcnt(0)
	s_and_saveexec_b64 s[2:3], s[0:1]
	s_cbranch_execz .LBB95_10
; %bb.9:
	v_ashrrev_i32_e32 v5, 31, v4
	v_lshlrev_b64 v[8:9], 3, v[4:5]
	v_mov_b32_e32 v3, s13
	v_add_co_u32_e32 v8, vcc, s12, v8
	v_addc_co_u32_e32 v9, vcc, v3, v9, vcc
	global_load_dwordx2 v[8:9], v[8:9], off
.LBB95_10:
	s_or_b64 exec, exec, s[2:3]
	v_or_b32_e32 v5, 0x2000, v10
	s_waitcnt vmcnt(0)
	ds_write_b64 v10, v[8:9] offset:8192
	s_and_saveexec_b64 s[2:3], s[0:1]
	s_cbranch_execz .LBB95_12
; %bb.11:
	s_add_i32 s8, s19, s18
	v_add_u32_e32 v6, s8, v2
	v_mov_b32_e32 v7, 0
	v_lshlrev_b64 v[6:7], 3, v[6:7]
	v_mov_b32_e32 v3, s13
	v_add_co_u32_e32 v6, vcc, s12, v6
	v_addc_co_u32_e32 v7, vcc, v3, v7, vcc
	global_load_dwordx2 v[6:7], v[6:7], off
.LBB95_12:
	s_or_b64 exec, exec, s[2:3]
	s_movk_i32 s2, 0x80
	v_cmp_gt_u32_e32 vcc, s2, v0
	s_waitcnt vmcnt(0)
	ds_write_b64 v5, v[6:7] offset:2048
	s_waitcnt lgkmcnt(0)
	s_barrier
	s_and_saveexec_b64 s[2:3], vcc
	s_cbranch_execz .LBB95_14
; %bb.13:
	v_add_u32_e32 v3, v11, v10
	ds_read_b128 v[6:9], v3
	v_add_u32_e32 v38, v10, v10
	ds_read_b128 v[12:15], v38 offset:2048
	ds_read_b128 v[16:19], v38
	ds_read_b128 v[20:23], v3 offset:2048
	v_add_u32_e32 v39, v5, v10
	s_waitcnt lgkmcnt(2)
	v_fma_f64 v[32:33], -v[8:9], v[12:13], 1.0
	v_div_scale_f64 v[24:25], s[8:9], v[32:33], v[32:33], 1.0
	v_rcp_f64_e32 v[26:27], v[24:25]
	v_fma_f64 v[28:29], -v[24:25], v[26:27], 1.0
	v_fma_f64 v[26:27], v[26:27], v[28:29], v[26:27]
	v_div_scale_f64 v[28:29], vcc, 1.0, v[32:33], 1.0
	v_fma_f64 v[30:31], -v[24:25], v[26:27], 1.0
	v_fma_f64 v[26:27], v[26:27], v[30:31], v[26:27]
	v_mul_f64 v[30:31], v[28:29], v[26:27]
	v_fma_f64 v[24:25], -v[24:25], v[30:31], v[28:29]
	v_div_fmas_f64 v[34:35], v[24:25], v[26:27], v[30:31]
	ds_read_b128 v[24:27], v39 offset:2048
	ds_read_b128 v[28:31], v39
	s_waitcnt lgkmcnt(0)
	v_fma_f64 v[36:37], -v[8:9], v[24:25], v[30:31]
	v_fma_f64 v[24:25], -v[12:13], v[30:31], v[24:25]
	v_mul_f64 v[8:9], v[8:9], v[20:21]
	v_mul_f64 v[12:13], v[12:13], v[18:19]
	v_div_fixup_f64 v[32:33], v[34:35], v[32:33], 1.0
	v_mul_f64 v[30:31], v[36:37], v[32:33]
	v_mul_f64 v[24:25], v[32:33], v[24:25]
	v_mul_f64 v[8:9], v[8:9], -v[32:33]
	v_mul_f64 v[18:19], v[32:33], v[18:19]
	v_mul_f64 v[12:13], v[12:13], -v[32:33]
	v_mul_f64 v[20:21], v[32:33], v[20:21]
	v_fma_f64 v[28:29], -v[30:31], v[16:17], v[28:29]
	v_fma_f64 v[26:27], -v[22:23], v[24:25], v[26:27]
	;; [unrolled: 1-line block ×3, first 2 shown]
	v_mul_f64 v[16:17], v[18:19], -v[16:17]
	v_fma_f64 v[14:15], -v[12:13], v[22:23], v[14:15]
	v_mul_f64 v[22:23], v[20:21], -v[22:23]
	ds_write_b128 v39, v[28:31]
	ds_write_b128 v39, v[24:27] offset:2048
	ds_write_b128 v3, v[6:9]
	ds_write_b128 v38, v[16:19]
	ds_write_b128 v38, v[12:15] offset:2048
	ds_write_b128 v3, v[20:23] offset:2048
.LBB95_14:
	s_or_b64 exec, exec, s[2:3]
	v_cmp_gt_u32_e32 vcc, 64, v0
	s_waitcnt lgkmcnt(0)
	s_barrier
	s_and_saveexec_b64 s[2:3], vcc
	s_cbranch_execz .LBB95_16
; %bb.15:
	v_lshlrev_b32_e32 v3, 5, v0
	v_add_u32_e32 v38, 0x1000, v3
	v_add_u32_e32 v39, 0x800, v3
	ds_read2_b64 v[6:9], v38 offset1:2
	ds_read2_b64 v[12:15], v39 offset0:1 offset1:3
	v_mad_u32_u24 v40, v0, 24, v5
	v_add_u32_e32 v41, 0x800, v40
	v_add_u32_e32 v42, 0x1800, v3
	s_waitcnt lgkmcnt(0)
	v_fma_f64 v[32:33], -v[8:9], v[12:13], 1.0
	v_div_scale_f64 v[16:17], s[8:9], v[32:33], v[32:33], 1.0
	v_rcp_f64_e32 v[18:19], v[16:17]
	v_fma_f64 v[20:21], -v[16:17], v[18:19], 1.0
	v_fma_f64 v[18:19], v[18:19], v[20:21], v[18:19]
	v_div_scale_f64 v[20:21], vcc, 1.0, v[32:33], 1.0
	v_fma_f64 v[22:23], -v[16:17], v[18:19], 1.0
	v_fma_f64 v[18:19], v[18:19], v[22:23], v[18:19]
	v_mul_f64 v[22:23], v[20:21], v[18:19]
	v_fma_f64 v[16:17], -v[16:17], v[22:23], v[20:21]
	v_div_fmas_f64 v[34:35], v[16:17], v[18:19], v[22:23]
	ds_read2_b64 v[16:19], v40 offset1:2
	ds_read2_b64 v[20:23], v41 offset0:1 offset1:3
	ds_read2_b64 v[24:27], v42 offset0:1 offset1:3
	ds_read2_b64 v[28:31], v3 offset1:2
	s_waitcnt lgkmcnt(2)
	v_fma_f64 v[36:37], -v[8:9], v[20:21], v[18:19]
	v_fma_f64 v[18:19], -v[12:13], v[18:19], v[20:21]
	s_waitcnt lgkmcnt(1)
	v_mul_f64 v[8:9], v[8:9], v[24:25]
	s_waitcnt lgkmcnt(0)
	v_mul_f64 v[12:13], v[12:13], v[30:31]
	v_div_fixup_f64 v[32:33], v[34:35], v[32:33], 1.0
	v_mul_f64 v[20:21], v[36:37], v[32:33]
	v_mul_f64 v[18:19], v[32:33], v[18:19]
	v_mul_f64 v[8:9], v[8:9], -v[32:33]
	v_mul_f64 v[30:31], v[32:33], v[30:31]
	v_mul_f64 v[12:13], v[12:13], -v[32:33]
	v_mul_f64 v[24:25], v[32:33], v[24:25]
	v_fma_f64 v[16:17], -v[20:21], v[28:29], v[16:17]
	v_fma_f64 v[22:23], -v[26:27], v[18:19], v[22:23]
	v_fma_f64 v[6:7], -v[8:9], v[28:29], v[6:7]
	v_mul_f64 v[28:29], v[30:31], -v[28:29]
	v_fma_f64 v[14:15], -v[12:13], v[26:27], v[14:15]
	v_mul_f64 v[26:27], v[24:25], -v[26:27]
	ds_write2_b64 v40, v[16:17], v[20:21] offset1:2
	ds_write2_b64 v41, v[18:19], v[22:23] offset0:1 offset1:3
	ds_write2_b64 v38, v[6:7], v[8:9] offset1:2
	ds_write2_b64 v3, v[28:29], v[30:31] offset1:2
	ds_write2_b64 v39, v[12:13], v[14:15] offset0:1 offset1:3
	ds_write2_b64 v42, v[24:25], v[26:27] offset0:1 offset1:3
.LBB95_16:
	s_or_b64 exec, exec, s[2:3]
	v_cmp_gt_u32_e32 vcc, 32, v0
	s_waitcnt lgkmcnt(0)
	s_barrier
	s_and_saveexec_b64 s[2:3], vcc
	s_cbranch_execz .LBB95_18
; %bb.17:
	v_lshlrev_b32_e32 v3, 6, v0
	v_add_u32_e32 v38, 0x1000, v3
	v_add_u32_e32 v39, 0x800, v3
	ds_read2_b64 v[6:9], v38 offset1:4
	ds_read2_b64 v[12:15], v39 offset0:3 offset1:7
	v_add_u32_e32 v40, 0x2800, v3
	v_add_u32_e32 v41, 0x2000, v3
	v_add_u32_e32 v42, 0x1800, v3
	s_waitcnt lgkmcnt(0)
	v_fma_f64 v[32:33], -v[8:9], v[12:13], 1.0
	v_div_scale_f64 v[16:17], s[8:9], v[32:33], v[32:33], 1.0
	v_rcp_f64_e32 v[18:19], v[16:17]
	v_fma_f64 v[20:21], -v[16:17], v[18:19], 1.0
	v_fma_f64 v[18:19], v[18:19], v[20:21], v[18:19]
	v_div_scale_f64 v[20:21], vcc, 1.0, v[32:33], 1.0
	v_fma_f64 v[22:23], -v[16:17], v[18:19], 1.0
	v_fma_f64 v[18:19], v[18:19], v[22:23], v[18:19]
	v_mul_f64 v[22:23], v[20:21], v[18:19]
	v_fma_f64 v[16:17], -v[16:17], v[22:23], v[20:21]
	v_div_fmas_f64 v[34:35], v[16:17], v[18:19], v[22:23]
	ds_read2_b64 v[16:19], v40 offset0:3 offset1:7
	ds_read2_b64 v[20:23], v41 offset1:4
	ds_read2_b64 v[24:27], v42 offset0:3 offset1:7
	ds_read2_b64 v[28:31], v3 offset1:4
	s_waitcnt lgkmcnt(2)
	v_fma_f64 v[36:37], -v[8:9], v[16:17], v[22:23]
	v_fma_f64 v[16:17], -v[12:13], v[22:23], v[16:17]
	s_waitcnt lgkmcnt(1)
	v_mul_f64 v[8:9], v[8:9], v[24:25]
	s_waitcnt lgkmcnt(0)
	v_mul_f64 v[12:13], v[12:13], v[30:31]
	v_div_fixup_f64 v[32:33], v[34:35], v[32:33], 1.0
	v_mul_f64 v[22:23], v[36:37], v[32:33]
	v_mul_f64 v[16:17], v[32:33], v[16:17]
	v_mul_f64 v[8:9], v[8:9], -v[32:33]
	v_mul_f64 v[30:31], v[32:33], v[30:31]
	v_mul_f64 v[12:13], v[12:13], -v[32:33]
	v_mul_f64 v[24:25], v[32:33], v[24:25]
	v_fma_f64 v[20:21], -v[22:23], v[28:29], v[20:21]
	v_fma_f64 v[18:19], -v[26:27], v[16:17], v[18:19]
	v_fma_f64 v[6:7], -v[8:9], v[28:29], v[6:7]
	v_mul_f64 v[28:29], v[30:31], -v[28:29]
	v_fma_f64 v[14:15], -v[12:13], v[26:27], v[14:15]
	v_mul_f64 v[26:27], v[24:25], -v[26:27]
	ds_write2_b64 v41, v[20:21], v[22:23] offset1:4
	ds_write2_b64 v40, v[16:17], v[18:19] offset0:3 offset1:7
	ds_write2_b64 v38, v[6:7], v[8:9] offset1:4
	ds_write2_b64 v3, v[28:29], v[30:31] offset1:4
	ds_write2_b64 v39, v[12:13], v[14:15] offset0:3 offset1:7
	ds_write2_b64 v42, v[24:25], v[26:27] offset0:3 offset1:7
.LBB95_18:
	s_or_b64 exec, exec, s[2:3]
	v_cmp_gt_u32_e32 vcc, 16, v0
	s_waitcnt lgkmcnt(0)
	s_barrier
	s_and_saveexec_b64 s[2:3], vcc
	s_cbranch_execz .LBB95_20
; %bb.19:
	v_lshlrev_b32_e32 v3, 7, v0
	v_add_u32_e32 v38, 0x1000, v3
	v_add_u32_e32 v39, 0x800, v3
	ds_read2_b64 v[6:9], v38 offset1:8
	ds_read2_b64 v[12:15], v39 offset0:7 offset1:15
	v_add_u32_e32 v40, 0x2800, v3
	v_add_u32_e32 v41, 0x2000, v3
	v_add_u32_e32 v42, 0x1800, v3
	s_waitcnt lgkmcnt(0)
	v_fma_f64 v[32:33], -v[8:9], v[12:13], 1.0
	v_div_scale_f64 v[16:17], s[8:9], v[32:33], v[32:33], 1.0
	v_rcp_f64_e32 v[18:19], v[16:17]
	v_fma_f64 v[20:21], -v[16:17], v[18:19], 1.0
	v_fma_f64 v[18:19], v[18:19], v[20:21], v[18:19]
	v_div_scale_f64 v[20:21], vcc, 1.0, v[32:33], 1.0
	v_fma_f64 v[22:23], -v[16:17], v[18:19], 1.0
	v_fma_f64 v[18:19], v[18:19], v[22:23], v[18:19]
	v_mul_f64 v[22:23], v[20:21], v[18:19]
	v_fma_f64 v[16:17], -v[16:17], v[22:23], v[20:21]
	v_div_fmas_f64 v[34:35], v[16:17], v[18:19], v[22:23]
	ds_read2_b64 v[16:19], v40 offset0:7 offset1:15
	ds_read2_b64 v[20:23], v41 offset1:8
	ds_read2_b64 v[24:27], v42 offset0:7 offset1:15
	ds_read2_b64 v[28:31], v3 offset1:8
	s_waitcnt lgkmcnt(2)
	v_fma_f64 v[36:37], -v[8:9], v[16:17], v[22:23]
	v_fma_f64 v[16:17], -v[12:13], v[22:23], v[16:17]
	s_waitcnt lgkmcnt(1)
	v_mul_f64 v[8:9], v[8:9], v[24:25]
	s_waitcnt lgkmcnt(0)
	v_mul_f64 v[12:13], v[12:13], v[30:31]
	v_div_fixup_f64 v[32:33], v[34:35], v[32:33], 1.0
	v_mul_f64 v[22:23], v[36:37], v[32:33]
	v_mul_f64 v[16:17], v[32:33], v[16:17]
	v_mul_f64 v[8:9], v[8:9], -v[32:33]
	v_mul_f64 v[30:31], v[32:33], v[30:31]
	v_mul_f64 v[12:13], v[12:13], -v[32:33]
	v_mul_f64 v[24:25], v[32:33], v[24:25]
	v_fma_f64 v[20:21], -v[22:23], v[28:29], v[20:21]
	v_fma_f64 v[18:19], -v[26:27], v[16:17], v[18:19]
	v_fma_f64 v[6:7], -v[8:9], v[28:29], v[6:7]
	v_mul_f64 v[28:29], v[30:31], -v[28:29]
	v_fma_f64 v[14:15], -v[12:13], v[26:27], v[14:15]
	v_mul_f64 v[26:27], v[24:25], -v[26:27]
	ds_write2_b64 v41, v[20:21], v[22:23] offset1:8
	ds_write2_b64 v40, v[16:17], v[18:19] offset0:7 offset1:15
	ds_write2_b64 v38, v[6:7], v[8:9] offset1:8
	ds_write2_b64 v3, v[28:29], v[30:31] offset1:8
	ds_write2_b64 v39, v[12:13], v[14:15] offset0:7 offset1:15
	ds_write2_b64 v42, v[24:25], v[26:27] offset0:7 offset1:15
.LBB95_20:
	;; [unrolled: 58-line block ×4, first 2 shown]
	s_or_b64 exec, exec, s[2:3]
	v_cmp_gt_u32_e32 vcc, 2, v0
	s_waitcnt lgkmcnt(0)
	s_barrier
	s_and_saveexec_b64 s[2:3], vcc
	s_cbranch_execz .LBB95_26
; %bb.25:
	v_lshlrev_b32_e32 v3, 10, v0
	v_add_u32_e32 v38, 0x1f8, v3
	ds_read2st64_b64 v[6:9], v38 offset0:4 offset1:5
	ds_read2st64_b64 v[12:15], v3 offset0:8 offset1:9
	ds_read2st64_b64 v[16:19], v3 offset1:1
	ds_read2st64_b64 v[20:23], v38 offset0:12 offset1:13
	s_waitcnt lgkmcnt(2)
	v_fma_f64 v[32:33], -v[14:15], v[6:7], 1.0
	v_div_scale_f64 v[24:25], s[8:9], v[32:33], v[32:33], 1.0
	v_rcp_f64_e32 v[26:27], v[24:25]
	v_fma_f64 v[28:29], -v[24:25], v[26:27], 1.0
	v_fma_f64 v[26:27], v[26:27], v[28:29], v[26:27]
	v_div_scale_f64 v[28:29], vcc, 1.0, v[32:33], 1.0
	v_fma_f64 v[30:31], -v[24:25], v[26:27], 1.0
	v_fma_f64 v[26:27], v[26:27], v[30:31], v[26:27]
	v_mul_f64 v[30:31], v[28:29], v[26:27]
	v_fma_f64 v[24:25], -v[24:25], v[30:31], v[28:29]
	v_div_fmas_f64 v[34:35], v[24:25], v[26:27], v[30:31]
	ds_read2st64_b64 v[24:27], v3 offset0:16 offset1:17
	ds_read2st64_b64 v[28:31], v38 offset0:20 offset1:21
	s_waitcnt lgkmcnt(0)
	v_fma_f64 v[36:37], -v[14:15], v[28:29], v[26:27]
	v_fma_f64 v[26:27], -v[6:7], v[26:27], v[28:29]
	v_mul_f64 v[14:15], v[14:15], v[20:21]
	v_mul_f64 v[6:7], v[6:7], v[18:19]
	v_div_fixup_f64 v[32:33], v[34:35], v[32:33], 1.0
	v_mul_f64 v[28:29], v[36:37], v[32:33]
	v_mul_f64 v[26:27], v[32:33], v[26:27]
	v_mul_f64 v[14:15], v[14:15], -v[32:33]
	v_mul_f64 v[18:19], v[32:33], v[18:19]
	v_mul_f64 v[6:7], v[6:7], -v[32:33]
	v_mul_f64 v[20:21], v[32:33], v[20:21]
	v_fma_f64 v[24:25], -v[28:29], v[16:17], v[24:25]
	v_fma_f64 v[30:31], -v[22:23], v[26:27], v[30:31]
	;; [unrolled: 1-line block ×3, first 2 shown]
	v_mul_f64 v[16:17], v[18:19], -v[16:17]
	v_fma_f64 v[8:9], -v[6:7], v[22:23], v[8:9]
	v_mul_f64 v[22:23], v[20:21], -v[22:23]
	ds_write2st64_b64 v3, v[24:25], v[28:29] offset0:16 offset1:17
	ds_write2st64_b64 v38, v[26:27], v[30:31] offset0:20 offset1:21
	;; [unrolled: 1-line block ×3, first 2 shown]
	ds_write2st64_b64 v3, v[16:17], v[18:19] offset1:1
	ds_write2st64_b64 v38, v[6:7], v[8:9] offset0:4 offset1:5
	ds_write2st64_b64 v38, v[20:21], v[22:23] offset0:12 offset1:13
.LBB95_26:
	s_or_b64 exec, exec, s[2:3]
	v_cmp_eq_u32_e64 s[2:3], 0, v0
	s_waitcnt lgkmcnt(0)
	s_barrier
	s_and_saveexec_b64 s[8:9], s[2:3]
	s_cbranch_execz .LBB95_28
; %bb.27:
	s_movk_i32 s10, 0x1400
	v_add_u32_e64 v3, s10, 0
	v_mov_b32_e32 v0, 0
	ds_read2_b64 v[6:9], v3 offset1:255
	ds_read_b64 v[20:21], v0 offset:3064
	ds_read_b64 v[22:23], v0 offset:12280
	v_mov_b32_e32 v33, 0x1ff8
	v_mov_b32_e32 v34, 0xff8
	s_waitcnt lgkmcnt(1)
	v_fma_f64 v[24:25], -v[6:7], v[20:21], 1.0
	v_div_scale_f64 v[12:13], s[10:11], v[24:25], v[24:25], 1.0
	s_movk_i32 s10, 0x2400
	v_add_u32_e64 v32, s10, 0
	v_rcp_f64_e32 v[14:15], v[12:13]
	v_fma_f64 v[16:17], -v[12:13], v[14:15], 1.0
	v_fma_f64 v[14:15], v[14:15], v[16:17], v[14:15]
	v_div_scale_f64 v[16:17], vcc, 1.0, v[24:25], 1.0
	v_fma_f64 v[18:19], -v[12:13], v[14:15], 1.0
	v_fma_f64 v[14:15], v[14:15], v[18:19], v[14:15]
	v_mul_f64 v[18:19], v[16:17], v[14:15]
	v_fma_f64 v[12:13], -v[12:13], v[18:19], v[16:17]
	v_div_fmas_f64 v[26:27], v[12:13], v[14:15], v[18:19]
	ds_read2_b64 v[12:15], v32 offset1:255
	ds_read2st64_b64 v[16:19], v0 offset1:2
	s_waitcnt lgkmcnt(1)
	v_fma_f64 v[28:29], -v[20:21], v[12:13], v[14:15]
	s_waitcnt lgkmcnt(0)
	v_mul_f64 v[20:21], v[20:21], v[18:19]
	v_div_fixup_f64 v[24:25], v[26:27], v[24:25], 1.0
	v_fma_f64 v[26:27], -v[6:7], v[14:15], v[12:13]
	v_mul_f64 v[6:7], v[6:7], v[8:9]
	ds_read2_b64 v[12:15], v33 offset1:1
	v_mul_f64 v[28:29], v[24:25], v[28:29]
	v_mul_f64 v[26:27], v[26:27], v[24:25]
	v_mul_f64 v[30:31], v[6:7], -v[24:25]
	v_mul_f64 v[18:19], v[24:25], v[18:19]
	v_mul_f64 v[20:21], v[20:21], -v[24:25]
	v_mul_f64 v[24:25], v[24:25], v[8:9]
	ds_read2_b64 v[6:9], v34 offset1:1
	s_waitcnt lgkmcnt(1)
	v_fma_f64 v[22:23], -v[12:13], v[28:29], v[22:23]
	v_fma_f64 v[14:15], -v[26:27], v[16:17], v[14:15]
	s_waitcnt lgkmcnt(0)
	v_fma_f64 v[8:9], -v[30:31], v[16:17], v[8:9]
	v_mul_f64 v[16:17], v[18:19], -v[16:17]
	v_fma_f64 v[6:7], -v[20:21], v[12:13], v[6:7]
	v_mul_f64 v[12:13], v[24:25], -v[12:13]
	ds_write2_b64 v32, v[26:27], v[28:29] offset1:255
	ds_write_b64 v0, v[20:21] offset:3064
	ds_write2_b64 v3, v[30:31], v[24:25] offset1:255
	ds_write_b64 v0, v[22:23] offset:12280
	ds_write2st64_b64 v0, v[16:17], v[18:19] offset1:2
	ds_write2_b64 v34, v[6:7], v[8:9] offset1:1
	ds_write2_b64 v33, v[12:13], v[14:15] offset1:1
.LBB95_28:
	s_or_b64 exec, exec, s[8:9]
	s_load_dwordx2 s[14:15], s[4:5], 0x48
	s_load_dwordx4 s[8:11], s[4:5], 0x38
	s_waitcnt lgkmcnt(0)
	s_barrier
	s_and_saveexec_b64 s[16:17], s[0:1]
	s_cbranch_execnz .LBB95_31
; %bb.29:
	s_or_b64 exec, exec, s[16:17]
	s_and_saveexec_b64 s[0:1], s[2:3]
	s_cbranch_execnz .LBB95_35
.LBB95_30:
	s_endpgm
.LBB95_31:
	s_cmp_eq_u32 s7, 0
	s_cbranch_scc1 .LBB95_39
; %bb.32:
	v_add_u32_e32 v0, s18, v2
	s_cbranch_execnz .LBB95_34
.LBB95_33:
	s_load_dwordx4 s[20:23], s[4:5], 0x28
	ds_read2st64_b64 v[6:9], v11 offset1:4
	v_ashrrev_i32_e32 v3, 31, v2
	v_lshlrev_b64 v[11:12], 3, v[2:3]
	s_waitcnt lgkmcnt(0)
	v_mov_b32_e32 v0, s21
	v_add_co_u32_e32 v2, vcc, s20, v11
	v_addc_co_u32_e32 v3, vcc, v0, v12, vcc
	global_store_dwordx2 v[2:3], v[6:7], off
	v_mov_b32_e32 v2, 0
	v_lshlrev_b64 v[2:3], 3, v[1:2]
	v_add_co_u32_e32 v6, vcc, s20, v2
	v_addc_co_u32_e32 v7, vcc, v0, v3, vcc
	global_store_dwordx2 v[6:7], v[8:9], off
	ds_read2st64_b64 v[6:9], v10 offset1:4
	v_mov_b32_e32 v0, s23
	v_add_co_u32_e32 v10, vcc, s22, v11
	v_addc_co_u32_e32 v11, vcc, v0, v12, vcc
	v_add_co_u32_e32 v2, vcc, s22, v2
	v_addc_co_u32_e32 v3, vcc, v0, v3, vcc
	v_mov_b32_e32 v0, v1
	s_waitcnt lgkmcnt(0)
	global_store_dwordx2 v[10:11], v[6:7], off
	global_store_dwordx2 v[2:3], v[8:9], off
.LBB95_34:
	ds_read2st64_b64 v[6:9], v5 offset1:4
	v_ashrrev_i32_e32 v5, 31, v4
	v_lshlrev_b64 v[1:2], 3, v[4:5]
	v_mov_b32_e32 v3, s13
	v_add_co_u32_e32 v1, vcc, s12, v1
	v_addc_co_u32_e32 v2, vcc, v3, v2, vcc
	s_waitcnt lgkmcnt(0)
	global_store_dwordx2 v[1:2], v[6:7], off
	v_add_u32_e32 v0, s19, v0
	v_mov_b32_e32 v1, 0
	v_lshlrev_b64 v[0:1], 3, v[0:1]
	v_mov_b32_e32 v2, s13
	v_add_co_u32_e32 v0, vcc, s12, v0
	v_addc_co_u32_e32 v1, vcc, v2, v1, vcc
	global_store_dwordx2 v[0:1], v[8:9], off
	s_or_b64 exec, exec, s[16:17]
	s_and_saveexec_b64 s[0:1], s[2:3]
	s_cbranch_execz .LBB95_30
.LBB95_35:
	s_cmp_eq_u32 s7, 0
	s_cbranch_scc1 .LBB95_40
; %bb.36:
	s_load_dword s2, s[4:5], 0x50
	s_cbranch_execnz .LBB95_38
.LBB95_37:
	v_mov_b32_e32 v0, 0xff8
	ds_read2_b64 v[0:3], v0 offset1:1
	s_mov_b32 s0, s7
	s_ashr_i32 s7, s6, 31
	s_waitcnt lgkmcnt(0)
	s_load_dword s2, s[4:5], 0x50
	s_lshl_b64 s[12:13], s[6:7], 3
	s_mov_b32 s7, s0
	s_add_u32 s0, s10, s12
	s_addc_u32 s1, s11, s13
	v_mov_b32_e32 v6, 0
	ds_read_b64 v[4:5], v6
	global_store_dwordx2 v6, v[2:3], s[0:1]
	ds_read_b64 v[2:3], v6 offset:8184
	s_waitcnt lgkmcnt(0)
	s_add_i32 s0, s2, s6
	s_mov_b32 s1, 0
	s_lshl_b64 s[0:1], s[0:1], 3
	s_add_u32 s4, s10, s0
	s_addc_u32 s5, s11, s1
	global_store_dwordx2 v6, v[2:3], s[4:5]
	s_add_u32 s4, s14, s12
	s_addc_u32 s5, s15, s13
	s_add_u32 s0, s14, s0
	s_addc_u32 s1, s15, s1
	global_store_dwordx2 v6, v[4:5], s[4:5]
	global_store_dwordx2 v6, v[0:1], s[0:1]
.LBB95_38:
	s_waitcnt lgkmcnt(0)
	s_mul_i32 s0, s2, s7
	s_lshl_b32 s0, s0, 1
	s_add_i32 s0, s0, s6
	s_mov_b32 s1, 0
	v_mov_b32_e32 v4, 0
	s_lshl_b64 s[4:5], s[0:1], 3
	ds_read_b64 v[0:1], v4 offset:8192
	ds_read_b64 v[2:3], v4 offset:12280
	s_add_u32 s4, s8, s4
	s_addc_u32 s5, s9, s5
	s_add_i32 s0, s0, s2
	s_lshl_b64 s[0:1], s[0:1], 3
	s_add_u32 s0, s8, s0
	s_addc_u32 s1, s9, s1
	s_waitcnt lgkmcnt(1)
	global_store_dwordx2 v4, v[0:1], s[4:5]
	s_waitcnt lgkmcnt(0)
	global_store_dwordx2 v4, v[2:3], s[0:1]
	s_endpgm
.LBB95_39:
                                        ; implicit-def: $vgpr0
	s_branch .LBB95_33
.LBB95_40:
                                        ; implicit-def: $sgpr2
	s_branch .LBB95_37
	.section	.rodata,"a",@progbits
	.p2align	6, 0x0
	.amdhsa_kernel _ZN9rocsparseL29gtsv_spike_block_level_kernelILj256ELj2EdEEviiiPT1_PKS1_S4_S2_S2_S2_S2_S2_
		.amdhsa_group_segment_fixed_size 12288
		.amdhsa_private_segment_fixed_size 0
		.amdhsa_kernarg_size 336
		.amdhsa_user_sgpr_count 6
		.amdhsa_user_sgpr_private_segment_buffer 1
		.amdhsa_user_sgpr_dispatch_ptr 0
		.amdhsa_user_sgpr_queue_ptr 0
		.amdhsa_user_sgpr_kernarg_segment_ptr 1
		.amdhsa_user_sgpr_dispatch_id 0
		.amdhsa_user_sgpr_flat_scratch_init 0
		.amdhsa_user_sgpr_private_segment_size 0
		.amdhsa_uses_dynamic_stack 0
		.amdhsa_system_sgpr_private_segment_wavefront_offset 0
		.amdhsa_system_sgpr_workgroup_id_x 1
		.amdhsa_system_sgpr_workgroup_id_y 1
		.amdhsa_system_sgpr_workgroup_id_z 0
		.amdhsa_system_sgpr_workgroup_info 0
		.amdhsa_system_vgpr_workitem_id 0
		.amdhsa_next_free_vgpr 43
		.amdhsa_next_free_sgpr 98
		.amdhsa_reserve_vcc 1
		.amdhsa_reserve_flat_scratch 0
		.amdhsa_float_round_mode_32 0
		.amdhsa_float_round_mode_16_64 0
		.amdhsa_float_denorm_mode_32 3
		.amdhsa_float_denorm_mode_16_64 3
		.amdhsa_dx10_clamp 1
		.amdhsa_ieee_mode 1
		.amdhsa_fp16_overflow 0
		.amdhsa_exception_fp_ieee_invalid_op 0
		.amdhsa_exception_fp_denorm_src 0
		.amdhsa_exception_fp_ieee_div_zero 0
		.amdhsa_exception_fp_ieee_overflow 0
		.amdhsa_exception_fp_ieee_underflow 0
		.amdhsa_exception_fp_ieee_inexact 0
		.amdhsa_exception_int_div_zero 0
	.end_amdhsa_kernel
	.section	.text._ZN9rocsparseL29gtsv_spike_block_level_kernelILj256ELj2EdEEviiiPT1_PKS1_S4_S2_S2_S2_S2_S2_,"axG",@progbits,_ZN9rocsparseL29gtsv_spike_block_level_kernelILj256ELj2EdEEviiiPT1_PKS1_S4_S2_S2_S2_S2_S2_,comdat
.Lfunc_end95:
	.size	_ZN9rocsparseL29gtsv_spike_block_level_kernelILj256ELj2EdEEviiiPT1_PKS1_S4_S2_S2_S2_S2_S2_, .Lfunc_end95-_ZN9rocsparseL29gtsv_spike_block_level_kernelILj256ELj2EdEEviiiPT1_PKS1_S4_S2_S2_S2_S2_S2_
                                        ; -- End function
	.set _ZN9rocsparseL29gtsv_spike_block_level_kernelILj256ELj2EdEEviiiPT1_PKS1_S4_S2_S2_S2_S2_S2_.num_vgpr, 43
	.set _ZN9rocsparseL29gtsv_spike_block_level_kernelILj256ELj2EdEEviiiPT1_PKS1_S4_S2_S2_S2_S2_S2_.num_agpr, 0
	.set _ZN9rocsparseL29gtsv_spike_block_level_kernelILj256ELj2EdEEviiiPT1_PKS1_S4_S2_S2_S2_S2_S2_.numbered_sgpr, 24
	.set _ZN9rocsparseL29gtsv_spike_block_level_kernelILj256ELj2EdEEviiiPT1_PKS1_S4_S2_S2_S2_S2_S2_.num_named_barrier, 0
	.set _ZN9rocsparseL29gtsv_spike_block_level_kernelILj256ELj2EdEEviiiPT1_PKS1_S4_S2_S2_S2_S2_S2_.private_seg_size, 0
	.set _ZN9rocsparseL29gtsv_spike_block_level_kernelILj256ELj2EdEEviiiPT1_PKS1_S4_S2_S2_S2_S2_S2_.uses_vcc, 1
	.set _ZN9rocsparseL29gtsv_spike_block_level_kernelILj256ELj2EdEEviiiPT1_PKS1_S4_S2_S2_S2_S2_S2_.uses_flat_scratch, 0
	.set _ZN9rocsparseL29gtsv_spike_block_level_kernelILj256ELj2EdEEviiiPT1_PKS1_S4_S2_S2_S2_S2_S2_.has_dyn_sized_stack, 0
	.set _ZN9rocsparseL29gtsv_spike_block_level_kernelILj256ELj2EdEEviiiPT1_PKS1_S4_S2_S2_S2_S2_S2_.has_recursion, 0
	.set _ZN9rocsparseL29gtsv_spike_block_level_kernelILj256ELj2EdEEviiiPT1_PKS1_S4_S2_S2_S2_S2_S2_.has_indirect_call, 0
	.section	.AMDGPU.csdata,"",@progbits
; Kernel info:
; codeLenInByte = 4204
; TotalNumSgprs: 28
; NumVgprs: 43
; ScratchSize: 0
; MemoryBound: 0
; FloatMode: 240
; IeeeMode: 1
; LDSByteSize: 12288 bytes/workgroup (compile time only)
; SGPRBlocks: 12
; VGPRBlocks: 10
; NumSGPRsForWavesPerEU: 102
; NumVGPRsForWavesPerEU: 43
; Occupancy: 5
; WaveLimiterHint : 0
; COMPUTE_PGM_RSRC2:SCRATCH_EN: 0
; COMPUTE_PGM_RSRC2:USER_SGPR: 6
; COMPUTE_PGM_RSRC2:TRAP_HANDLER: 0
; COMPUTE_PGM_RSRC2:TGID_X_EN: 1
; COMPUTE_PGM_RSRC2:TGID_Y_EN: 1
; COMPUTE_PGM_RSRC2:TGID_Z_EN: 0
; COMPUTE_PGM_RSRC2:TIDIG_COMP_CNT: 0
	.section	.text._ZN9rocsparseL34gtsv_solve_spike_grid_level_kernelILj2EdEEviiiPT0_PKS1_S4_,"axG",@progbits,_ZN9rocsparseL34gtsv_solve_spike_grid_level_kernelILj2EdEEviiiPT0_PKS1_S4_,comdat
	.globl	_ZN9rocsparseL34gtsv_solve_spike_grid_level_kernelILj2EdEEviiiPT0_PKS1_S4_ ; -- Begin function _ZN9rocsparseL34gtsv_solve_spike_grid_level_kernelILj2EdEEviiiPT0_PKS1_S4_
	.p2align	8
	.type	_ZN9rocsparseL34gtsv_solve_spike_grid_level_kernelILj2EdEEviiiPT0_PKS1_S4_,@function
_ZN9rocsparseL34gtsv_solve_spike_grid_level_kernelILj2EdEEviiiPT0_PKS1_S4_: ; @_ZN9rocsparseL34gtsv_solve_spike_grid_level_kernelILj2EdEEviiiPT0_PKS1_S4_
; %bb.0:
	s_load_dwordx4 s[0:3], s[4:5], 0x10
	s_load_dwordx2 s[8:9], s[4:5], 0x20
	v_lshl_or_b32 v3, s7, 2, v0
	v_mov_b32_e32 v4, 0
	v_lshlrev_b64 v[1:2], 3, v[3:4]
	v_or_b32_e32 v3, 2, v3
	s_waitcnt lgkmcnt(0)
	v_mov_b32_e32 v15, s1
	v_add_co_u32_e32 v1, vcc, s0, v1
	v_lshlrev_b64 v[5:6], 3, v[3:4]
	v_addc_co_u32_e32 v2, vcc, v15, v2, vcc
	v_lshlrev_b32_e32 v19, 3, v0
	v_add_co_u32_e32 v5, vcc, s0, v5
	global_load_dwordx2 v[7:8], v19, s[2:3]
	global_load_dwordx2 v[9:10], v19, s[2:3] offset:16
	global_load_dwordx2 v[11:12], v19, s[8:9]
	global_load_dwordx2 v[13:14], v19, s[8:9] offset:16
	v_addc_co_u32_e32 v6, vcc, v15, v6, vcc
	global_load_dwordx2 v[15:16], v[1:2], off
	global_load_dwordx2 v[17:18], v[5:6], off
	v_or_b32_e32 v3, 64, v19
	v_cmp_eq_u32_e32 vcc, 0, v0
	s_waitcnt vmcnt(4)
	ds_write2_b64 v19, v[7:8], v[9:10] offset0:4 offset1:6
	s_waitcnt vmcnt(2)
	ds_write2_b64 v19, v[11:12], v[13:14] offset1:2
	s_waitcnt vmcnt(0)
	ds_write2_b64 v19, v[15:16], v[17:18] offset0:8 offset1:10
	s_waitcnt lgkmcnt(0)
	; wave barrier
	s_and_saveexec_b64 s[0:1], vcc
	s_cbranch_execz .LBB96_2
; %bb.1:
	ds_read_b128 v[7:10], v4 offset:32
	ds_read_b128 v[11:14], v4 offset:16
	ds_read_b128 v[15:18], v4
	ds_read_b128 v[19:22], v4 offset:48
	s_waitcnt lgkmcnt(2)
	v_fma_f64 v[31:32], -v[9:10], v[11:12], 1.0
	v_div_scale_f64 v[23:24], s[2:3], v[31:32], v[31:32], 1.0
	v_rcp_f64_e32 v[25:26], v[23:24]
	v_fma_f64 v[27:28], -v[23:24], v[25:26], 1.0
	v_fma_f64 v[25:26], v[25:26], v[27:28], v[25:26]
	v_div_scale_f64 v[27:28], vcc, 1.0, v[31:32], 1.0
	v_fma_f64 v[29:30], -v[23:24], v[25:26], 1.0
	v_fma_f64 v[25:26], v[25:26], v[29:30], v[25:26]
	v_mul_f64 v[29:30], v[27:28], v[25:26]
	v_fma_f64 v[23:24], -v[23:24], v[29:30], v[27:28]
	v_div_fmas_f64 v[33:34], v[23:24], v[25:26], v[29:30]
	ds_read_b128 v[23:26], v4 offset:80
	ds_read_b128 v[27:30], v4 offset:64
	s_waitcnt lgkmcnt(0)
	v_fma_f64 v[35:36], -v[9:10], v[23:24], v[29:30]
	v_mul_f64 v[9:10], v[9:10], v[19:20]
	v_fma_f64 v[23:24], -v[11:12], v[29:30], v[23:24]
	v_mul_f64 v[11:12], v[11:12], v[17:18]
	v_div_fixup_f64 v[37:38], v[33:34], v[31:32], 1.0
	v_mul_f64 v[33:34], v[35:36], v[37:38]
	v_mul_f64 v[9:10], v[9:10], -v[37:38]
	v_mul_f64 v[29:30], v[37:38], v[17:18]
	v_mul_f64 v[23:24], v[37:38], v[23:24]
	v_mul_f64 v[11:12], v[11:12], -v[37:38]
	v_fma_f64 v[31:32], -v[33:34], v[15:16], v[27:28]
	v_fma_f64 v[7:8], -v[15:16], v[9:10], v[7:8]
	v_mul_f64 v[27:28], v[29:30], -v[15:16]
	v_mul_f64 v[15:16], v[37:38], v[19:20]
	v_fma_f64 v[25:26], -v[23:24], v[21:22], v[25:26]
	v_fma_f64 v[13:14], -v[21:22], v[11:12], v[13:14]
	v_mul_f64 v[17:18], v[15:16], -v[21:22]
	ds_write_b128 v4, v[31:34] offset:64
	ds_write_b128 v4, v[23:26] offset:80
	ds_write_b128 v4, v[7:10] offset:32
	ds_write_b128 v4, v[27:30]
	ds_write_b128 v4, v[11:14] offset:16
	ds_write_b128 v4, v[15:18] offset:48
.LBB96_2:
	s_or_b64 exec, exec, s[0:1]
	s_waitcnt lgkmcnt(0)
	; wave barrier
	ds_read2_b64 v[7:10], v3 offset1:2
	s_waitcnt lgkmcnt(0)
	global_store_dwordx2 v[1:2], v[7:8], off
	global_store_dwordx2 v[5:6], v[9:10], off
	s_endpgm
	.section	.rodata,"a",@progbits
	.p2align	6, 0x0
	.amdhsa_kernel _ZN9rocsparseL34gtsv_solve_spike_grid_level_kernelILj2EdEEviiiPT0_PKS1_S4_
		.amdhsa_group_segment_fixed_size 96
		.amdhsa_private_segment_fixed_size 0
		.amdhsa_kernarg_size 40
		.amdhsa_user_sgpr_count 6
		.amdhsa_user_sgpr_private_segment_buffer 1
		.amdhsa_user_sgpr_dispatch_ptr 0
		.amdhsa_user_sgpr_queue_ptr 0
		.amdhsa_user_sgpr_kernarg_segment_ptr 1
		.amdhsa_user_sgpr_dispatch_id 0
		.amdhsa_user_sgpr_flat_scratch_init 0
		.amdhsa_user_sgpr_private_segment_size 0
		.amdhsa_uses_dynamic_stack 0
		.amdhsa_system_sgpr_private_segment_wavefront_offset 0
		.amdhsa_system_sgpr_workgroup_id_x 1
		.amdhsa_system_sgpr_workgroup_id_y 1
		.amdhsa_system_sgpr_workgroup_id_z 0
		.amdhsa_system_sgpr_workgroup_info 0
		.amdhsa_system_vgpr_workitem_id 0
		.amdhsa_next_free_vgpr 39
		.amdhsa_next_free_sgpr 10
		.amdhsa_reserve_vcc 1
		.amdhsa_reserve_flat_scratch 0
		.amdhsa_float_round_mode_32 0
		.amdhsa_float_round_mode_16_64 0
		.amdhsa_float_denorm_mode_32 3
		.amdhsa_float_denorm_mode_16_64 3
		.amdhsa_dx10_clamp 1
		.amdhsa_ieee_mode 1
		.amdhsa_fp16_overflow 0
		.amdhsa_exception_fp_ieee_invalid_op 0
		.amdhsa_exception_fp_denorm_src 0
		.amdhsa_exception_fp_ieee_div_zero 0
		.amdhsa_exception_fp_ieee_overflow 0
		.amdhsa_exception_fp_ieee_underflow 0
		.amdhsa_exception_fp_ieee_inexact 0
		.amdhsa_exception_int_div_zero 0
	.end_amdhsa_kernel
	.section	.text._ZN9rocsparseL34gtsv_solve_spike_grid_level_kernelILj2EdEEviiiPT0_PKS1_S4_,"axG",@progbits,_ZN9rocsparseL34gtsv_solve_spike_grid_level_kernelILj2EdEEviiiPT0_PKS1_S4_,comdat
.Lfunc_end96:
	.size	_ZN9rocsparseL34gtsv_solve_spike_grid_level_kernelILj2EdEEviiiPT0_PKS1_S4_, .Lfunc_end96-_ZN9rocsparseL34gtsv_solve_spike_grid_level_kernelILj2EdEEviiiPT0_PKS1_S4_
                                        ; -- End function
	.set _ZN9rocsparseL34gtsv_solve_spike_grid_level_kernelILj2EdEEviiiPT0_PKS1_S4_.num_vgpr, 39
	.set _ZN9rocsparseL34gtsv_solve_spike_grid_level_kernelILj2EdEEviiiPT0_PKS1_S4_.num_agpr, 0
	.set _ZN9rocsparseL34gtsv_solve_spike_grid_level_kernelILj2EdEEviiiPT0_PKS1_S4_.numbered_sgpr, 10
	.set _ZN9rocsparseL34gtsv_solve_spike_grid_level_kernelILj2EdEEviiiPT0_PKS1_S4_.num_named_barrier, 0
	.set _ZN9rocsparseL34gtsv_solve_spike_grid_level_kernelILj2EdEEviiiPT0_PKS1_S4_.private_seg_size, 0
	.set _ZN9rocsparseL34gtsv_solve_spike_grid_level_kernelILj2EdEEviiiPT0_PKS1_S4_.uses_vcc, 1
	.set _ZN9rocsparseL34gtsv_solve_spike_grid_level_kernelILj2EdEEviiiPT0_PKS1_S4_.uses_flat_scratch, 0
	.set _ZN9rocsparseL34gtsv_solve_spike_grid_level_kernelILj2EdEEviiiPT0_PKS1_S4_.has_dyn_sized_stack, 0
	.set _ZN9rocsparseL34gtsv_solve_spike_grid_level_kernelILj2EdEEviiiPT0_PKS1_S4_.has_recursion, 0
	.set _ZN9rocsparseL34gtsv_solve_spike_grid_level_kernelILj2EdEEviiiPT0_PKS1_S4_.has_indirect_call, 0
	.section	.AMDGPU.csdata,"",@progbits
; Kernel info:
; codeLenInByte = 544
; TotalNumSgprs: 14
; NumVgprs: 39
; ScratchSize: 0
; MemoryBound: 1
; FloatMode: 240
; IeeeMode: 1
; LDSByteSize: 96 bytes/workgroup (compile time only)
; SGPRBlocks: 1
; VGPRBlocks: 9
; NumSGPRsForWavesPerEU: 14
; NumVGPRsForWavesPerEU: 39
; Occupancy: 6
; WaveLimiterHint : 1
; COMPUTE_PGM_RSRC2:SCRATCH_EN: 0
; COMPUTE_PGM_RSRC2:USER_SGPR: 6
; COMPUTE_PGM_RSRC2:TRAP_HANDLER: 0
; COMPUTE_PGM_RSRC2:TGID_X_EN: 1
; COMPUTE_PGM_RSRC2:TGID_Y_EN: 1
; COMPUTE_PGM_RSRC2:TGID_Z_EN: 0
; COMPUTE_PGM_RSRC2:TIDIG_COMP_CNT: 0
	.section	.text._ZN9rocsparseL34gtsv_solve_spike_grid_level_kernelILj4EdEEviiiPT0_PKS1_S4_,"axG",@progbits,_ZN9rocsparseL34gtsv_solve_spike_grid_level_kernelILj4EdEEviiiPT0_PKS1_S4_,comdat
	.globl	_ZN9rocsparseL34gtsv_solve_spike_grid_level_kernelILj4EdEEviiiPT0_PKS1_S4_ ; -- Begin function _ZN9rocsparseL34gtsv_solve_spike_grid_level_kernelILj4EdEEviiiPT0_PKS1_S4_
	.p2align	8
	.type	_ZN9rocsparseL34gtsv_solve_spike_grid_level_kernelILj4EdEEviiiPT0_PKS1_S4_,@function
_ZN9rocsparseL34gtsv_solve_spike_grid_level_kernelILj4EdEEviiiPT0_PKS1_S4_: ; @_ZN9rocsparseL34gtsv_solve_spike_grid_level_kernelILj4EdEEviiiPT0_PKS1_S4_
; %bb.0:
	s_load_dwordx4 s[0:3], s[4:5], 0x10
	s_load_dwordx2 s[8:9], s[4:5], 0x20
	v_lshl_or_b32 v3, s7, 3, v0
	v_mov_b32_e32 v4, 0
	v_lshlrev_b64 v[1:2], 3, v[3:4]
	v_or_b32_e32 v3, 4, v3
	s_waitcnt lgkmcnt(0)
	v_mov_b32_e32 v5, s1
	v_add_co_u32_e32 v1, vcc, s0, v1
	v_lshlrev_b64 v[3:4], 3, v[3:4]
	v_addc_co_u32_e32 v2, vcc, v5, v2, vcc
	v_lshlrev_b32_e32 v6, 3, v0
	v_add_co_u32_e32 v3, vcc, s0, v3
	global_load_dwordx2 v[7:8], v6, s[2:3]
	global_load_dwordx2 v[9:10], v6, s[2:3] offset:32
	global_load_dwordx2 v[11:12], v6, s[8:9]
	global_load_dwordx2 v[13:14], v6, s[8:9] offset:32
	v_addc_co_u32_e32 v4, vcc, v5, v4, vcc
	global_load_dwordx2 v[15:16], v[1:2], off
	global_load_dwordx2 v[17:18], v[3:4], off
	v_or_b32_e32 v5, 0x80, v6
	v_cmp_gt_u32_e64 s[0:1], 2, v0
	s_waitcnt vmcnt(4)
	ds_write2_b64 v6, v[7:8], v[9:10] offset0:8 offset1:12
	s_waitcnt vmcnt(2)
	ds_write2_b64 v6, v[11:12], v[13:14] offset1:4
	s_waitcnt vmcnt(0)
	ds_write2_b64 v6, v[15:16], v[17:18] offset0:16 offset1:20
	s_waitcnt lgkmcnt(0)
	; wave barrier
	s_and_saveexec_b64 s[2:3], s[0:1]
	s_cbranch_execz .LBB97_2
; %bb.1:
	v_or_b32_e32 v7, 64, v6
	v_add_u32_e32 v39, v7, v6
	v_add_u32_e32 v40, v6, v6
	ds_read_b128 v[7:10], v39
	ds_read_b128 v[11:14], v40 offset:32
	ds_read_b128 v[15:18], v40
	ds_read_b128 v[19:22], v39 offset:32
	v_add_u32_e32 v6, v5, v6
	s_waitcnt lgkmcnt(2)
	v_fma_f64 v[31:32], -v[9:10], v[11:12], 1.0
	v_div_scale_f64 v[23:24], s[4:5], v[31:32], v[31:32], 1.0
	v_rcp_f64_e32 v[25:26], v[23:24]
	v_fma_f64 v[27:28], -v[23:24], v[25:26], 1.0
	v_fma_f64 v[25:26], v[25:26], v[27:28], v[25:26]
	v_div_scale_f64 v[27:28], vcc, 1.0, v[31:32], 1.0
	v_fma_f64 v[29:30], -v[23:24], v[25:26], 1.0
	v_fma_f64 v[25:26], v[25:26], v[29:30], v[25:26]
	v_mul_f64 v[29:30], v[27:28], v[25:26]
	v_fma_f64 v[23:24], -v[23:24], v[29:30], v[27:28]
	v_div_fmas_f64 v[33:34], v[23:24], v[25:26], v[29:30]
	ds_read_b128 v[23:26], v6
	ds_read_b128 v[27:30], v6 offset:32
	s_waitcnt lgkmcnt(0)
	v_fma_f64 v[35:36], -v[9:10], v[27:28], v[25:26]
	v_fma_f64 v[25:26], -v[11:12], v[25:26], v[27:28]
	v_mul_f64 v[9:10], v[9:10], v[19:20]
	v_mul_f64 v[11:12], v[11:12], v[17:18]
	v_div_fixup_f64 v[37:38], v[33:34], v[31:32], 1.0
	v_mul_f64 v[33:34], v[35:36], v[37:38]
	v_mul_f64 v[9:10], v[9:10], -v[37:38]
	v_mul_f64 v[11:12], v[11:12], -v[37:38]
	v_fma_f64 v[31:32], -v[33:34], v[15:16], v[23:24]
	v_mul_f64 v[23:24], v[37:38], v[25:26]
	v_fma_f64 v[7:8], -v[9:10], v[15:16], v[7:8]
	v_fma_f64 v[13:14], -v[11:12], v[21:22], v[13:14]
	;; [unrolled: 1-line block ×3, first 2 shown]
	v_mul_f64 v[29:30], v[37:38], v[17:18]
	v_mul_f64 v[27:28], v[29:30], -v[15:16]
	v_mul_f64 v[15:16], v[37:38], v[19:20]
	v_mul_f64 v[17:18], v[15:16], -v[21:22]
	ds_write_b128 v6, v[31:34]
	ds_write_b128 v6, v[23:26] offset:32
	ds_write_b128 v39, v[7:10]
	ds_write_b128 v40, v[27:30]
	ds_write_b128 v40, v[11:14] offset:32
	ds_write_b128 v39, v[15:18] offset:32
.LBB97_2:
	s_or_b64 exec, exec, s[2:3]
	v_cmp_eq_u32_e64 s[2:3], 0, v0
	s_waitcnt lgkmcnt(0)
	; wave barrier
	s_and_saveexec_b64 s[4:5], s[2:3]
	s_cbranch_execz .LBB97_4
; %bb.3:
	v_mov_b32_e32 v30, 0
	ds_read2_b64 v[6:9], v30 offset0:5 offset1:10
	s_waitcnt lgkmcnt(0)
	v_fma_f64 v[22:23], -v[8:9], v[6:7], 1.0
	v_div_scale_f64 v[10:11], s[6:7], v[22:23], v[22:23], 1.0
	v_rcp_f64_e32 v[12:13], v[10:11]
	v_fma_f64 v[14:15], -v[10:11], v[12:13], 1.0
	v_fma_f64 v[12:13], v[12:13], v[14:15], v[12:13]
	v_div_scale_f64 v[14:15], vcc, 1.0, v[22:23], 1.0
	v_fma_f64 v[16:17], -v[10:11], v[12:13], 1.0
	v_fma_f64 v[12:13], v[12:13], v[16:17], v[12:13]
	v_mul_f64 v[16:17], v[14:15], v[12:13]
	v_fma_f64 v[10:11], -v[10:11], v[16:17], v[14:15]
	v_div_fmas_f64 v[24:25], v[10:11], v[12:13], v[16:17]
	ds_read2_b64 v[10:13], v30 offset0:21 offset1:23
	ds_read2_b64 v[14:17], v30 offset0:13 offset1:18
	ds_read2_b64 v[18:21], v30 offset1:2
	s_waitcnt lgkmcnt(1)
	v_fma_f64 v[26:27], -v[6:7], v[16:17], v[10:11]
	v_fma_f64 v[10:11], -v[8:9], v[10:11], v[16:17]
	s_waitcnt lgkmcnt(0)
	v_mul_f64 v[16:17], v[6:7], v[20:21]
	v_div_fixup_f64 v[22:23], v[24:25], v[22:23], 1.0
	v_mul_f64 v[24:25], v[8:9], v[14:15]
	ds_read2_b64 v[6:9], v30 offset0:15 offset1:16
	v_mul_f64 v[26:27], v[22:23], v[26:27]
	v_mul_f64 v[10:11], v[10:11], v[22:23]
	v_mul_f64 v[24:25], v[24:25], -v[22:23]
	v_mul_f64 v[20:21], v[22:23], v[20:21]
	v_mul_f64 v[28:29], v[16:17], -v[22:23]
	v_mul_f64 v[22:23], v[22:23], v[14:15]
	ds_read2_b64 v[14:17], v30 offset0:7 offset1:8
	s_waitcnt lgkmcnt(1)
	v_fma_f64 v[12:13], -v[6:7], v[26:27], v[12:13]
	v_fma_f64 v[8:9], -v[10:11], v[18:19], v[8:9]
	s_waitcnt lgkmcnt(0)
	v_fma_f64 v[16:17], -v[24:25], v[18:19], v[16:17]
	v_mul_f64 v[18:19], v[20:21], -v[18:19]
	v_fma_f64 v[14:15], -v[28:29], v[6:7], v[14:15]
	v_mul_f64 v[6:7], v[22:23], -v[6:7]
	ds_write2_b64 v30, v[28:29], v[24:25] offset0:5 offset1:10
	ds_write2_b64 v30, v[22:23], v[10:11] offset0:13 offset1:18
	;; [unrolled: 1-line block ×3, first 2 shown]
	ds_write2_b64 v30, v[18:19], v[20:21] offset1:2
	ds_write2_b64 v30, v[14:15], v[16:17] offset0:7 offset1:8
	ds_write2_b64 v30, v[6:7], v[8:9] offset0:15 offset1:16
.LBB97_4:
	s_or_b64 exec, exec, s[4:5]
	s_waitcnt lgkmcnt(0)
	; wave barrier
	s_and_saveexec_b64 s[4:5], s[0:1]
	s_cbranch_execz .LBB97_6
; %bb.5:
	v_lshlrev_b32_e32 v6, 1, v0
	v_lshlrev_b32_e32 v0, 4, v0
	v_max_u32_e32 v6, 1, v6
	v_lshlrev_b32_e32 v18, 3, v6
	ds_read2_b64 v[6:9], v0 offset0:17 offset1:20
	ds_read2_b64 v[10:13], v0 offset0:9 offset1:12
	ds_read_b64 v[14:15], v18 offset:152
	v_mov_b32_e32 v16, 0x98
	v_mov_b32_e32 v17, 0x90
	v_cndmask_b32_e64 v19, v16, v17, s[2:3]
	ds_read_b64 v[16:17], v19
	s_waitcnt lgkmcnt(1)
	v_fma_f64 v[8:9], -v[12:13], v[14:15], v[8:9]
	ds_read2_b64 v[12:15], v0 offset0:1 offset1:4
	s_waitcnt lgkmcnt(0)
	v_fma_f64 v[8:9], -v[14:15], v[16:17], v[8:9]
	ds_write_b64 v0, v[8:9] offset:160
	ds_read_b64 v[8:9], v18 offset:152
	s_waitcnt lgkmcnt(0)
	v_fma_f64 v[6:7], -v[10:11], v[8:9], v[6:7]
	ds_write_b64 v0, v[6:7] offset:136
	ds_read_b64 v[8:9], v19
	s_waitcnt lgkmcnt(0)
	v_fma_f64 v[6:7], -v[12:13], v[8:9], v[6:7]
	ds_write_b64 v0, v[6:7] offset:136
.LBB97_6:
	s_or_b64 exec, exec, s[4:5]
	s_waitcnt lgkmcnt(0)
	; wave barrier
	ds_read2_b64 v[5:8], v5 offset1:4
	s_waitcnt lgkmcnt(0)
	global_store_dwordx2 v[1:2], v[5:6], off
	global_store_dwordx2 v[3:4], v[7:8], off
	s_endpgm
	.section	.rodata,"a",@progbits
	.p2align	6, 0x0
	.amdhsa_kernel _ZN9rocsparseL34gtsv_solve_spike_grid_level_kernelILj4EdEEviiiPT0_PKS1_S4_
		.amdhsa_group_segment_fixed_size 192
		.amdhsa_private_segment_fixed_size 0
		.amdhsa_kernarg_size 40
		.amdhsa_user_sgpr_count 6
		.amdhsa_user_sgpr_private_segment_buffer 1
		.amdhsa_user_sgpr_dispatch_ptr 0
		.amdhsa_user_sgpr_queue_ptr 0
		.amdhsa_user_sgpr_kernarg_segment_ptr 1
		.amdhsa_user_sgpr_dispatch_id 0
		.amdhsa_user_sgpr_flat_scratch_init 0
		.amdhsa_user_sgpr_private_segment_size 0
		.amdhsa_uses_dynamic_stack 0
		.amdhsa_system_sgpr_private_segment_wavefront_offset 0
		.amdhsa_system_sgpr_workgroup_id_x 1
		.amdhsa_system_sgpr_workgroup_id_y 1
		.amdhsa_system_sgpr_workgroup_id_z 0
		.amdhsa_system_sgpr_workgroup_info 0
		.amdhsa_system_vgpr_workitem_id 0
		.amdhsa_next_free_vgpr 41
		.amdhsa_next_free_sgpr 10
		.amdhsa_reserve_vcc 1
		.amdhsa_reserve_flat_scratch 0
		.amdhsa_float_round_mode_32 0
		.amdhsa_float_round_mode_16_64 0
		.amdhsa_float_denorm_mode_32 3
		.amdhsa_float_denorm_mode_16_64 3
		.amdhsa_dx10_clamp 1
		.amdhsa_ieee_mode 1
		.amdhsa_fp16_overflow 0
		.amdhsa_exception_fp_ieee_invalid_op 0
		.amdhsa_exception_fp_denorm_src 0
		.amdhsa_exception_fp_ieee_div_zero 0
		.amdhsa_exception_fp_ieee_overflow 0
		.amdhsa_exception_fp_ieee_underflow 0
		.amdhsa_exception_fp_ieee_inexact 0
		.amdhsa_exception_int_div_zero 0
	.end_amdhsa_kernel
	.section	.text._ZN9rocsparseL34gtsv_solve_spike_grid_level_kernelILj4EdEEviiiPT0_PKS1_S4_,"axG",@progbits,_ZN9rocsparseL34gtsv_solve_spike_grid_level_kernelILj4EdEEviiiPT0_PKS1_S4_,comdat
.Lfunc_end97:
	.size	_ZN9rocsparseL34gtsv_solve_spike_grid_level_kernelILj4EdEEviiiPT0_PKS1_S4_, .Lfunc_end97-_ZN9rocsparseL34gtsv_solve_spike_grid_level_kernelILj4EdEEviiiPT0_PKS1_S4_
                                        ; -- End function
	.set _ZN9rocsparseL34gtsv_solve_spike_grid_level_kernelILj4EdEEviiiPT0_PKS1_S4_.num_vgpr, 41
	.set _ZN9rocsparseL34gtsv_solve_spike_grid_level_kernelILj4EdEEviiiPT0_PKS1_S4_.num_agpr, 0
	.set _ZN9rocsparseL34gtsv_solve_spike_grid_level_kernelILj4EdEEviiiPT0_PKS1_S4_.numbered_sgpr, 10
	.set _ZN9rocsparseL34gtsv_solve_spike_grid_level_kernelILj4EdEEviiiPT0_PKS1_S4_.num_named_barrier, 0
	.set _ZN9rocsparseL34gtsv_solve_spike_grid_level_kernelILj4EdEEviiiPT0_PKS1_S4_.private_seg_size, 0
	.set _ZN9rocsparseL34gtsv_solve_spike_grid_level_kernelILj4EdEEviiiPT0_PKS1_S4_.uses_vcc, 1
	.set _ZN9rocsparseL34gtsv_solve_spike_grid_level_kernelILj4EdEEviiiPT0_PKS1_S4_.uses_flat_scratch, 0
	.set _ZN9rocsparseL34gtsv_solve_spike_grid_level_kernelILj4EdEEviiiPT0_PKS1_S4_.has_dyn_sized_stack, 0
	.set _ZN9rocsparseL34gtsv_solve_spike_grid_level_kernelILj4EdEEviiiPT0_PKS1_S4_.has_recursion, 0
	.set _ZN9rocsparseL34gtsv_solve_spike_grid_level_kernelILj4EdEEviiiPT0_PKS1_S4_.has_indirect_call, 0
	.section	.AMDGPU.csdata,"",@progbits
; Kernel info:
; codeLenInByte = 1116
; TotalNumSgprs: 14
; NumVgprs: 41
; ScratchSize: 0
; MemoryBound: 1
; FloatMode: 240
; IeeeMode: 1
; LDSByteSize: 192 bytes/workgroup (compile time only)
; SGPRBlocks: 1
; VGPRBlocks: 10
; NumSGPRsForWavesPerEU: 14
; NumVGPRsForWavesPerEU: 41
; Occupancy: 5
; WaveLimiterHint : 1
; COMPUTE_PGM_RSRC2:SCRATCH_EN: 0
; COMPUTE_PGM_RSRC2:USER_SGPR: 6
; COMPUTE_PGM_RSRC2:TRAP_HANDLER: 0
; COMPUTE_PGM_RSRC2:TGID_X_EN: 1
; COMPUTE_PGM_RSRC2:TGID_Y_EN: 1
; COMPUTE_PGM_RSRC2:TGID_Z_EN: 0
; COMPUTE_PGM_RSRC2:TIDIG_COMP_CNT: 0
	.section	.text._ZN9rocsparseL34gtsv_solve_spike_grid_level_kernelILj8EdEEviiiPT0_PKS1_S4_,"axG",@progbits,_ZN9rocsparseL34gtsv_solve_spike_grid_level_kernelILj8EdEEviiiPT0_PKS1_S4_,comdat
	.globl	_ZN9rocsparseL34gtsv_solve_spike_grid_level_kernelILj8EdEEviiiPT0_PKS1_S4_ ; -- Begin function _ZN9rocsparseL34gtsv_solve_spike_grid_level_kernelILj8EdEEviiiPT0_PKS1_S4_
	.p2align	8
	.type	_ZN9rocsparseL34gtsv_solve_spike_grid_level_kernelILj8EdEEviiiPT0_PKS1_S4_,@function
_ZN9rocsparseL34gtsv_solve_spike_grid_level_kernelILj8EdEEviiiPT0_PKS1_S4_: ; @_ZN9rocsparseL34gtsv_solve_spike_grid_level_kernelILj8EdEEviiiPT0_PKS1_S4_
; %bb.0:
	s_load_dwordx4 s[0:3], s[4:5], 0x10
	s_load_dwordx2 s[8:9], s[4:5], 0x20
	v_lshl_or_b32 v3, s7, 4, v0
	v_mov_b32_e32 v4, 0
	v_lshlrev_b64 v[1:2], 3, v[3:4]
	v_or_b32_e32 v3, 8, v3
	s_waitcnt lgkmcnt(0)
	v_mov_b32_e32 v5, s1
	v_add_co_u32_e32 v1, vcc, s0, v1
	v_lshlrev_b64 v[3:4], 3, v[3:4]
	v_addc_co_u32_e32 v2, vcc, v5, v2, vcc
	v_lshlrev_b32_e32 v6, 3, v0
	v_add_co_u32_e32 v3, vcc, s0, v3
	global_load_dwordx2 v[7:8], v6, s[2:3]
	global_load_dwordx2 v[9:10], v6, s[2:3] offset:64
	global_load_dwordx2 v[11:12], v6, s[8:9]
	global_load_dwordx2 v[13:14], v6, s[8:9] offset:64
	v_addc_co_u32_e32 v4, vcc, v5, v4, vcc
	global_load_dwordx2 v[15:16], v[1:2], off
	global_load_dwordx2 v[17:18], v[3:4], off
	v_or_b32_e32 v5, 0x100, v6
	v_cmp_gt_u32_e64 s[0:1], 4, v0
	s_waitcnt vmcnt(4)
	ds_write2_b64 v6, v[7:8], v[9:10] offset0:16 offset1:24
	s_waitcnt vmcnt(2)
	ds_write2_b64 v6, v[11:12], v[13:14] offset1:8
	s_waitcnt vmcnt(0)
	ds_write2_b64 v6, v[15:16], v[17:18] offset0:32 offset1:40
	s_waitcnt lgkmcnt(0)
	; wave barrier
	s_and_saveexec_b64 s[2:3], s[0:1]
	s_cbranch_execz .LBB98_2
; %bb.1:
	v_or_b32_e32 v7, 0x80, v6
	v_add_u32_e32 v39, v7, v6
	v_add_u32_e32 v40, v6, v6
	ds_read_b128 v[7:10], v39
	ds_read_b128 v[11:14], v40 offset:64
	ds_read_b128 v[15:18], v40
	ds_read_b128 v[19:22], v39 offset:64
	v_add_u32_e32 v41, v5, v6
	s_waitcnt lgkmcnt(2)
	v_fma_f64 v[31:32], -v[9:10], v[11:12], 1.0
	v_div_scale_f64 v[23:24], s[4:5], v[31:32], v[31:32], 1.0
	v_rcp_f64_e32 v[25:26], v[23:24]
	v_fma_f64 v[27:28], -v[23:24], v[25:26], 1.0
	v_fma_f64 v[25:26], v[25:26], v[27:28], v[25:26]
	v_div_scale_f64 v[27:28], vcc, 1.0, v[31:32], 1.0
	v_fma_f64 v[29:30], -v[23:24], v[25:26], 1.0
	v_fma_f64 v[25:26], v[25:26], v[29:30], v[25:26]
	v_mul_f64 v[29:30], v[27:28], v[25:26]
	v_fma_f64 v[23:24], -v[23:24], v[29:30], v[27:28]
	v_div_fmas_f64 v[33:34], v[23:24], v[25:26], v[29:30]
	ds_read_b128 v[23:26], v41 offset:64
	ds_read_b128 v[27:30], v41
	s_waitcnt lgkmcnt(0)
	v_fma_f64 v[35:36], -v[9:10], v[23:24], v[29:30]
	v_mul_f64 v[9:10], v[9:10], v[19:20]
	v_fma_f64 v[23:24], -v[11:12], v[29:30], v[23:24]
	v_mul_f64 v[11:12], v[11:12], v[17:18]
	v_div_fixup_f64 v[37:38], v[33:34], v[31:32], 1.0
	v_mul_f64 v[33:34], v[35:36], v[37:38]
	v_mul_f64 v[9:10], v[9:10], -v[37:38]
	v_mul_f64 v[29:30], v[37:38], v[17:18]
	v_mul_f64 v[23:24], v[37:38], v[23:24]
	v_mul_f64 v[11:12], v[11:12], -v[37:38]
	v_fma_f64 v[31:32], -v[33:34], v[15:16], v[27:28]
	v_fma_f64 v[7:8], -v[9:10], v[15:16], v[7:8]
	v_mul_f64 v[27:28], v[29:30], -v[15:16]
	v_mul_f64 v[15:16], v[37:38], v[19:20]
	v_fma_f64 v[25:26], -v[21:22], v[23:24], v[25:26]
	v_fma_f64 v[13:14], -v[11:12], v[21:22], v[13:14]
	v_mul_f64 v[17:18], v[15:16], -v[21:22]
	ds_write_b128 v41, v[31:34]
	ds_write_b128 v41, v[23:26] offset:64
	ds_write_b128 v39, v[7:10]
	ds_write_b128 v40, v[27:30]
	ds_write_b128 v40, v[11:14] offset:64
	ds_write_b128 v39, v[15:18] offset:64
.LBB98_2:
	s_or_b64 exec, exec, s[2:3]
	v_cmp_gt_u32_e64 s[2:3], 2, v0
	v_lshlrev_b32_e32 v7, 5, v0
	s_waitcnt lgkmcnt(0)
	; wave barrier
	s_and_saveexec_b64 s[4:5], s[2:3]
	s_cbranch_execz .LBB98_4
; %bb.3:
	v_mad_u32_u24 v6, v0, 24, v6
	ds_read2_b64 v[8:11], v7 offset0:16 offset1:18
	ds_read2_b64 v[12:15], v6 offset0:9 offset1:11
	v_mad_u32_u24 v38, v0, 24, v5
	s_waitcnt lgkmcnt(0)
	v_fma_f64 v[32:33], -v[10:11], v[12:13], 1.0
	v_div_scale_f64 v[16:17], s[6:7], v[32:33], v[32:33], 1.0
	v_rcp_f64_e32 v[18:19], v[16:17]
	v_fma_f64 v[20:21], -v[16:17], v[18:19], 1.0
	v_fma_f64 v[18:19], v[18:19], v[20:21], v[18:19]
	v_div_scale_f64 v[20:21], vcc, 1.0, v[32:33], 1.0
	v_fma_f64 v[22:23], -v[16:17], v[18:19], 1.0
	v_fma_f64 v[18:19], v[18:19], v[22:23], v[18:19]
	v_mul_f64 v[22:23], v[20:21], v[18:19]
	v_fma_f64 v[16:17], -v[16:17], v[22:23], v[20:21]
	v_div_fmas_f64 v[34:35], v[16:17], v[18:19], v[22:23]
	ds_read2_b64 v[16:19], v38 offset0:9 offset1:11
	ds_read2_b64 v[20:23], v38 offset1:2
	ds_read2_b64 v[24:27], v7 offset0:25 offset1:27
	ds_read2_b64 v[28:31], v6 offset1:2
	s_waitcnt lgkmcnt(2)
	v_fma_f64 v[36:37], -v[10:11], v[16:17], v[22:23]
	v_fma_f64 v[16:17], -v[12:13], v[22:23], v[16:17]
	s_waitcnt lgkmcnt(1)
	v_mul_f64 v[10:11], v[10:11], v[24:25]
	s_waitcnt lgkmcnt(0)
	v_mul_f64 v[12:13], v[12:13], v[30:31]
	v_div_fixup_f64 v[32:33], v[34:35], v[32:33], 1.0
	v_mul_f64 v[22:23], v[36:37], v[32:33]
	v_mul_f64 v[16:17], v[32:33], v[16:17]
	v_mul_f64 v[10:11], v[10:11], -v[32:33]
	v_mul_f64 v[30:31], v[32:33], v[30:31]
	v_mul_f64 v[12:13], v[12:13], -v[32:33]
	v_mul_f64 v[24:25], v[32:33], v[24:25]
	v_fma_f64 v[20:21], -v[22:23], v[28:29], v[20:21]
	v_fma_f64 v[18:19], -v[26:27], v[16:17], v[18:19]
	;; [unrolled: 1-line block ×3, first 2 shown]
	v_mul_f64 v[28:29], v[30:31], -v[28:29]
	v_fma_f64 v[14:15], -v[12:13], v[26:27], v[14:15]
	v_mul_f64 v[26:27], v[24:25], -v[26:27]
	ds_write2_b64 v38, v[20:21], v[22:23] offset1:2
	ds_write2_b64 v38, v[16:17], v[18:19] offset0:9 offset1:11
	ds_write2_b64 v7, v[8:9], v[10:11] offset0:16 offset1:18
	ds_write2_b64 v6, v[28:29], v[30:31] offset1:2
	ds_write2_b64 v6, v[12:13], v[14:15] offset0:9 offset1:11
	ds_write2_b64 v7, v[24:25], v[26:27] offset0:25 offset1:27
.LBB98_4:
	s_or_b64 exec, exec, s[4:5]
	v_cmp_eq_u32_e32 vcc, 0, v0
	s_waitcnt lgkmcnt(0)
	; wave barrier
	s_and_saveexec_b64 s[4:5], vcc
	s_cbranch_execz .LBB98_6
; %bb.5:
	v_mov_b32_e32 v6, 0
	ds_read2_b64 v[8:11], v6 offset0:11 offset1:20
	s_waitcnt lgkmcnt(0)
	v_fma_f64 v[24:25], -v[10:11], v[8:9], 1.0
	v_div_scale_f64 v[12:13], s[6:7], v[24:25], v[24:25], 1.0
	v_rcp_f64_e32 v[14:15], v[12:13]
	v_fma_f64 v[16:17], -v[12:13], v[14:15], 1.0
	v_fma_f64 v[14:15], v[14:15], v[16:17], v[14:15]
	v_div_scale_f64 v[16:17], vcc, 1.0, v[24:25], 1.0
	v_fma_f64 v[18:19], -v[12:13], v[14:15], 1.0
	v_fma_f64 v[14:15], v[14:15], v[18:19], v[14:15]
	v_mul_f64 v[18:19], v[16:17], v[14:15]
	v_fma_f64 v[12:13], -v[12:13], v[18:19], v[16:17]
	v_div_fmas_f64 v[26:27], v[12:13], v[14:15], v[18:19]
	ds_read2_b64 v[12:15], v6 offset0:43 offset1:47
	ds_read2_b64 v[16:19], v6 offset0:27 offset1:36
	ds_read2_b64 v[20:23], v6 offset1:4
	s_waitcnt lgkmcnt(1)
	v_fma_f64 v[28:29], -v[8:9], v[18:19], v[12:13]
	v_fma_f64 v[12:13], -v[10:11], v[12:13], v[18:19]
	s_waitcnt lgkmcnt(0)
	v_mul_f64 v[18:19], v[8:9], v[22:23]
	v_div_fixup_f64 v[24:25], v[26:27], v[24:25], 1.0
	v_mul_f64 v[26:27], v[10:11], v[16:17]
	ds_read2_b64 v[8:11], v6 offset0:31 offset1:32
	v_mul_f64 v[28:29], v[24:25], v[28:29]
	v_mul_f64 v[12:13], v[12:13], v[24:25]
	v_mul_f64 v[26:27], v[26:27], -v[24:25]
	v_mul_f64 v[22:23], v[24:25], v[22:23]
	v_mul_f64 v[30:31], v[18:19], -v[24:25]
	v_mul_f64 v[24:25], v[24:25], v[16:17]
	ds_read2_b64 v[16:19], v6 offset0:15 offset1:16
	s_waitcnt lgkmcnt(1)
	v_fma_f64 v[14:15], -v[8:9], v[28:29], v[14:15]
	v_fma_f64 v[10:11], -v[12:13], v[20:21], v[10:11]
	s_waitcnt lgkmcnt(0)
	v_fma_f64 v[18:19], -v[26:27], v[20:21], v[18:19]
	v_mul_f64 v[20:21], v[22:23], -v[20:21]
	v_fma_f64 v[16:17], -v[30:31], v[8:9], v[16:17]
	v_mul_f64 v[8:9], v[24:25], -v[8:9]
	ds_write2_b64 v6, v[30:31], v[26:27] offset0:11 offset1:20
	ds_write2_b64 v6, v[24:25], v[12:13] offset0:27 offset1:36
	;; [unrolled: 1-line block ×3, first 2 shown]
	ds_write2_b64 v6, v[20:21], v[22:23] offset1:4
	ds_write2_b64 v6, v[16:17], v[18:19] offset0:15 offset1:16
	ds_write2_b64 v6, v[8:9], v[10:11] offset0:31 offset1:32
.LBB98_6:
	s_or_b64 exec, exec, s[4:5]
	s_waitcnt lgkmcnt(0)
	; wave barrier
	s_and_saveexec_b64 s[4:5], s[2:3]
	s_cbranch_execz .LBB98_8
; %bb.7:
	v_lshlrev_b32_e32 v6, 2, v0
	v_max_u32_e32 v16, 1, v6
	v_lshlrev_b32_e32 v20, 3, v16
	ds_read2_b64 v[8:11], v7 offset0:34 offset1:41
	ds_read2_b64 v[12:15], v7 offset0:18 offset1:25
	ds_read_b64 v[16:17], v20 offset:312
	v_min_u32_e32 v6, 3, v6
	v_lshlrev_b32_e32 v6, 3, v6
	ds_read_b64 v[18:19], v6 offset:288
	s_waitcnt lgkmcnt(1)
	v_fma_f64 v[10:11], -v[14:15], v[16:17], v[10:11]
	ds_read2_b64 v[14:17], v7 offset0:2 offset1:9
	s_waitcnt lgkmcnt(0)
	v_fma_f64 v[10:11], -v[16:17], v[18:19], v[10:11]
	ds_write_b64 v7, v[10:11] offset:328
	ds_read_b64 v[10:11], v20 offset:312
	s_waitcnt lgkmcnt(0)
	v_fma_f64 v[8:9], -v[12:13], v[10:11], v[8:9]
	ds_write_b64 v7, v[8:9] offset:272
	ds_read_b64 v[10:11], v6 offset:288
	s_waitcnt lgkmcnt(0)
	v_fma_f64 v[8:9], -v[14:15], v[10:11], v[8:9]
	ds_write_b64 v7, v[8:9] offset:272
.LBB98_8:
	s_or_b64 exec, exec, s[4:5]
	s_waitcnt lgkmcnt(0)
	; wave barrier
	s_and_saveexec_b64 s[2:3], s[0:1]
	s_cbranch_execz .LBB98_10
; %bb.9:
	v_lshlrev_b32_e32 v16, 1, v0
	v_max_u32_e32 v14, 1, v16
	v_lshlrev_b32_e32 v0, 4, v0
	v_lshlrev_b32_e32 v18, 3, v14
	ds_read2_b64 v[6:9], v0 offset0:33 offset1:40
	ds_read2_b64 v[10:13], v0 offset0:17 offset1:24
	ds_read_b64 v[14:15], v18 offset:312
	v_min_u32_e32 v16, 5, v16
	v_lshlrev_b32_e32 v19, 3, v16
	ds_read_b64 v[16:17], v19 offset:272
	s_waitcnt lgkmcnt(1)
	v_fma_f64 v[8:9], -v[12:13], v[14:15], v[8:9]
	ds_read2_b64 v[12:15], v0 offset0:1 offset1:8
	s_waitcnt lgkmcnt(0)
	v_fma_f64 v[8:9], -v[14:15], v[16:17], v[8:9]
	ds_write_b64 v0, v[8:9] offset:320
	ds_read_b64 v[8:9], v18 offset:312
	s_waitcnt lgkmcnt(0)
	v_fma_f64 v[6:7], -v[10:11], v[8:9], v[6:7]
	ds_write_b64 v0, v[6:7] offset:264
	ds_read_b64 v[8:9], v19 offset:272
	s_waitcnt lgkmcnt(0)
	v_fma_f64 v[6:7], -v[12:13], v[8:9], v[6:7]
	ds_write_b64 v0, v[6:7] offset:264
.LBB98_10:
	s_or_b64 exec, exec, s[2:3]
	s_waitcnt lgkmcnt(0)
	; wave barrier
	ds_read2_b64 v[5:8], v5 offset1:8
	s_waitcnt lgkmcnt(0)
	global_store_dwordx2 v[1:2], v[5:6], off
	global_store_dwordx2 v[3:4], v[7:8], off
	s_endpgm
	.section	.rodata,"a",@progbits
	.p2align	6, 0x0
	.amdhsa_kernel _ZN9rocsparseL34gtsv_solve_spike_grid_level_kernelILj8EdEEviiiPT0_PKS1_S4_
		.amdhsa_group_segment_fixed_size 384
		.amdhsa_private_segment_fixed_size 0
		.amdhsa_kernarg_size 40
		.amdhsa_user_sgpr_count 6
		.amdhsa_user_sgpr_private_segment_buffer 1
		.amdhsa_user_sgpr_dispatch_ptr 0
		.amdhsa_user_sgpr_queue_ptr 0
		.amdhsa_user_sgpr_kernarg_segment_ptr 1
		.amdhsa_user_sgpr_dispatch_id 0
		.amdhsa_user_sgpr_flat_scratch_init 0
		.amdhsa_user_sgpr_private_segment_size 0
		.amdhsa_uses_dynamic_stack 0
		.amdhsa_system_sgpr_private_segment_wavefront_offset 0
		.amdhsa_system_sgpr_workgroup_id_x 1
		.amdhsa_system_sgpr_workgroup_id_y 1
		.amdhsa_system_sgpr_workgroup_id_z 0
		.amdhsa_system_sgpr_workgroup_info 0
		.amdhsa_system_vgpr_workitem_id 0
		.amdhsa_next_free_vgpr 42
		.amdhsa_next_free_sgpr 10
		.amdhsa_reserve_vcc 1
		.amdhsa_reserve_flat_scratch 0
		.amdhsa_float_round_mode_32 0
		.amdhsa_float_round_mode_16_64 0
		.amdhsa_float_denorm_mode_32 3
		.amdhsa_float_denorm_mode_16_64 3
		.amdhsa_dx10_clamp 1
		.amdhsa_ieee_mode 1
		.amdhsa_fp16_overflow 0
		.amdhsa_exception_fp_ieee_invalid_op 0
		.amdhsa_exception_fp_denorm_src 0
		.amdhsa_exception_fp_ieee_div_zero 0
		.amdhsa_exception_fp_ieee_overflow 0
		.amdhsa_exception_fp_ieee_underflow 0
		.amdhsa_exception_fp_ieee_inexact 0
		.amdhsa_exception_int_div_zero 0
	.end_amdhsa_kernel
	.section	.text._ZN9rocsparseL34gtsv_solve_spike_grid_level_kernelILj8EdEEviiiPT0_PKS1_S4_,"axG",@progbits,_ZN9rocsparseL34gtsv_solve_spike_grid_level_kernelILj8EdEEviiiPT0_PKS1_S4_,comdat
.Lfunc_end98:
	.size	_ZN9rocsparseL34gtsv_solve_spike_grid_level_kernelILj8EdEEviiiPT0_PKS1_S4_, .Lfunc_end98-_ZN9rocsparseL34gtsv_solve_spike_grid_level_kernelILj8EdEEviiiPT0_PKS1_S4_
                                        ; -- End function
	.set _ZN9rocsparseL34gtsv_solve_spike_grid_level_kernelILj8EdEEviiiPT0_PKS1_S4_.num_vgpr, 42
	.set _ZN9rocsparseL34gtsv_solve_spike_grid_level_kernelILj8EdEEviiiPT0_PKS1_S4_.num_agpr, 0
	.set _ZN9rocsparseL34gtsv_solve_spike_grid_level_kernelILj8EdEEviiiPT0_PKS1_S4_.numbered_sgpr, 10
	.set _ZN9rocsparseL34gtsv_solve_spike_grid_level_kernelILj8EdEEviiiPT0_PKS1_S4_.num_named_barrier, 0
	.set _ZN9rocsparseL34gtsv_solve_spike_grid_level_kernelILj8EdEEviiiPT0_PKS1_S4_.private_seg_size, 0
	.set _ZN9rocsparseL34gtsv_solve_spike_grid_level_kernelILj8EdEEviiiPT0_PKS1_S4_.uses_vcc, 1
	.set _ZN9rocsparseL34gtsv_solve_spike_grid_level_kernelILj8EdEEviiiPT0_PKS1_S4_.uses_flat_scratch, 0
	.set _ZN9rocsparseL34gtsv_solve_spike_grid_level_kernelILj8EdEEviiiPT0_PKS1_S4_.has_dyn_sized_stack, 0
	.set _ZN9rocsparseL34gtsv_solve_spike_grid_level_kernelILj8EdEEviiiPT0_PKS1_S4_.has_recursion, 0
	.set _ZN9rocsparseL34gtsv_solve_spike_grid_level_kernelILj8EdEEviiiPT0_PKS1_S4_.has_indirect_call, 0
	.section	.AMDGPU.csdata,"",@progbits
; Kernel info:
; codeLenInByte = 1640
; TotalNumSgprs: 14
; NumVgprs: 42
; ScratchSize: 0
; MemoryBound: 1
; FloatMode: 240
; IeeeMode: 1
; LDSByteSize: 384 bytes/workgroup (compile time only)
; SGPRBlocks: 1
; VGPRBlocks: 10
; NumSGPRsForWavesPerEU: 14
; NumVGPRsForWavesPerEU: 42
; Occupancy: 5
; WaveLimiterHint : 1
; COMPUTE_PGM_RSRC2:SCRATCH_EN: 0
; COMPUTE_PGM_RSRC2:USER_SGPR: 6
; COMPUTE_PGM_RSRC2:TRAP_HANDLER: 0
; COMPUTE_PGM_RSRC2:TGID_X_EN: 1
; COMPUTE_PGM_RSRC2:TGID_Y_EN: 1
; COMPUTE_PGM_RSRC2:TGID_Z_EN: 0
; COMPUTE_PGM_RSRC2:TIDIG_COMP_CNT: 0
	.section	.text._ZN9rocsparseL34gtsv_solve_spike_grid_level_kernelILj16EdEEviiiPT0_PKS1_S4_,"axG",@progbits,_ZN9rocsparseL34gtsv_solve_spike_grid_level_kernelILj16EdEEviiiPT0_PKS1_S4_,comdat
	.globl	_ZN9rocsparseL34gtsv_solve_spike_grid_level_kernelILj16EdEEviiiPT0_PKS1_S4_ ; -- Begin function _ZN9rocsparseL34gtsv_solve_spike_grid_level_kernelILj16EdEEviiiPT0_PKS1_S4_
	.p2align	8
	.type	_ZN9rocsparseL34gtsv_solve_spike_grid_level_kernelILj16EdEEviiiPT0_PKS1_S4_,@function
_ZN9rocsparseL34gtsv_solve_spike_grid_level_kernelILj16EdEEviiiPT0_PKS1_S4_: ; @_ZN9rocsparseL34gtsv_solve_spike_grid_level_kernelILj16EdEEviiiPT0_PKS1_S4_
; %bb.0:
	s_load_dwordx4 s[0:3], s[4:5], 0x10
	s_load_dwordx2 s[8:9], s[4:5], 0x20
	v_lshl_or_b32 v3, s7, 5, v0
	v_mov_b32_e32 v4, 0
	v_lshlrev_b64 v[1:2], 3, v[3:4]
	v_or_b32_e32 v3, 16, v3
	s_waitcnt lgkmcnt(0)
	v_mov_b32_e32 v5, s1
	v_add_co_u32_e32 v1, vcc, s0, v1
	v_lshlrev_b64 v[3:4], 3, v[3:4]
	v_addc_co_u32_e32 v2, vcc, v5, v2, vcc
	v_lshlrev_b32_e32 v6, 3, v0
	v_add_co_u32_e32 v3, vcc, s0, v3
	global_load_dwordx2 v[7:8], v6, s[2:3]
	global_load_dwordx2 v[9:10], v6, s[2:3] offset:128
	global_load_dwordx2 v[11:12], v6, s[8:9]
	global_load_dwordx2 v[13:14], v6, s[8:9] offset:128
	v_addc_co_u32_e32 v4, vcc, v5, v4, vcc
	global_load_dwordx2 v[15:16], v[1:2], off
	global_load_dwordx2 v[17:18], v[3:4], off
	v_or_b32_e32 v5, 0x200, v6
	v_cmp_gt_u32_e64 s[0:1], 8, v0
	s_waitcnt vmcnt(4)
	ds_write2_b64 v6, v[7:8], v[9:10] offset0:32 offset1:48
	s_waitcnt vmcnt(2)
	ds_write2_b64 v6, v[11:12], v[13:14] offset1:16
	s_waitcnt vmcnt(0)
	ds_write2_b64 v6, v[15:16], v[17:18] offset0:64 offset1:80
	s_waitcnt lgkmcnt(0)
	; wave barrier
	s_and_saveexec_b64 s[2:3], s[0:1]
	s_cbranch_execz .LBB99_2
; %bb.1:
	v_or_b32_e32 v7, 0x100, v6
	v_add_u32_e32 v39, v7, v6
	v_add_u32_e32 v40, v6, v6
	ds_read_b128 v[7:10], v39
	ds_read_b128 v[11:14], v40 offset:128
	ds_read_b128 v[15:18], v40
	ds_read_b128 v[19:22], v39 offset:128
	v_add_u32_e32 v41, v5, v6
	s_waitcnt lgkmcnt(2)
	v_fma_f64 v[31:32], -v[9:10], v[11:12], 1.0
	v_div_scale_f64 v[23:24], s[4:5], v[31:32], v[31:32], 1.0
	v_rcp_f64_e32 v[25:26], v[23:24]
	v_fma_f64 v[27:28], -v[23:24], v[25:26], 1.0
	v_fma_f64 v[25:26], v[25:26], v[27:28], v[25:26]
	v_div_scale_f64 v[27:28], vcc, 1.0, v[31:32], 1.0
	v_fma_f64 v[29:30], -v[23:24], v[25:26], 1.0
	v_fma_f64 v[25:26], v[25:26], v[29:30], v[25:26]
	v_mul_f64 v[29:30], v[27:28], v[25:26]
	v_fma_f64 v[23:24], -v[23:24], v[29:30], v[27:28]
	v_div_fmas_f64 v[33:34], v[23:24], v[25:26], v[29:30]
	ds_read_b128 v[23:26], v41 offset:128
	ds_read_b128 v[27:30], v41
	s_waitcnt lgkmcnt(0)
	v_fma_f64 v[35:36], -v[9:10], v[23:24], v[29:30]
	v_mul_f64 v[9:10], v[9:10], v[19:20]
	v_fma_f64 v[23:24], -v[11:12], v[29:30], v[23:24]
	v_mul_f64 v[11:12], v[11:12], v[17:18]
	v_div_fixup_f64 v[37:38], v[33:34], v[31:32], 1.0
	v_mul_f64 v[33:34], v[35:36], v[37:38]
	v_mul_f64 v[9:10], v[9:10], -v[37:38]
	v_mul_f64 v[29:30], v[37:38], v[17:18]
	v_mul_f64 v[23:24], v[37:38], v[23:24]
	v_mul_f64 v[11:12], v[11:12], -v[37:38]
	v_fma_f64 v[31:32], -v[33:34], v[15:16], v[27:28]
	v_fma_f64 v[7:8], -v[9:10], v[15:16], v[7:8]
	v_mul_f64 v[27:28], v[29:30], -v[15:16]
	v_mul_f64 v[15:16], v[37:38], v[19:20]
	v_fma_f64 v[25:26], -v[21:22], v[23:24], v[25:26]
	v_fma_f64 v[13:14], -v[11:12], v[21:22], v[13:14]
	v_mul_f64 v[17:18], v[15:16], -v[21:22]
	ds_write_b128 v41, v[31:34]
	ds_write_b128 v41, v[23:26] offset:128
	ds_write_b128 v39, v[7:10]
	ds_write_b128 v40, v[27:30]
	ds_write_b128 v40, v[11:14] offset:128
	ds_write_b128 v39, v[15:18] offset:128
.LBB99_2:
	s_or_b64 exec, exec, s[2:3]
	v_cmp_gt_u32_e64 s[2:3], 4, v0
	v_lshlrev_b32_e32 v7, 5, v0
	s_waitcnt lgkmcnt(0)
	; wave barrier
	s_and_saveexec_b64 s[4:5], s[2:3]
	s_cbranch_execz .LBB99_4
; %bb.3:
	v_mad_u32_u24 v38, v0, 24, v6
	ds_read2_b64 v[8:11], v7 offset0:32 offset1:34
	ds_read2_b64 v[12:15], v38 offset0:17 offset1:19
	v_mad_u32_u24 v39, v0, 24, v5
	s_waitcnt lgkmcnt(0)
	v_fma_f64 v[32:33], -v[10:11], v[12:13], 1.0
	v_div_scale_f64 v[16:17], s[6:7], v[32:33], v[32:33], 1.0
	v_rcp_f64_e32 v[18:19], v[16:17]
	v_fma_f64 v[20:21], -v[16:17], v[18:19], 1.0
	v_fma_f64 v[18:19], v[18:19], v[20:21], v[18:19]
	v_div_scale_f64 v[20:21], vcc, 1.0, v[32:33], 1.0
	v_fma_f64 v[22:23], -v[16:17], v[18:19], 1.0
	v_fma_f64 v[18:19], v[18:19], v[22:23], v[18:19]
	v_mul_f64 v[22:23], v[20:21], v[18:19]
	v_fma_f64 v[16:17], -v[16:17], v[22:23], v[20:21]
	v_div_fmas_f64 v[34:35], v[16:17], v[18:19], v[22:23]
	ds_read2_b64 v[16:19], v39 offset0:17 offset1:19
	ds_read2_b64 v[20:23], v39 offset1:2
	ds_read2_b64 v[24:27], v7 offset0:49 offset1:51
	ds_read2_b64 v[28:31], v38 offset1:2
	s_waitcnt lgkmcnt(2)
	v_fma_f64 v[36:37], -v[10:11], v[16:17], v[22:23]
	v_fma_f64 v[16:17], -v[12:13], v[22:23], v[16:17]
	s_waitcnt lgkmcnt(1)
	v_mul_f64 v[10:11], v[10:11], v[24:25]
	s_waitcnt lgkmcnt(0)
	v_mul_f64 v[12:13], v[12:13], v[30:31]
	v_div_fixup_f64 v[32:33], v[34:35], v[32:33], 1.0
	v_mul_f64 v[22:23], v[36:37], v[32:33]
	v_mul_f64 v[16:17], v[32:33], v[16:17]
	v_mul_f64 v[10:11], v[10:11], -v[32:33]
	v_mul_f64 v[30:31], v[32:33], v[30:31]
	v_mul_f64 v[12:13], v[12:13], -v[32:33]
	v_mul_f64 v[24:25], v[32:33], v[24:25]
	v_fma_f64 v[20:21], -v[22:23], v[28:29], v[20:21]
	v_fma_f64 v[18:19], -v[26:27], v[16:17], v[18:19]
	;; [unrolled: 1-line block ×3, first 2 shown]
	v_mul_f64 v[28:29], v[30:31], -v[28:29]
	v_fma_f64 v[14:15], -v[12:13], v[26:27], v[14:15]
	v_mul_f64 v[26:27], v[24:25], -v[26:27]
	ds_write2_b64 v39, v[20:21], v[22:23] offset1:2
	ds_write2_b64 v39, v[16:17], v[18:19] offset0:17 offset1:19
	ds_write2_b64 v7, v[8:9], v[10:11] offset0:32 offset1:34
	ds_write2_b64 v38, v[28:29], v[30:31] offset1:2
	ds_write2_b64 v38, v[12:13], v[14:15] offset0:17 offset1:19
	ds_write2_b64 v7, v[24:25], v[26:27] offset0:49 offset1:51
.LBB99_4:
	s_or_b64 exec, exec, s[4:5]
	v_cmp_gt_u32_e64 s[4:5], 2, v0
	v_lshlrev_b32_e32 v8, 6, v0
	s_waitcnt lgkmcnt(0)
	; wave barrier
	s_and_saveexec_b64 s[6:7], s[4:5]
	s_cbranch_execz .LBB99_6
; %bb.5:
	ds_read2_b64 v[9:12], v8 offset0:32 offset1:36
	ds_read2_b64 v[13:16], v8 offset0:19 offset1:23
	s_waitcnt lgkmcnt(0)
	v_fma_f64 v[33:34], -v[11:12], v[13:14], 1.0
	v_div_scale_f64 v[17:18], s[8:9], v[33:34], v[33:34], 1.0
	v_rcp_f64_e32 v[19:20], v[17:18]
	v_fma_f64 v[21:22], -v[17:18], v[19:20], 1.0
	v_fma_f64 v[19:20], v[19:20], v[21:22], v[19:20]
	v_div_scale_f64 v[21:22], vcc, 1.0, v[33:34], 1.0
	v_fma_f64 v[23:24], -v[17:18], v[19:20], 1.0
	v_fma_f64 v[19:20], v[19:20], v[23:24], v[19:20]
	v_mul_f64 v[23:24], v[21:22], v[19:20]
	v_fma_f64 v[17:18], -v[17:18], v[23:24], v[21:22]
	v_div_fmas_f64 v[35:36], v[17:18], v[19:20], v[23:24]
	ds_read2_b64 v[17:20], v8 offset0:83 offset1:87
	ds_read2_b64 v[21:24], v8 offset0:64 offset1:68
	ds_read2_b64 v[25:28], v8 offset0:51 offset1:55
	ds_read2_b64 v[29:32], v8 offset1:4
	s_waitcnt lgkmcnt(2)
	v_fma_f64 v[37:38], -v[11:12], v[17:18], v[23:24]
	v_fma_f64 v[17:18], -v[13:14], v[23:24], v[17:18]
	s_waitcnt lgkmcnt(1)
	v_mul_f64 v[11:12], v[11:12], v[25:26]
	s_waitcnt lgkmcnt(0)
	v_mul_f64 v[13:14], v[13:14], v[31:32]
	v_div_fixup_f64 v[33:34], v[35:36], v[33:34], 1.0
	v_mul_f64 v[23:24], v[37:38], v[33:34]
	v_mul_f64 v[17:18], v[33:34], v[17:18]
	v_mul_f64 v[11:12], v[11:12], -v[33:34]
	v_mul_f64 v[31:32], v[33:34], v[31:32]
	v_mul_f64 v[13:14], v[13:14], -v[33:34]
	v_mul_f64 v[25:26], v[33:34], v[25:26]
	v_fma_f64 v[21:22], -v[23:24], v[29:30], v[21:22]
	v_fma_f64 v[19:20], -v[27:28], v[17:18], v[19:20]
	;; [unrolled: 1-line block ×3, first 2 shown]
	v_mul_f64 v[29:30], v[31:32], -v[29:30]
	v_fma_f64 v[15:16], -v[13:14], v[27:28], v[15:16]
	v_mul_f64 v[27:28], v[25:26], -v[27:28]
	ds_write2_b64 v8, v[21:22], v[23:24] offset0:64 offset1:68
	ds_write2_b64 v8, v[17:18], v[19:20] offset0:83 offset1:87
	;; [unrolled: 1-line block ×3, first 2 shown]
	ds_write2_b64 v8, v[29:30], v[31:32] offset1:4
	ds_write2_b64 v8, v[13:14], v[15:16] offset0:19 offset1:23
	ds_write2_b64 v8, v[25:26], v[27:28] offset0:51 offset1:55
.LBB99_6:
	s_or_b64 exec, exec, s[6:7]
	v_cmp_eq_u32_e32 vcc, 0, v0
	s_waitcnt lgkmcnt(0)
	; wave barrier
	s_and_saveexec_b64 s[6:7], vcc
	s_cbranch_execz .LBB99_8
; %bb.7:
	v_mov_b32_e32 v33, 0
	ds_read2_b64 v[9:12], v33 offset0:23 offset1:40
	s_waitcnt lgkmcnt(0)
	v_fma_f64 v[25:26], -v[11:12], v[9:10], 1.0
	v_div_scale_f64 v[13:14], s[8:9], v[25:26], v[25:26], 1.0
	v_rcp_f64_e32 v[15:16], v[13:14]
	v_fma_f64 v[17:18], -v[13:14], v[15:16], 1.0
	v_fma_f64 v[15:16], v[15:16], v[17:18], v[15:16]
	v_div_scale_f64 v[17:18], vcc, 1.0, v[25:26], 1.0
	v_fma_f64 v[19:20], -v[13:14], v[15:16], 1.0
	v_fma_f64 v[15:16], v[15:16], v[19:20], v[15:16]
	v_mul_f64 v[19:20], v[17:18], v[15:16]
	v_fma_f64 v[13:14], -v[13:14], v[19:20], v[17:18]
	v_div_fmas_f64 v[27:28], v[13:14], v[15:16], v[19:20]
	ds_read2_b64 v[13:16], v33 offset0:87 offset1:95
	ds_read2_b64 v[17:20], v33 offset0:55 offset1:72
	ds_read2_b64 v[21:24], v33 offset1:8
	s_waitcnt lgkmcnt(1)
	v_fma_f64 v[29:30], -v[9:10], v[19:20], v[13:14]
	v_fma_f64 v[13:14], -v[11:12], v[13:14], v[19:20]
	s_waitcnt lgkmcnt(0)
	v_mul_f64 v[19:20], v[9:10], v[23:24]
	v_div_fixup_f64 v[25:26], v[27:28], v[25:26], 1.0
	v_mul_f64 v[27:28], v[11:12], v[17:18]
	ds_read2_b64 v[9:12], v33 offset0:63 offset1:64
	v_mul_f64 v[29:30], v[25:26], v[29:30]
	v_mul_f64 v[13:14], v[13:14], v[25:26]
	v_mul_f64 v[27:28], v[27:28], -v[25:26]
	v_mul_f64 v[23:24], v[25:26], v[23:24]
	v_mul_f64 v[31:32], v[19:20], -v[25:26]
	v_mul_f64 v[25:26], v[25:26], v[17:18]
	ds_read2_b64 v[17:20], v33 offset0:31 offset1:32
	s_waitcnt lgkmcnt(1)
	v_fma_f64 v[15:16], -v[9:10], v[29:30], v[15:16]
	v_fma_f64 v[11:12], -v[13:14], v[21:22], v[11:12]
	s_waitcnt lgkmcnt(0)
	v_fma_f64 v[19:20], -v[27:28], v[21:22], v[19:20]
	v_mul_f64 v[21:22], v[23:24], -v[21:22]
	v_fma_f64 v[17:18], -v[31:32], v[9:10], v[17:18]
	v_mul_f64 v[9:10], v[25:26], -v[9:10]
	ds_write2_b64 v33, v[31:32], v[27:28] offset0:23 offset1:40
	ds_write2_b64 v33, v[25:26], v[13:14] offset0:55 offset1:72
	;; [unrolled: 1-line block ×3, first 2 shown]
	ds_write2_b64 v33, v[21:22], v[23:24] offset1:8
	ds_write2_b64 v33, v[17:18], v[19:20] offset0:31 offset1:32
	ds_write2_b64 v33, v[9:10], v[11:12] offset0:63 offset1:64
.LBB99_8:
	s_or_b64 exec, exec, s[6:7]
	s_waitcnt lgkmcnt(0)
	; wave barrier
	s_and_saveexec_b64 s[6:7], s[4:5]
	s_cbranch_execz .LBB99_10
; %bb.9:
	v_max_u32_e32 v17, 1, v6
	v_lshlrev_b32_e32 v21, 3, v17
	ds_read2_b64 v[9:12], v8 offset0:68 offset1:83
	ds_read2_b64 v[13:16], v8 offset0:36 offset1:51
	ds_read_b64 v[17:18], v21 offset:632
	v_min_u32_e32 v6, 7, v6
	v_lshlrev_b32_e32 v6, 3, v6
	ds_read_b64 v[19:20], v6 offset:576
	s_waitcnt lgkmcnt(1)
	v_fma_f64 v[11:12], -v[15:16], v[17:18], v[11:12]
	ds_read2_b64 v[15:18], v8 offset0:4 offset1:19
	s_waitcnt lgkmcnt(0)
	v_fma_f64 v[11:12], -v[17:18], v[19:20], v[11:12]
	ds_write_b64 v8, v[11:12] offset:664
	ds_read_b64 v[11:12], v21 offset:632
	s_waitcnt lgkmcnt(0)
	v_fma_f64 v[9:10], -v[13:14], v[11:12], v[9:10]
	ds_write_b64 v8, v[9:10] offset:544
	ds_read_b64 v[11:12], v6 offset:576
	s_waitcnt lgkmcnt(0)
	v_fma_f64 v[9:10], -v[15:16], v[11:12], v[9:10]
	ds_write_b64 v8, v[9:10] offset:544
.LBB99_10:
	s_or_b64 exec, exec, s[6:7]
	s_waitcnt lgkmcnt(0)
	; wave barrier
	s_and_saveexec_b64 s[4:5], s[2:3]
	s_cbranch_execz .LBB99_12
; %bb.11:
	v_lshlrev_b32_e32 v6, 2, v0
	v_max_u32_e32 v16, 1, v6
	v_lshlrev_b32_e32 v20, 3, v16
	ds_read2_b64 v[8:11], v7 offset0:66 offset1:81
	ds_read2_b64 v[12:15], v7 offset0:34 offset1:49
	ds_read_b64 v[16:17], v20 offset:632
	v_min_u32_e32 v6, 11, v6
	v_lshlrev_b32_e32 v6, 3, v6
	ds_read_b64 v[18:19], v6 offset:544
	s_waitcnt lgkmcnt(1)
	v_fma_f64 v[10:11], -v[14:15], v[16:17], v[10:11]
	ds_read2_b64 v[14:17], v7 offset0:2 offset1:17
	s_waitcnt lgkmcnt(0)
	v_fma_f64 v[10:11], -v[16:17], v[18:19], v[10:11]
	ds_write_b64 v7, v[10:11] offset:648
	ds_read_b64 v[10:11], v20 offset:632
	s_waitcnt lgkmcnt(0)
	v_fma_f64 v[8:9], -v[12:13], v[10:11], v[8:9]
	ds_write_b64 v7, v[8:9] offset:528
	ds_read_b64 v[10:11], v6 offset:544
	s_waitcnt lgkmcnt(0)
	v_fma_f64 v[8:9], -v[14:15], v[10:11], v[8:9]
	ds_write_b64 v7, v[8:9] offset:528
.LBB99_12:
	s_or_b64 exec, exec, s[4:5]
	s_waitcnt lgkmcnt(0)
	; wave barrier
	s_and_saveexec_b64 s[2:3], s[0:1]
	s_cbranch_execz .LBB99_14
; %bb.13:
	v_lshlrev_b32_e32 v16, 1, v0
	v_max_u32_e32 v14, 1, v16
	v_lshlrev_b32_e32 v0, 4, v0
	v_lshlrev_b32_e32 v18, 3, v14
	ds_read2_b64 v[6:9], v0 offset0:65 offset1:80
	ds_read2_b64 v[10:13], v0 offset0:33 offset1:48
	ds_read_b64 v[14:15], v18 offset:632
	v_min_u32_e32 v16, 13, v16
	v_lshlrev_b32_e32 v19, 3, v16
	ds_read_b64 v[16:17], v19 offset:528
	s_waitcnt lgkmcnt(1)
	v_fma_f64 v[8:9], -v[12:13], v[14:15], v[8:9]
	ds_read2_b64 v[12:15], v0 offset0:1 offset1:16
	s_waitcnt lgkmcnt(0)
	v_fma_f64 v[8:9], -v[14:15], v[16:17], v[8:9]
	ds_write_b64 v0, v[8:9] offset:640
	ds_read_b64 v[8:9], v18 offset:632
	s_waitcnt lgkmcnt(0)
	v_fma_f64 v[6:7], -v[10:11], v[8:9], v[6:7]
	ds_write_b64 v0, v[6:7] offset:520
	ds_read_b64 v[8:9], v19 offset:528
	s_waitcnt lgkmcnt(0)
	v_fma_f64 v[6:7], -v[12:13], v[8:9], v[6:7]
	ds_write_b64 v0, v[6:7] offset:520
.LBB99_14:
	s_or_b64 exec, exec, s[2:3]
	s_waitcnt lgkmcnt(0)
	; wave barrier
	ds_read2_b64 v[5:8], v5 offset1:16
	s_waitcnt lgkmcnt(0)
	global_store_dwordx2 v[1:2], v[5:6], off
	global_store_dwordx2 v[3:4], v[7:8], off
	s_endpgm
	.section	.rodata,"a",@progbits
	.p2align	6, 0x0
	.amdhsa_kernel _ZN9rocsparseL34gtsv_solve_spike_grid_level_kernelILj16EdEEviiiPT0_PKS1_S4_
		.amdhsa_group_segment_fixed_size 768
		.amdhsa_private_segment_fixed_size 0
		.amdhsa_kernarg_size 40
		.amdhsa_user_sgpr_count 6
		.amdhsa_user_sgpr_private_segment_buffer 1
		.amdhsa_user_sgpr_dispatch_ptr 0
		.amdhsa_user_sgpr_queue_ptr 0
		.amdhsa_user_sgpr_kernarg_segment_ptr 1
		.amdhsa_user_sgpr_dispatch_id 0
		.amdhsa_user_sgpr_flat_scratch_init 0
		.amdhsa_user_sgpr_private_segment_size 0
		.amdhsa_uses_dynamic_stack 0
		.amdhsa_system_sgpr_private_segment_wavefront_offset 0
		.amdhsa_system_sgpr_workgroup_id_x 1
		.amdhsa_system_sgpr_workgroup_id_y 1
		.amdhsa_system_sgpr_workgroup_id_z 0
		.amdhsa_system_sgpr_workgroup_info 0
		.amdhsa_system_vgpr_workitem_id 0
		.amdhsa_next_free_vgpr 42
		.amdhsa_next_free_sgpr 10
		.amdhsa_reserve_vcc 1
		.amdhsa_reserve_flat_scratch 0
		.amdhsa_float_round_mode_32 0
		.amdhsa_float_round_mode_16_64 0
		.amdhsa_float_denorm_mode_32 3
		.amdhsa_float_denorm_mode_16_64 3
		.amdhsa_dx10_clamp 1
		.amdhsa_ieee_mode 1
		.amdhsa_fp16_overflow 0
		.amdhsa_exception_fp_ieee_invalid_op 0
		.amdhsa_exception_fp_denorm_src 0
		.amdhsa_exception_fp_ieee_div_zero 0
		.amdhsa_exception_fp_ieee_overflow 0
		.amdhsa_exception_fp_ieee_underflow 0
		.amdhsa_exception_fp_ieee_inexact 0
		.amdhsa_exception_int_div_zero 0
	.end_amdhsa_kernel
	.section	.text._ZN9rocsparseL34gtsv_solve_spike_grid_level_kernelILj16EdEEviiiPT0_PKS1_S4_,"axG",@progbits,_ZN9rocsparseL34gtsv_solve_spike_grid_level_kernelILj16EdEEviiiPT0_PKS1_S4_,comdat
.Lfunc_end99:
	.size	_ZN9rocsparseL34gtsv_solve_spike_grid_level_kernelILj16EdEEviiiPT0_PKS1_S4_, .Lfunc_end99-_ZN9rocsparseL34gtsv_solve_spike_grid_level_kernelILj16EdEEviiiPT0_PKS1_S4_
                                        ; -- End function
	.set _ZN9rocsparseL34gtsv_solve_spike_grid_level_kernelILj16EdEEviiiPT0_PKS1_S4_.num_vgpr, 42
	.set _ZN9rocsparseL34gtsv_solve_spike_grid_level_kernelILj16EdEEviiiPT0_PKS1_S4_.num_agpr, 0
	.set _ZN9rocsparseL34gtsv_solve_spike_grid_level_kernelILj16EdEEviiiPT0_PKS1_S4_.numbered_sgpr, 10
	.set _ZN9rocsparseL34gtsv_solve_spike_grid_level_kernelILj16EdEEviiiPT0_PKS1_S4_.num_named_barrier, 0
	.set _ZN9rocsparseL34gtsv_solve_spike_grid_level_kernelILj16EdEEviiiPT0_PKS1_S4_.private_seg_size, 0
	.set _ZN9rocsparseL34gtsv_solve_spike_grid_level_kernelILj16EdEEviiiPT0_PKS1_S4_.uses_vcc, 1
	.set _ZN9rocsparseL34gtsv_solve_spike_grid_level_kernelILj16EdEEviiiPT0_PKS1_S4_.uses_flat_scratch, 0
	.set _ZN9rocsparseL34gtsv_solve_spike_grid_level_kernelILj16EdEEviiiPT0_PKS1_S4_.has_dyn_sized_stack, 0
	.set _ZN9rocsparseL34gtsv_solve_spike_grid_level_kernelILj16EdEEviiiPT0_PKS1_S4_.has_recursion, 0
	.set _ZN9rocsparseL34gtsv_solve_spike_grid_level_kernelILj16EdEEviiiPT0_PKS1_S4_.has_indirect_call, 0
	.section	.AMDGPU.csdata,"",@progbits
; Kernel info:
; codeLenInByte = 2160
; TotalNumSgprs: 14
; NumVgprs: 42
; ScratchSize: 0
; MemoryBound: 1
; FloatMode: 240
; IeeeMode: 1
; LDSByteSize: 768 bytes/workgroup (compile time only)
; SGPRBlocks: 1
; VGPRBlocks: 10
; NumSGPRsForWavesPerEU: 14
; NumVGPRsForWavesPerEU: 42
; Occupancy: 5
; WaveLimiterHint : 1
; COMPUTE_PGM_RSRC2:SCRATCH_EN: 0
; COMPUTE_PGM_RSRC2:USER_SGPR: 6
; COMPUTE_PGM_RSRC2:TRAP_HANDLER: 0
; COMPUTE_PGM_RSRC2:TGID_X_EN: 1
; COMPUTE_PGM_RSRC2:TGID_Y_EN: 1
; COMPUTE_PGM_RSRC2:TGID_Z_EN: 0
; COMPUTE_PGM_RSRC2:TIDIG_COMP_CNT: 0
	.section	.text._ZN9rocsparseL34gtsv_solve_spike_grid_level_kernelILj32EdEEviiiPT0_PKS1_S4_,"axG",@progbits,_ZN9rocsparseL34gtsv_solve_spike_grid_level_kernelILj32EdEEviiiPT0_PKS1_S4_,comdat
	.globl	_ZN9rocsparseL34gtsv_solve_spike_grid_level_kernelILj32EdEEviiiPT0_PKS1_S4_ ; -- Begin function _ZN9rocsparseL34gtsv_solve_spike_grid_level_kernelILj32EdEEviiiPT0_PKS1_S4_
	.p2align	8
	.type	_ZN9rocsparseL34gtsv_solve_spike_grid_level_kernelILj32EdEEviiiPT0_PKS1_S4_,@function
_ZN9rocsparseL34gtsv_solve_spike_grid_level_kernelILj32EdEEviiiPT0_PKS1_S4_: ; @_ZN9rocsparseL34gtsv_solve_spike_grid_level_kernelILj32EdEEviiiPT0_PKS1_S4_
; %bb.0:
	s_load_dwordx4 s[0:3], s[4:5], 0x10
	s_load_dwordx2 s[8:9], s[4:5], 0x20
	v_lshl_or_b32 v3, s7, 6, v0
	v_mov_b32_e32 v4, 0
	v_lshlrev_b64 v[1:2], 3, v[3:4]
	v_or_b32_e32 v3, 32, v3
	s_waitcnt lgkmcnt(0)
	v_mov_b32_e32 v5, s1
	v_add_co_u32_e32 v1, vcc, s0, v1
	v_lshlrev_b64 v[3:4], 3, v[3:4]
	v_addc_co_u32_e32 v2, vcc, v5, v2, vcc
	v_lshlrev_b32_e32 v6, 3, v0
	v_add_co_u32_e32 v3, vcc, s0, v3
	global_load_dwordx2 v[7:8], v6, s[2:3]
	global_load_dwordx2 v[9:10], v6, s[2:3] offset:256
	global_load_dwordx2 v[11:12], v6, s[8:9]
	global_load_dwordx2 v[13:14], v6, s[8:9] offset:256
	v_addc_co_u32_e32 v4, vcc, v5, v4, vcc
	global_load_dwordx2 v[15:16], v[1:2], off
	global_load_dwordx2 v[17:18], v[3:4], off
	v_or_b32_e32 v5, 0x400, v6
	v_cmp_gt_u32_e64 s[0:1], 16, v0
	s_waitcnt vmcnt(4)
	ds_write2_b64 v6, v[7:8], v[9:10] offset0:64 offset1:96
	s_waitcnt vmcnt(2)
	ds_write2_b64 v6, v[11:12], v[13:14] offset1:32
	s_waitcnt vmcnt(0)
	ds_write2_b64 v6, v[15:16], v[17:18] offset0:128 offset1:160
	s_waitcnt lgkmcnt(0)
	; wave barrier
	s_and_saveexec_b64 s[2:3], s[0:1]
	s_cbranch_execz .LBB100_2
; %bb.1:
	v_or_b32_e32 v7, 0x200, v6
	v_add_u32_e32 v39, v7, v6
	v_add_u32_e32 v40, v6, v6
	ds_read_b128 v[7:10], v39
	ds_read_b128 v[11:14], v40 offset:256
	ds_read_b128 v[15:18], v40
	ds_read_b128 v[19:22], v39 offset:256
	v_add_u32_e32 v41, v5, v6
	s_waitcnt lgkmcnt(2)
	v_fma_f64 v[31:32], -v[9:10], v[11:12], 1.0
	v_div_scale_f64 v[23:24], s[4:5], v[31:32], v[31:32], 1.0
	v_rcp_f64_e32 v[25:26], v[23:24]
	v_fma_f64 v[27:28], -v[23:24], v[25:26], 1.0
	v_fma_f64 v[25:26], v[25:26], v[27:28], v[25:26]
	v_div_scale_f64 v[27:28], vcc, 1.0, v[31:32], 1.0
	v_fma_f64 v[29:30], -v[23:24], v[25:26], 1.0
	v_fma_f64 v[25:26], v[25:26], v[29:30], v[25:26]
	v_mul_f64 v[29:30], v[27:28], v[25:26]
	v_fma_f64 v[23:24], -v[23:24], v[29:30], v[27:28]
	v_div_fmas_f64 v[33:34], v[23:24], v[25:26], v[29:30]
	ds_read_b128 v[23:26], v41 offset:256
	ds_read_b128 v[27:30], v41
	s_waitcnt lgkmcnt(0)
	v_fma_f64 v[35:36], -v[9:10], v[23:24], v[29:30]
	v_mul_f64 v[9:10], v[9:10], v[19:20]
	v_fma_f64 v[23:24], -v[11:12], v[29:30], v[23:24]
	v_mul_f64 v[11:12], v[11:12], v[17:18]
	v_div_fixup_f64 v[37:38], v[33:34], v[31:32], 1.0
	v_mul_f64 v[33:34], v[35:36], v[37:38]
	v_mul_f64 v[9:10], v[9:10], -v[37:38]
	v_mul_f64 v[29:30], v[37:38], v[17:18]
	v_mul_f64 v[23:24], v[37:38], v[23:24]
	v_mul_f64 v[11:12], v[11:12], -v[37:38]
	v_fma_f64 v[31:32], -v[33:34], v[15:16], v[27:28]
	v_fma_f64 v[7:8], -v[9:10], v[15:16], v[7:8]
	v_mul_f64 v[27:28], v[29:30], -v[15:16]
	v_mul_f64 v[15:16], v[37:38], v[19:20]
	v_fma_f64 v[25:26], -v[21:22], v[23:24], v[25:26]
	v_fma_f64 v[13:14], -v[11:12], v[21:22], v[13:14]
	v_mul_f64 v[17:18], v[15:16], -v[21:22]
	ds_write_b128 v41, v[31:34]
	ds_write_b128 v41, v[23:26] offset:256
	ds_write_b128 v39, v[7:10]
	ds_write_b128 v40, v[27:30]
	ds_write_b128 v40, v[11:14] offset:256
	ds_write_b128 v39, v[15:18] offset:256
.LBB100_2:
	s_or_b64 exec, exec, s[2:3]
	v_cmp_gt_u32_e64 s[2:3], 8, v0
	v_lshlrev_b32_e32 v7, 5, v0
	s_waitcnt lgkmcnt(0)
	; wave barrier
	s_and_saveexec_b64 s[4:5], s[2:3]
	s_cbranch_execz .LBB100_4
; %bb.3:
	v_mad_u32_u24 v38, v0, 24, v6
	ds_read2_b64 v[8:11], v7 offset0:64 offset1:66
	ds_read2_b64 v[12:15], v38 offset0:33 offset1:35
	v_mad_u32_u24 v39, v0, 24, v5
	s_waitcnt lgkmcnt(0)
	v_fma_f64 v[32:33], -v[10:11], v[12:13], 1.0
	v_div_scale_f64 v[16:17], s[6:7], v[32:33], v[32:33], 1.0
	v_rcp_f64_e32 v[18:19], v[16:17]
	v_fma_f64 v[20:21], -v[16:17], v[18:19], 1.0
	v_fma_f64 v[18:19], v[18:19], v[20:21], v[18:19]
	v_div_scale_f64 v[20:21], vcc, 1.0, v[32:33], 1.0
	v_fma_f64 v[22:23], -v[16:17], v[18:19], 1.0
	v_fma_f64 v[18:19], v[18:19], v[22:23], v[18:19]
	v_mul_f64 v[22:23], v[20:21], v[18:19]
	v_fma_f64 v[16:17], -v[16:17], v[22:23], v[20:21]
	v_div_fmas_f64 v[34:35], v[16:17], v[18:19], v[22:23]
	ds_read2_b64 v[16:19], v39 offset0:33 offset1:35
	ds_read2_b64 v[20:23], v39 offset1:2
	ds_read2_b64 v[24:27], v7 offset0:97 offset1:99
	ds_read2_b64 v[28:31], v38 offset1:2
	s_waitcnt lgkmcnt(2)
	v_fma_f64 v[36:37], -v[10:11], v[16:17], v[22:23]
	v_fma_f64 v[16:17], -v[12:13], v[22:23], v[16:17]
	s_waitcnt lgkmcnt(1)
	v_mul_f64 v[10:11], v[10:11], v[24:25]
	s_waitcnt lgkmcnt(0)
	v_mul_f64 v[12:13], v[12:13], v[30:31]
	v_div_fixup_f64 v[32:33], v[34:35], v[32:33], 1.0
	v_mul_f64 v[22:23], v[36:37], v[32:33]
	v_mul_f64 v[16:17], v[32:33], v[16:17]
	v_mul_f64 v[10:11], v[10:11], -v[32:33]
	v_mul_f64 v[30:31], v[32:33], v[30:31]
	v_mul_f64 v[12:13], v[12:13], -v[32:33]
	v_mul_f64 v[24:25], v[32:33], v[24:25]
	v_fma_f64 v[20:21], -v[22:23], v[28:29], v[20:21]
	v_fma_f64 v[18:19], -v[26:27], v[16:17], v[18:19]
	;; [unrolled: 1-line block ×3, first 2 shown]
	v_mul_f64 v[28:29], v[30:31], -v[28:29]
	v_fma_f64 v[14:15], -v[12:13], v[26:27], v[14:15]
	v_mul_f64 v[26:27], v[24:25], -v[26:27]
	ds_write2_b64 v39, v[20:21], v[22:23] offset1:2
	ds_write2_b64 v39, v[16:17], v[18:19] offset0:33 offset1:35
	ds_write2_b64 v7, v[8:9], v[10:11] offset0:64 offset1:66
	ds_write2_b64 v38, v[28:29], v[30:31] offset1:2
	ds_write2_b64 v38, v[12:13], v[14:15] offset0:33 offset1:35
	ds_write2_b64 v7, v[24:25], v[26:27] offset0:97 offset1:99
.LBB100_4:
	s_or_b64 exec, exec, s[4:5]
	v_cmp_gt_u32_e64 s[4:5], 4, v0
	v_lshlrev_b32_e32 v8, 6, v0
	s_waitcnt lgkmcnt(0)
	; wave barrier
	s_and_saveexec_b64 s[6:7], s[4:5]
	s_cbranch_execz .LBB100_6
; %bb.5:
	ds_read2_b64 v[9:12], v8 offset0:64 offset1:68
	ds_read2_b64 v[13:16], v8 offset0:35 offset1:39
	s_waitcnt lgkmcnt(0)
	v_fma_f64 v[33:34], -v[11:12], v[13:14], 1.0
	v_div_scale_f64 v[17:18], s[8:9], v[33:34], v[33:34], 1.0
	v_rcp_f64_e32 v[19:20], v[17:18]
	v_fma_f64 v[21:22], -v[17:18], v[19:20], 1.0
	v_fma_f64 v[19:20], v[19:20], v[21:22], v[19:20]
	v_div_scale_f64 v[21:22], vcc, 1.0, v[33:34], 1.0
	v_fma_f64 v[23:24], -v[17:18], v[19:20], 1.0
	v_fma_f64 v[19:20], v[19:20], v[23:24], v[19:20]
	v_mul_f64 v[23:24], v[21:22], v[19:20]
	v_fma_f64 v[17:18], -v[17:18], v[23:24], v[21:22]
	v_div_fmas_f64 v[35:36], v[17:18], v[19:20], v[23:24]
	ds_read2_b64 v[17:20], v8 offset0:163 offset1:167
	ds_read2_b64 v[21:24], v8 offset0:128 offset1:132
	;; [unrolled: 1-line block ×3, first 2 shown]
	ds_read2_b64 v[29:32], v8 offset1:4
	s_waitcnt lgkmcnt(2)
	v_fma_f64 v[37:38], -v[11:12], v[17:18], v[23:24]
	v_fma_f64 v[17:18], -v[13:14], v[23:24], v[17:18]
	s_waitcnt lgkmcnt(1)
	v_mul_f64 v[11:12], v[11:12], v[25:26]
	s_waitcnt lgkmcnt(0)
	v_mul_f64 v[13:14], v[13:14], v[31:32]
	v_div_fixup_f64 v[33:34], v[35:36], v[33:34], 1.0
	v_mul_f64 v[23:24], v[37:38], v[33:34]
	v_mul_f64 v[17:18], v[33:34], v[17:18]
	v_mul_f64 v[11:12], v[11:12], -v[33:34]
	v_mul_f64 v[31:32], v[33:34], v[31:32]
	v_mul_f64 v[13:14], v[13:14], -v[33:34]
	v_mul_f64 v[25:26], v[33:34], v[25:26]
	v_fma_f64 v[21:22], -v[23:24], v[29:30], v[21:22]
	v_fma_f64 v[19:20], -v[27:28], v[17:18], v[19:20]
	;; [unrolled: 1-line block ×3, first 2 shown]
	v_mul_f64 v[29:30], v[31:32], -v[29:30]
	v_fma_f64 v[15:16], -v[13:14], v[27:28], v[15:16]
	v_mul_f64 v[27:28], v[25:26], -v[27:28]
	ds_write2_b64 v8, v[21:22], v[23:24] offset0:128 offset1:132
	ds_write2_b64 v8, v[17:18], v[19:20] offset0:163 offset1:167
	ds_write2_b64 v8, v[9:10], v[11:12] offset0:64 offset1:68
	ds_write2_b64 v8, v[29:30], v[31:32] offset1:4
	ds_write2_b64 v8, v[13:14], v[15:16] offset0:35 offset1:39
	ds_write2_b64 v8, v[25:26], v[27:28] offset0:99 offset1:103
.LBB100_6:
	s_or_b64 exec, exec, s[6:7]
	v_cmp_gt_u32_e64 s[6:7], 2, v0
	v_lshlrev_b32_e32 v9, 7, v0
	s_waitcnt lgkmcnt(0)
	; wave barrier
	s_and_saveexec_b64 s[8:9], s[6:7]
	s_cbranch_execz .LBB100_8
; %bb.7:
	ds_read2_b64 v[10:13], v9 offset0:64 offset1:72
	ds_read2_b64 v[14:17], v9 offset0:39 offset1:47
	s_waitcnt lgkmcnt(0)
	v_fma_f64 v[34:35], -v[12:13], v[14:15], 1.0
	v_div_scale_f64 v[18:19], s[10:11], v[34:35], v[34:35], 1.0
	v_rcp_f64_e32 v[20:21], v[18:19]
	v_fma_f64 v[22:23], -v[18:19], v[20:21], 1.0
	v_fma_f64 v[20:21], v[20:21], v[22:23], v[20:21]
	v_div_scale_f64 v[22:23], vcc, 1.0, v[34:35], 1.0
	v_fma_f64 v[24:25], -v[18:19], v[20:21], 1.0
	v_fma_f64 v[20:21], v[20:21], v[24:25], v[20:21]
	v_mul_f64 v[24:25], v[22:23], v[20:21]
	v_fma_f64 v[18:19], -v[18:19], v[24:25], v[22:23]
	v_div_fmas_f64 v[36:37], v[18:19], v[20:21], v[24:25]
	ds_read2_b64 v[18:21], v9 offset0:167 offset1:175
	ds_read2_b64 v[22:25], v9 offset0:128 offset1:136
	;; [unrolled: 1-line block ×3, first 2 shown]
	ds_read2_b64 v[30:33], v9 offset1:8
	s_waitcnt lgkmcnt(2)
	v_fma_f64 v[38:39], -v[12:13], v[18:19], v[24:25]
	v_fma_f64 v[18:19], -v[14:15], v[24:25], v[18:19]
	s_waitcnt lgkmcnt(1)
	v_mul_f64 v[12:13], v[12:13], v[26:27]
	s_waitcnt lgkmcnt(0)
	v_mul_f64 v[14:15], v[14:15], v[32:33]
	v_div_fixup_f64 v[34:35], v[36:37], v[34:35], 1.0
	v_mul_f64 v[24:25], v[38:39], v[34:35]
	v_mul_f64 v[18:19], v[34:35], v[18:19]
	v_mul_f64 v[12:13], v[12:13], -v[34:35]
	v_mul_f64 v[32:33], v[34:35], v[32:33]
	v_mul_f64 v[14:15], v[14:15], -v[34:35]
	v_mul_f64 v[26:27], v[34:35], v[26:27]
	v_fma_f64 v[22:23], -v[24:25], v[30:31], v[22:23]
	v_fma_f64 v[20:21], -v[28:29], v[18:19], v[20:21]
	;; [unrolled: 1-line block ×3, first 2 shown]
	v_mul_f64 v[30:31], v[32:33], -v[30:31]
	v_fma_f64 v[16:17], -v[14:15], v[28:29], v[16:17]
	v_mul_f64 v[28:29], v[26:27], -v[28:29]
	ds_write2_b64 v9, v[22:23], v[24:25] offset0:128 offset1:136
	ds_write2_b64 v9, v[18:19], v[20:21] offset0:167 offset1:175
	ds_write2_b64 v9, v[10:11], v[12:13] offset0:64 offset1:72
	ds_write2_b64 v9, v[30:31], v[32:33] offset1:8
	ds_write2_b64 v9, v[14:15], v[16:17] offset0:39 offset1:47
	ds_write2_b64 v9, v[26:27], v[28:29] offset0:103 offset1:111
.LBB100_8:
	s_or_b64 exec, exec, s[8:9]
	v_cmp_eq_u32_e32 vcc, 0, v0
	s_waitcnt lgkmcnt(0)
	; wave barrier
	s_and_saveexec_b64 s[8:9], vcc
	s_cbranch_execz .LBB100_10
; %bb.9:
	v_mov_b32_e32 v34, 0
	ds_read2_b64 v[10:13], v34 offset0:47 offset1:80
	s_waitcnt lgkmcnt(0)
	v_fma_f64 v[26:27], -v[12:13], v[10:11], 1.0
	v_div_scale_f64 v[14:15], s[10:11], v[26:27], v[26:27], 1.0
	v_rcp_f64_e32 v[16:17], v[14:15]
	v_fma_f64 v[18:19], -v[14:15], v[16:17], 1.0
	v_fma_f64 v[16:17], v[16:17], v[18:19], v[16:17]
	v_div_scale_f64 v[18:19], vcc, 1.0, v[26:27], 1.0
	v_fma_f64 v[20:21], -v[14:15], v[16:17], 1.0
	v_fma_f64 v[16:17], v[16:17], v[20:21], v[16:17]
	v_mul_f64 v[20:21], v[18:19], v[16:17]
	v_fma_f64 v[14:15], -v[14:15], v[20:21], v[18:19]
	v_div_fmas_f64 v[28:29], v[14:15], v[16:17], v[20:21]
	ds_read2_b64 v[14:17], v34 offset0:175 offset1:191
	ds_read2_b64 v[18:21], v34 offset0:111 offset1:144
	ds_read2_b64 v[22:25], v34 offset1:16
	s_waitcnt lgkmcnt(1)
	v_fma_f64 v[30:31], -v[10:11], v[20:21], v[14:15]
	v_fma_f64 v[14:15], -v[12:13], v[14:15], v[20:21]
	s_waitcnt lgkmcnt(0)
	v_mul_f64 v[20:21], v[10:11], v[24:25]
	v_div_fixup_f64 v[26:27], v[28:29], v[26:27], 1.0
	v_mul_f64 v[28:29], v[12:13], v[18:19]
	ds_read2_b64 v[10:13], v34 offset0:127 offset1:128
	v_mul_f64 v[30:31], v[26:27], v[30:31]
	v_mul_f64 v[14:15], v[14:15], v[26:27]
	v_mul_f64 v[28:29], v[28:29], -v[26:27]
	v_mul_f64 v[24:25], v[26:27], v[24:25]
	v_mul_f64 v[32:33], v[20:21], -v[26:27]
	v_mul_f64 v[26:27], v[26:27], v[18:19]
	ds_read2_b64 v[18:21], v34 offset0:63 offset1:64
	s_waitcnt lgkmcnt(1)
	v_fma_f64 v[16:17], -v[10:11], v[30:31], v[16:17]
	v_fma_f64 v[12:13], -v[14:15], v[22:23], v[12:13]
	s_waitcnt lgkmcnt(0)
	v_fma_f64 v[20:21], -v[28:29], v[22:23], v[20:21]
	v_mul_f64 v[22:23], v[24:25], -v[22:23]
	v_fma_f64 v[18:19], -v[32:33], v[10:11], v[18:19]
	v_mul_f64 v[10:11], v[26:27], -v[10:11]
	ds_write2_b64 v34, v[32:33], v[28:29] offset0:47 offset1:80
	ds_write2_b64 v34, v[26:27], v[14:15] offset0:111 offset1:144
	;; [unrolled: 1-line block ×3, first 2 shown]
	ds_write2_b64 v34, v[22:23], v[24:25] offset1:16
	ds_write2_b64 v34, v[18:19], v[20:21] offset0:63 offset1:64
	ds_write2_b64 v34, v[10:11], v[12:13] offset0:127 offset1:128
.LBB100_10:
	s_or_b64 exec, exec, s[8:9]
	v_lshlrev_b32_e32 v10, 4, v0
	s_waitcnt lgkmcnt(0)
	; wave barrier
	s_and_saveexec_b64 s[8:9], s[6:7]
	s_cbranch_execz .LBB100_12
; %bb.11:
	v_max_u32_e32 v19, 1, v10
	v_lshlrev_b32_e32 v23, 3, v19
	ds_read2_b64 v[11:14], v9 offset0:136 offset1:167
	ds_read2_b64 v[15:18], v9 offset0:72 offset1:103
	ds_read_b64 v[19:20], v23 offset:1272
	v_min_u32_e32 v21, 15, v10
	v_lshlrev_b32_e32 v24, 3, v21
	ds_read_b64 v[21:22], v24 offset:1152
	s_waitcnt lgkmcnt(1)
	v_fma_f64 v[13:14], -v[17:18], v[19:20], v[13:14]
	ds_read2_b64 v[17:20], v9 offset0:8 offset1:39
	s_waitcnt lgkmcnt(0)
	v_fma_f64 v[13:14], -v[19:20], v[21:22], v[13:14]
	ds_write_b64 v9, v[13:14] offset:1336
	ds_read_b64 v[13:14], v23 offset:1272
	s_waitcnt lgkmcnt(0)
	v_fma_f64 v[11:12], -v[15:16], v[13:14], v[11:12]
	ds_write_b64 v9, v[11:12] offset:1088
	ds_read_b64 v[13:14], v24 offset:1152
	s_waitcnt lgkmcnt(0)
	v_fma_f64 v[11:12], -v[17:18], v[13:14], v[11:12]
	ds_write_b64 v9, v[11:12] offset:1088
.LBB100_12:
	s_or_b64 exec, exec, s[8:9]
	s_waitcnt lgkmcnt(0)
	; wave barrier
	s_and_saveexec_b64 s[6:7], s[4:5]
	s_cbranch_execz .LBB100_14
; %bb.13:
	v_max_u32_e32 v9, 1, v6
	v_lshlrev_b32_e32 v9, 3, v9
	ds_read2_b64 v[11:14], v8 offset0:132 offset1:163
	ds_read2_b64 v[15:18], v8 offset0:68 offset1:99
	ds_read_b64 v[19:20], v9 offset:1272
	v_min_u32_e32 v6, 23, v6
	v_lshlrev_b32_e32 v6, 3, v6
	ds_read_b64 v[21:22], v6 offset:1088
	s_waitcnt lgkmcnt(1)
	v_fma_f64 v[13:14], -v[17:18], v[19:20], v[13:14]
	ds_read2_b64 v[17:20], v8 offset0:4 offset1:35
	s_waitcnt lgkmcnt(0)
	v_fma_f64 v[13:14], -v[19:20], v[21:22], v[13:14]
	ds_write_b64 v8, v[13:14] offset:1304
	ds_read_b64 v[13:14], v9 offset:1272
	s_waitcnt lgkmcnt(0)
	v_fma_f64 v[11:12], -v[15:16], v[13:14], v[11:12]
	ds_write_b64 v8, v[11:12] offset:1056
	ds_read_b64 v[13:14], v6 offset:1088
	s_waitcnt lgkmcnt(0)
	v_fma_f64 v[11:12], -v[17:18], v[13:14], v[11:12]
	ds_write_b64 v8, v[11:12] offset:1056
.LBB100_14:
	s_or_b64 exec, exec, s[6:7]
	s_waitcnt lgkmcnt(0)
	; wave barrier
	s_and_saveexec_b64 s[4:5], s[2:3]
	s_cbranch_execz .LBB100_16
; %bb.15:
	v_lshlrev_b32_e32 v6, 2, v0
	v_max_u32_e32 v8, 1, v6
	v_lshlrev_b32_e32 v23, 3, v8
	ds_read2_b64 v[11:14], v7 offset0:130 offset1:161
	ds_read2_b64 v[15:18], v7 offset0:66 offset1:97
	ds_read_b64 v[8:9], v23 offset:1272
	v_min_u32_e32 v6, 27, v6
	v_lshlrev_b32_e32 v6, 3, v6
	ds_read_b64 v[21:22], v6 offset:1056
	s_waitcnt lgkmcnt(1)
	v_fma_f64 v[8:9], -v[17:18], v[8:9], v[13:14]
	ds_read2_b64 v[17:20], v7 offset0:2 offset1:33
	s_waitcnt lgkmcnt(0)
	v_fma_f64 v[8:9], -v[19:20], v[21:22], v[8:9]
	ds_write_b64 v7, v[8:9] offset:1288
	ds_read_b64 v[8:9], v23 offset:1272
	s_waitcnt lgkmcnt(0)
	v_fma_f64 v[8:9], -v[15:16], v[8:9], v[11:12]
	ds_write_b64 v7, v[8:9] offset:1040
	ds_read_b64 v[11:12], v6 offset:1056
	s_waitcnt lgkmcnt(0)
	v_fma_f64 v[8:9], -v[17:18], v[11:12], v[8:9]
	ds_write_b64 v7, v[8:9] offset:1040
.LBB100_16:
	s_or_b64 exec, exec, s[4:5]
	s_waitcnt lgkmcnt(0)
	; wave barrier
	s_and_saveexec_b64 s[2:3], s[0:1]
	s_cbranch_execz .LBB100_18
; %bb.17:
	v_lshlrev_b32_e32 v0, 1, v0
	v_max_u32_e32 v15, 1, v0
	v_lshlrev_b32_e32 v19, 3, v15
	ds_read2_b64 v[6:9], v10 offset0:129 offset1:160
	ds_read2_b64 v[11:14], v10 offset0:65 offset1:96
	ds_read_b64 v[15:16], v19 offset:1272
	v_min_u32_e32 v0, 29, v0
	v_lshlrev_b32_e32 v0, 3, v0
	ds_read_b64 v[17:18], v0 offset:1040
	s_waitcnt lgkmcnt(1)
	v_fma_f64 v[8:9], -v[13:14], v[15:16], v[8:9]
	ds_read2_b64 v[13:16], v10 offset0:1 offset1:32
	s_waitcnt lgkmcnt(0)
	v_fma_f64 v[8:9], -v[15:16], v[17:18], v[8:9]
	ds_write_b64 v10, v[8:9] offset:1280
	ds_read_b64 v[8:9], v19 offset:1272
	s_waitcnt lgkmcnt(0)
	v_fma_f64 v[6:7], -v[11:12], v[8:9], v[6:7]
	ds_write_b64 v10, v[6:7] offset:1032
	ds_read_b64 v[8:9], v0 offset:1040
	s_waitcnt lgkmcnt(0)
	v_fma_f64 v[6:7], -v[13:14], v[8:9], v[6:7]
	ds_write_b64 v10, v[6:7] offset:1032
.LBB100_18:
	s_or_b64 exec, exec, s[2:3]
	s_waitcnt lgkmcnt(0)
	; wave barrier
	ds_read2_b64 v[5:8], v5 offset1:32
	s_waitcnt lgkmcnt(0)
	global_store_dwordx2 v[1:2], v[5:6], off
	global_store_dwordx2 v[3:4], v[7:8], off
	s_endpgm
	.section	.rodata,"a",@progbits
	.p2align	6, 0x0
	.amdhsa_kernel _ZN9rocsparseL34gtsv_solve_spike_grid_level_kernelILj32EdEEviiiPT0_PKS1_S4_
		.amdhsa_group_segment_fixed_size 1536
		.amdhsa_private_segment_fixed_size 0
		.amdhsa_kernarg_size 40
		.amdhsa_user_sgpr_count 6
		.amdhsa_user_sgpr_private_segment_buffer 1
		.amdhsa_user_sgpr_dispatch_ptr 0
		.amdhsa_user_sgpr_queue_ptr 0
		.amdhsa_user_sgpr_kernarg_segment_ptr 1
		.amdhsa_user_sgpr_dispatch_id 0
		.amdhsa_user_sgpr_flat_scratch_init 0
		.amdhsa_user_sgpr_private_segment_size 0
		.amdhsa_uses_dynamic_stack 0
		.amdhsa_system_sgpr_private_segment_wavefront_offset 0
		.amdhsa_system_sgpr_workgroup_id_x 1
		.amdhsa_system_sgpr_workgroup_id_y 1
		.amdhsa_system_sgpr_workgroup_id_z 0
		.amdhsa_system_sgpr_workgroup_info 0
		.amdhsa_system_vgpr_workitem_id 0
		.amdhsa_next_free_vgpr 42
		.amdhsa_next_free_sgpr 12
		.amdhsa_reserve_vcc 1
		.amdhsa_reserve_flat_scratch 0
		.amdhsa_float_round_mode_32 0
		.amdhsa_float_round_mode_16_64 0
		.amdhsa_float_denorm_mode_32 3
		.amdhsa_float_denorm_mode_16_64 3
		.amdhsa_dx10_clamp 1
		.amdhsa_ieee_mode 1
		.amdhsa_fp16_overflow 0
		.amdhsa_exception_fp_ieee_invalid_op 0
		.amdhsa_exception_fp_denorm_src 0
		.amdhsa_exception_fp_ieee_div_zero 0
		.amdhsa_exception_fp_ieee_overflow 0
		.amdhsa_exception_fp_ieee_underflow 0
		.amdhsa_exception_fp_ieee_inexact 0
		.amdhsa_exception_int_div_zero 0
	.end_amdhsa_kernel
	.section	.text._ZN9rocsparseL34gtsv_solve_spike_grid_level_kernelILj32EdEEviiiPT0_PKS1_S4_,"axG",@progbits,_ZN9rocsparseL34gtsv_solve_spike_grid_level_kernelILj32EdEEviiiPT0_PKS1_S4_,comdat
.Lfunc_end100:
	.size	_ZN9rocsparseL34gtsv_solve_spike_grid_level_kernelILj32EdEEviiiPT0_PKS1_S4_, .Lfunc_end100-_ZN9rocsparseL34gtsv_solve_spike_grid_level_kernelILj32EdEEviiiPT0_PKS1_S4_
                                        ; -- End function
	.set _ZN9rocsparseL34gtsv_solve_spike_grid_level_kernelILj32EdEEviiiPT0_PKS1_S4_.num_vgpr, 42
	.set _ZN9rocsparseL34gtsv_solve_spike_grid_level_kernelILj32EdEEviiiPT0_PKS1_S4_.num_agpr, 0
	.set _ZN9rocsparseL34gtsv_solve_spike_grid_level_kernelILj32EdEEviiiPT0_PKS1_S4_.numbered_sgpr, 12
	.set _ZN9rocsparseL34gtsv_solve_spike_grid_level_kernelILj32EdEEviiiPT0_PKS1_S4_.num_named_barrier, 0
	.set _ZN9rocsparseL34gtsv_solve_spike_grid_level_kernelILj32EdEEviiiPT0_PKS1_S4_.private_seg_size, 0
	.set _ZN9rocsparseL34gtsv_solve_spike_grid_level_kernelILj32EdEEviiiPT0_PKS1_S4_.uses_vcc, 1
	.set _ZN9rocsparseL34gtsv_solve_spike_grid_level_kernelILj32EdEEviiiPT0_PKS1_S4_.uses_flat_scratch, 0
	.set _ZN9rocsparseL34gtsv_solve_spike_grid_level_kernelILj32EdEEviiiPT0_PKS1_S4_.has_dyn_sized_stack, 0
	.set _ZN9rocsparseL34gtsv_solve_spike_grid_level_kernelILj32EdEEviiiPT0_PKS1_S4_.has_recursion, 0
	.set _ZN9rocsparseL34gtsv_solve_spike_grid_level_kernelILj32EdEEviiiPT0_PKS1_S4_.has_indirect_call, 0
	.section	.AMDGPU.csdata,"",@progbits
; Kernel info:
; codeLenInByte = 2680
; TotalNumSgprs: 16
; NumVgprs: 42
; ScratchSize: 0
; MemoryBound: 1
; FloatMode: 240
; IeeeMode: 1
; LDSByteSize: 1536 bytes/workgroup (compile time only)
; SGPRBlocks: 1
; VGPRBlocks: 10
; NumSGPRsForWavesPerEU: 16
; NumVGPRsForWavesPerEU: 42
; Occupancy: 5
; WaveLimiterHint : 1
; COMPUTE_PGM_RSRC2:SCRATCH_EN: 0
; COMPUTE_PGM_RSRC2:USER_SGPR: 6
; COMPUTE_PGM_RSRC2:TRAP_HANDLER: 0
; COMPUTE_PGM_RSRC2:TGID_X_EN: 1
; COMPUTE_PGM_RSRC2:TGID_Y_EN: 1
; COMPUTE_PGM_RSRC2:TGID_Z_EN: 0
; COMPUTE_PGM_RSRC2:TIDIG_COMP_CNT: 0
	.section	.text._ZN9rocsparseL34gtsv_solve_spike_grid_level_kernelILj64EdEEviiiPT0_PKS1_S4_,"axG",@progbits,_ZN9rocsparseL34gtsv_solve_spike_grid_level_kernelILj64EdEEviiiPT0_PKS1_S4_,comdat
	.globl	_ZN9rocsparseL34gtsv_solve_spike_grid_level_kernelILj64EdEEviiiPT0_PKS1_S4_ ; -- Begin function _ZN9rocsparseL34gtsv_solve_spike_grid_level_kernelILj64EdEEviiiPT0_PKS1_S4_
	.p2align	8
	.type	_ZN9rocsparseL34gtsv_solve_spike_grid_level_kernelILj64EdEEviiiPT0_PKS1_S4_,@function
_ZN9rocsparseL34gtsv_solve_spike_grid_level_kernelILj64EdEEviiiPT0_PKS1_S4_: ; @_ZN9rocsparseL34gtsv_solve_spike_grid_level_kernelILj64EdEEviiiPT0_PKS1_S4_
; %bb.0:
	s_load_dwordx4 s[0:3], s[4:5], 0x10
	s_load_dwordx2 s[8:9], s[4:5], 0x20
	v_lshl_or_b32 v3, s7, 7, v0
	v_mov_b32_e32 v4, 0
	v_lshlrev_b64 v[1:2], 3, v[3:4]
	v_or_b32_e32 v3, 64, v3
	s_waitcnt lgkmcnt(0)
	v_mov_b32_e32 v5, s1
	v_add_co_u32_e32 v1, vcc, s0, v1
	v_lshlrev_b64 v[3:4], 3, v[3:4]
	v_addc_co_u32_e32 v2, vcc, v5, v2, vcc
	v_lshlrev_b32_e32 v6, 3, v0
	v_add_co_u32_e32 v3, vcc, s0, v3
	global_load_dwordx2 v[7:8], v6, s[2:3]
	global_load_dwordx2 v[9:10], v6, s[2:3] offset:512
	global_load_dwordx2 v[11:12], v6, s[8:9]
	global_load_dwordx2 v[13:14], v6, s[8:9] offset:512
	v_addc_co_u32_e32 v4, vcc, v5, v4, vcc
	global_load_dwordx2 v[15:16], v[1:2], off
	global_load_dwordx2 v[17:18], v[3:4], off
	v_or_b32_e32 v5, 0x800, v6
	v_cmp_gt_u32_e64 s[0:1], 32, v0
	s_waitcnt vmcnt(4)
	ds_write2st64_b64 v6, v[7:8], v[9:10] offset0:2 offset1:3
	s_waitcnt vmcnt(2)
	ds_write2st64_b64 v6, v[11:12], v[13:14] offset1:1
	s_waitcnt vmcnt(0)
	ds_write2st64_b64 v6, v[15:16], v[17:18] offset0:4 offset1:5
	s_waitcnt lgkmcnt(0)
	; wave barrier
	s_and_saveexec_b64 s[2:3], s[0:1]
	s_cbranch_execz .LBB101_2
; %bb.1:
	v_or_b32_e32 v7, 0x400, v6
	v_add_u32_e32 v39, v7, v6
	v_add_u32_e32 v40, v6, v6
	ds_read_b128 v[7:10], v39
	ds_read_b128 v[11:14], v40 offset:512
	ds_read_b128 v[15:18], v40
	ds_read_b128 v[19:22], v39 offset:512
	v_add_u32_e32 v41, v5, v6
	s_waitcnt lgkmcnt(2)
	v_fma_f64 v[31:32], -v[9:10], v[11:12], 1.0
	v_div_scale_f64 v[23:24], s[4:5], v[31:32], v[31:32], 1.0
	v_rcp_f64_e32 v[25:26], v[23:24]
	v_fma_f64 v[27:28], -v[23:24], v[25:26], 1.0
	v_fma_f64 v[25:26], v[25:26], v[27:28], v[25:26]
	v_div_scale_f64 v[27:28], vcc, 1.0, v[31:32], 1.0
	v_fma_f64 v[29:30], -v[23:24], v[25:26], 1.0
	v_fma_f64 v[25:26], v[25:26], v[29:30], v[25:26]
	v_mul_f64 v[29:30], v[27:28], v[25:26]
	v_fma_f64 v[23:24], -v[23:24], v[29:30], v[27:28]
	v_div_fmas_f64 v[33:34], v[23:24], v[25:26], v[29:30]
	ds_read_b128 v[23:26], v41 offset:512
	ds_read_b128 v[27:30], v41
	s_waitcnt lgkmcnt(0)
	v_fma_f64 v[35:36], -v[9:10], v[23:24], v[29:30]
	v_fma_f64 v[23:24], -v[11:12], v[29:30], v[23:24]
	v_div_fixup_f64 v[37:38], v[33:34], v[31:32], 1.0
	v_mul_f64 v[31:32], v[9:10], v[19:20]
	v_mul_f64 v[9:10], v[37:38], v[23:24]
	;; [unrolled: 1-line block ×4, first 2 shown]
	v_mul_f64 v[33:34], v[31:32], -v[37:38]
	v_mul_f64 v[17:18], v[37:38], v[17:18]
	v_mul_f64 v[19:20], v[37:38], v[19:20]
	v_fma_f64 v[11:12], -v[21:22], v[9:10], v[25:26]
	v_mul_f64 v[23:24], v[23:24], -v[37:38]
	v_fma_f64 v[27:28], -v[29:30], v[15:16], v[27:28]
	v_fma_f64 v[31:32], -v[33:34], v[15:16], v[7:8]
	v_mul_f64 v[15:16], v[17:18], -v[15:16]
	v_fma_f64 v[25:26], -v[23:24], v[21:22], v[13:14]
	v_mul_f64 v[21:22], v[19:20], -v[21:22]
	ds_write_b128 v41, v[27:30]
	ds_write_b128 v41, v[9:12] offset:512
	ds_write_b128 v39, v[31:34]
	ds_write_b128 v40, v[15:18]
	ds_write_b128 v40, v[23:26] offset:512
	ds_write_b128 v39, v[19:22] offset:512
.LBB101_2:
	s_or_b64 exec, exec, s[2:3]
	v_cmp_gt_u32_e64 s[2:3], 16, v0
	v_lshlrev_b32_e32 v7, 5, v0
	s_waitcnt lgkmcnt(0)
	; wave barrier
	s_and_saveexec_b64 s[4:5], s[2:3]
	s_cbranch_execz .LBB101_4
; %bb.3:
	v_mad_u32_u24 v38, v0, 24, v6
	ds_read2_b64 v[8:11], v7 offset0:128 offset1:130
	ds_read2_b64 v[12:15], v38 offset0:65 offset1:67
	v_mad_u32_u24 v39, v0, 24, v5
	s_waitcnt lgkmcnt(0)
	v_fma_f64 v[32:33], -v[10:11], v[12:13], 1.0
	v_div_scale_f64 v[16:17], s[6:7], v[32:33], v[32:33], 1.0
	v_rcp_f64_e32 v[18:19], v[16:17]
	v_fma_f64 v[20:21], -v[16:17], v[18:19], 1.0
	v_fma_f64 v[18:19], v[18:19], v[20:21], v[18:19]
	v_div_scale_f64 v[20:21], vcc, 1.0, v[32:33], 1.0
	v_fma_f64 v[22:23], -v[16:17], v[18:19], 1.0
	v_fma_f64 v[18:19], v[18:19], v[22:23], v[18:19]
	v_mul_f64 v[22:23], v[20:21], v[18:19]
	v_fma_f64 v[16:17], -v[16:17], v[22:23], v[20:21]
	v_div_fmas_f64 v[34:35], v[16:17], v[18:19], v[22:23]
	ds_read2_b64 v[16:19], v39 offset0:65 offset1:67
	ds_read2_b64 v[20:23], v39 offset1:2
	ds_read2_b64 v[24:27], v7 offset0:193 offset1:195
	ds_read2_b64 v[28:31], v38 offset1:2
	s_waitcnt lgkmcnt(2)
	v_fma_f64 v[36:37], -v[10:11], v[16:17], v[22:23]
	v_fma_f64 v[16:17], -v[12:13], v[22:23], v[16:17]
	s_waitcnt lgkmcnt(1)
	v_mul_f64 v[10:11], v[10:11], v[24:25]
	s_waitcnt lgkmcnt(0)
	v_mul_f64 v[12:13], v[12:13], v[30:31]
	v_div_fixup_f64 v[32:33], v[34:35], v[32:33], 1.0
	v_mul_f64 v[22:23], v[36:37], v[32:33]
	v_mul_f64 v[16:17], v[32:33], v[16:17]
	v_mul_f64 v[10:11], v[10:11], -v[32:33]
	v_mul_f64 v[30:31], v[32:33], v[30:31]
	v_mul_f64 v[12:13], v[12:13], -v[32:33]
	v_mul_f64 v[24:25], v[32:33], v[24:25]
	v_fma_f64 v[20:21], -v[22:23], v[28:29], v[20:21]
	v_fma_f64 v[18:19], -v[26:27], v[16:17], v[18:19]
	;; [unrolled: 1-line block ×3, first 2 shown]
	v_mul_f64 v[28:29], v[30:31], -v[28:29]
	v_fma_f64 v[14:15], -v[12:13], v[26:27], v[14:15]
	v_mul_f64 v[26:27], v[24:25], -v[26:27]
	ds_write2_b64 v39, v[20:21], v[22:23] offset1:2
	ds_write2_b64 v39, v[16:17], v[18:19] offset0:65 offset1:67
	ds_write2_b64 v7, v[8:9], v[10:11] offset0:128 offset1:130
	ds_write2_b64 v38, v[28:29], v[30:31] offset1:2
	ds_write2_b64 v38, v[12:13], v[14:15] offset0:65 offset1:67
	ds_write2_b64 v7, v[24:25], v[26:27] offset0:193 offset1:195
.LBB101_4:
	s_or_b64 exec, exec, s[4:5]
	v_cmp_gt_u32_e64 s[4:5], 8, v0
	v_lshlrev_b32_e32 v8, 6, v0
	s_waitcnt lgkmcnt(0)
	; wave barrier
	s_and_saveexec_b64 s[6:7], s[4:5]
	s_cbranch_execz .LBB101_6
; %bb.5:
	ds_read2_b64 v[9:12], v8 offset0:128 offset1:132
	ds_read2_b64 v[13:16], v8 offset0:67 offset1:71
	v_add_u32_e32 v39, 0x800, v8
	s_waitcnt lgkmcnt(0)
	v_fma_f64 v[33:34], -v[11:12], v[13:14], 1.0
	v_div_scale_f64 v[17:18], s[8:9], v[33:34], v[33:34], 1.0
	v_rcp_f64_e32 v[19:20], v[17:18]
	v_fma_f64 v[21:22], -v[17:18], v[19:20], 1.0
	v_fma_f64 v[19:20], v[19:20], v[21:22], v[19:20]
	v_div_scale_f64 v[21:22], vcc, 1.0, v[33:34], 1.0
	v_fma_f64 v[23:24], -v[17:18], v[19:20], 1.0
	v_fma_f64 v[19:20], v[19:20], v[23:24], v[19:20]
	v_mul_f64 v[23:24], v[21:22], v[19:20]
	v_fma_f64 v[17:18], -v[17:18], v[23:24], v[21:22]
	v_div_fmas_f64 v[35:36], v[17:18], v[19:20], v[23:24]
	ds_read2_b64 v[17:20], v39 offset0:67 offset1:71
	ds_read2_b64 v[21:24], v39 offset1:4
	ds_read2_b64 v[25:28], v8 offset0:195 offset1:199
	ds_read2_b64 v[29:32], v8 offset1:4
	s_waitcnt lgkmcnt(2)
	v_fma_f64 v[37:38], -v[11:12], v[17:18], v[23:24]
	v_fma_f64 v[17:18], -v[13:14], v[23:24], v[17:18]
	s_waitcnt lgkmcnt(1)
	v_mul_f64 v[11:12], v[11:12], v[25:26]
	s_waitcnt lgkmcnt(0)
	v_mul_f64 v[13:14], v[13:14], v[31:32]
	v_div_fixup_f64 v[33:34], v[35:36], v[33:34], 1.0
	v_mul_f64 v[23:24], v[37:38], v[33:34]
	v_mul_f64 v[17:18], v[33:34], v[17:18]
	v_mul_f64 v[11:12], v[11:12], -v[33:34]
	v_mul_f64 v[31:32], v[33:34], v[31:32]
	v_mul_f64 v[13:14], v[13:14], -v[33:34]
	v_mul_f64 v[25:26], v[33:34], v[25:26]
	v_fma_f64 v[21:22], -v[23:24], v[29:30], v[21:22]
	v_fma_f64 v[19:20], -v[27:28], v[17:18], v[19:20]
	v_fma_f64 v[9:10], -v[11:12], v[29:30], v[9:10]
	v_mul_f64 v[29:30], v[31:32], -v[29:30]
	v_fma_f64 v[15:16], -v[13:14], v[27:28], v[15:16]
	v_mul_f64 v[27:28], v[25:26], -v[27:28]
	ds_write2_b64 v39, v[21:22], v[23:24] offset1:4
	ds_write2_b64 v39, v[17:18], v[19:20] offset0:67 offset1:71
	ds_write2_b64 v8, v[9:10], v[11:12] offset0:128 offset1:132
	ds_write2_b64 v8, v[29:30], v[31:32] offset1:4
	ds_write2_b64 v8, v[13:14], v[15:16] offset0:67 offset1:71
	ds_write2_b64 v8, v[25:26], v[27:28] offset0:195 offset1:199
.LBB101_6:
	s_or_b64 exec, exec, s[6:7]
	v_cmp_gt_u32_e64 s[6:7], 4, v0
	v_lshlrev_b32_e32 v9, 7, v0
	s_waitcnt lgkmcnt(0)
	; wave barrier
	s_and_saveexec_b64 s[8:9], s[6:7]
	s_cbranch_execz .LBB101_8
; %bb.7:
	ds_read2_b64 v[10:13], v9 offset0:128 offset1:136
	ds_read2_b64 v[14:17], v9 offset0:71 offset1:79
	v_add_u32_e32 v40, 0x800, v9
	s_waitcnt lgkmcnt(0)
	v_fma_f64 v[34:35], -v[12:13], v[14:15], 1.0
	v_div_scale_f64 v[18:19], s[10:11], v[34:35], v[34:35], 1.0
	v_rcp_f64_e32 v[20:21], v[18:19]
	v_fma_f64 v[22:23], -v[18:19], v[20:21], 1.0
	v_fma_f64 v[20:21], v[20:21], v[22:23], v[20:21]
	v_div_scale_f64 v[22:23], vcc, 1.0, v[34:35], 1.0
	v_fma_f64 v[24:25], -v[18:19], v[20:21], 1.0
	v_fma_f64 v[20:21], v[20:21], v[24:25], v[20:21]
	v_mul_f64 v[24:25], v[22:23], v[20:21]
	v_fma_f64 v[18:19], -v[18:19], v[24:25], v[22:23]
	v_div_fmas_f64 v[36:37], v[18:19], v[20:21], v[24:25]
	ds_read2_b64 v[18:21], v40 offset0:71 offset1:79
	ds_read2_b64 v[22:25], v40 offset1:8
	ds_read2_b64 v[26:29], v9 offset0:199 offset1:207
	ds_read2_b64 v[30:33], v9 offset1:8
	s_waitcnt lgkmcnt(2)
	v_fma_f64 v[38:39], -v[12:13], v[18:19], v[24:25]
	v_fma_f64 v[18:19], -v[14:15], v[24:25], v[18:19]
	s_waitcnt lgkmcnt(1)
	v_mul_f64 v[12:13], v[12:13], v[26:27]
	s_waitcnt lgkmcnt(0)
	v_mul_f64 v[14:15], v[14:15], v[32:33]
	v_div_fixup_f64 v[34:35], v[36:37], v[34:35], 1.0
	v_mul_f64 v[24:25], v[38:39], v[34:35]
	v_mul_f64 v[18:19], v[34:35], v[18:19]
	v_mul_f64 v[12:13], v[12:13], -v[34:35]
	v_mul_f64 v[32:33], v[34:35], v[32:33]
	v_mul_f64 v[14:15], v[14:15], -v[34:35]
	v_mul_f64 v[26:27], v[34:35], v[26:27]
	v_fma_f64 v[22:23], -v[24:25], v[30:31], v[22:23]
	v_fma_f64 v[20:21], -v[28:29], v[18:19], v[20:21]
	v_fma_f64 v[10:11], -v[12:13], v[30:31], v[10:11]
	v_mul_f64 v[30:31], v[32:33], -v[30:31]
	v_fma_f64 v[16:17], -v[14:15], v[28:29], v[16:17]
	v_mul_f64 v[28:29], v[26:27], -v[28:29]
	ds_write2_b64 v40, v[22:23], v[24:25] offset1:8
	ds_write2_b64 v40, v[18:19], v[20:21] offset0:71 offset1:79
	ds_write2_b64 v9, v[10:11], v[12:13] offset0:128 offset1:136
	ds_write2_b64 v9, v[30:31], v[32:33] offset1:8
	ds_write2_b64 v9, v[14:15], v[16:17] offset0:71 offset1:79
	ds_write2_b64 v9, v[26:27], v[28:29] offset0:199 offset1:207
.LBB101_8:
	;; [unrolled: 54-line block ×3, first 2 shown]
	s_or_b64 exec, exec, s[10:11]
	v_cmp_eq_u32_e32 vcc, 0, v0
	s_waitcnt lgkmcnt(0)
	; wave barrier
	s_and_saveexec_b64 s[10:11], vcc
	s_cbranch_execz .LBB101_12
; %bb.11:
	v_mov_b32_e32 v35, 0
	ds_read2_b64 v[11:14], v35 offset0:95 offset1:160
	v_mov_b32_e32 v38, 0x7f8
	s_waitcnt lgkmcnt(0)
	v_fma_f64 v[27:28], -v[13:14], v[11:12], 1.0
	v_div_scale_f64 v[15:16], s[12:13], v[27:28], v[27:28], 1.0
	s_movk_i32 s12, 0x800
	s_movk_i32 s13, 0x400
	v_add_u32_e64 v36, s12, 0
	v_add_u32_e64 v37, s13, 0
	v_rcp_f64_e32 v[17:18], v[15:16]
	v_fma_f64 v[19:20], -v[15:16], v[17:18], 1.0
	v_fma_f64 v[17:18], v[17:18], v[19:20], v[17:18]
	v_div_scale_f64 v[19:20], vcc, 1.0, v[27:28], 1.0
	v_fma_f64 v[21:22], -v[15:16], v[17:18], 1.0
	v_fma_f64 v[17:18], v[17:18], v[21:22], v[17:18]
	v_mul_f64 v[21:22], v[19:20], v[17:18]
	v_fma_f64 v[15:16], -v[15:16], v[21:22], v[19:20]
	v_div_fmas_f64 v[29:30], v[15:16], v[17:18], v[21:22]
	ds_read2_b64 v[15:18], v36 offset0:95 offset1:127
	ds_read2_b64 v[19:22], v37 offset0:95 offset1:160
	ds_read2_b64 v[23:26], v35 offset1:32
	s_waitcnt lgkmcnt(1)
	v_fma_f64 v[31:32], -v[11:12], v[21:22], v[15:16]
	v_fma_f64 v[15:16], -v[13:14], v[15:16], v[21:22]
	s_waitcnt lgkmcnt(0)
	v_mul_f64 v[21:22], v[11:12], v[25:26]
	v_div_fixup_f64 v[27:28], v[29:30], v[27:28], 1.0
	v_mul_f64 v[29:30], v[13:14], v[19:20]
	ds_read2_b64 v[11:14], v38 offset1:1
	v_mul_f64 v[31:32], v[27:28], v[31:32]
	v_mul_f64 v[15:16], v[15:16], v[27:28]
	v_mul_f64 v[29:30], v[29:30], -v[27:28]
	v_mul_f64 v[25:26], v[27:28], v[25:26]
	v_mul_f64 v[33:34], v[21:22], -v[27:28]
	v_mul_f64 v[27:28], v[27:28], v[19:20]
	ds_read2_b64 v[19:22], v35 offset0:127 offset1:128
	s_waitcnt lgkmcnt(1)
	v_fma_f64 v[17:18], -v[11:12], v[31:32], v[17:18]
	v_fma_f64 v[13:14], -v[15:16], v[23:24], v[13:14]
	s_waitcnt lgkmcnt(0)
	v_fma_f64 v[21:22], -v[29:30], v[23:24], v[21:22]
	v_mul_f64 v[23:24], v[25:26], -v[23:24]
	v_fma_f64 v[19:20], -v[33:34], v[11:12], v[19:20]
	v_mul_f64 v[11:12], v[27:28], -v[11:12]
	ds_write2_b64 v35, v[33:34], v[29:30] offset0:95 offset1:160
	ds_write2_b64 v37, v[27:28], v[15:16] offset0:95 offset1:160
	;; [unrolled: 1-line block ×3, first 2 shown]
	ds_write2_b64 v35, v[23:24], v[25:26] offset1:32
	ds_write2_b64 v35, v[19:20], v[21:22] offset0:127 offset1:128
	ds_write2_b64 v38, v[11:12], v[13:14] offset1:1
.LBB101_12:
	s_or_b64 exec, exec, s[10:11]
	s_waitcnt lgkmcnt(0)
	; wave barrier
	s_and_saveexec_b64 s[10:11], s[8:9]
	s_cbranch_execz .LBB101_14
; %bb.13:
	v_max_u32_e32 v19, 1, v7
	v_add_u32_e32 v11, 0x800, v10
	v_lshlrev_b32_e32 v23, 3, v19
	ds_read2_b64 v[11:14], v11 offset0:16 offset1:79
	ds_read2_b64 v[15:18], v10 offset0:144 offset1:207
	ds_read_b64 v[19:20], v23 offset:2552
	v_min_u32_e32 v21, 31, v7
	v_lshlrev_b32_e32 v24, 3, v21
	ds_read_b64 v[21:22], v24 offset:2304
	s_waitcnt lgkmcnt(1)
	v_fma_f64 v[13:14], -v[17:18], v[19:20], v[13:14]
	ds_read2_b64 v[17:20], v10 offset0:16 offset1:79
	s_waitcnt lgkmcnt(0)
	v_fma_f64 v[13:14], -v[19:20], v[21:22], v[13:14]
	ds_write_b64 v10, v[13:14] offset:2680
	ds_read_b64 v[13:14], v23 offset:2552
	s_waitcnt lgkmcnt(0)
	v_fma_f64 v[11:12], -v[15:16], v[13:14], v[11:12]
	ds_write_b64 v10, v[11:12] offset:2176
	ds_read_b64 v[13:14], v24 offset:2304
	s_waitcnt lgkmcnt(0)
	v_fma_f64 v[11:12], -v[17:18], v[13:14], v[11:12]
	ds_write_b64 v10, v[11:12] offset:2176
.LBB101_14:
	s_or_b64 exec, exec, s[10:11]
	v_lshlrev_b32_e32 v10, 4, v0
	s_waitcnt lgkmcnt(0)
	; wave barrier
	s_and_saveexec_b64 s[8:9], s[6:7]
	s_cbranch_execz .LBB101_16
; %bb.15:
	v_max_u32_e32 v19, 1, v10
	v_add_u32_e32 v11, 0x800, v9
	v_lshlrev_b32_e32 v23, 3, v19
	ds_read2_b64 v[11:14], v11 offset0:8 offset1:71
	ds_read2_b64 v[15:18], v9 offset0:136 offset1:199
	ds_read_b64 v[19:20], v23 offset:2552
	v_min_u32_e32 v21, 47, v10
	v_lshlrev_b32_e32 v24, 3, v21
	ds_read_b64 v[21:22], v24 offset:2176
	s_waitcnt lgkmcnt(1)
	v_fma_f64 v[13:14], -v[17:18], v[19:20], v[13:14]
	ds_read2_b64 v[17:20], v9 offset0:8 offset1:71
	s_waitcnt lgkmcnt(0)
	v_fma_f64 v[13:14], -v[19:20], v[21:22], v[13:14]
	ds_write_b64 v9, v[13:14] offset:2616
	ds_read_b64 v[13:14], v23 offset:2552
	s_waitcnt lgkmcnt(0)
	v_fma_f64 v[11:12], -v[15:16], v[13:14], v[11:12]
	ds_write_b64 v9, v[11:12] offset:2112
	ds_read_b64 v[13:14], v24 offset:2176
	s_waitcnt lgkmcnt(0)
	v_fma_f64 v[11:12], -v[17:18], v[13:14], v[11:12]
	ds_write_b64 v9, v[11:12] offset:2112
.LBB101_16:
	s_or_b64 exec, exec, s[8:9]
	s_waitcnt lgkmcnt(0)
	; wave barrier
	s_and_saveexec_b64 s[6:7], s[4:5]
	s_cbranch_execz .LBB101_18
; %bb.17:
	v_max_u32_e32 v9, 1, v6
	v_add_u32_e32 v11, 0x800, v8
	v_lshlrev_b32_e32 v9, 3, v9
	ds_read2_b64 v[11:14], v11 offset0:4 offset1:67
	ds_read2_b64 v[15:18], v8 offset0:132 offset1:195
	ds_read_b64 v[19:20], v9 offset:2552
	v_min_u32_e32 v6, 55, v6
	v_lshlrev_b32_e32 v6, 3, v6
	ds_read_b64 v[21:22], v6 offset:2112
	s_waitcnt lgkmcnt(1)
	v_fma_f64 v[13:14], -v[17:18], v[19:20], v[13:14]
	ds_read2_b64 v[17:20], v8 offset0:4 offset1:67
	s_waitcnt lgkmcnt(0)
	v_fma_f64 v[13:14], -v[19:20], v[21:22], v[13:14]
	ds_write_b64 v8, v[13:14] offset:2584
	ds_read_b64 v[13:14], v9 offset:2552
	s_waitcnt lgkmcnt(0)
	v_fma_f64 v[11:12], -v[15:16], v[13:14], v[11:12]
	ds_write_b64 v8, v[11:12] offset:2080
	ds_read_b64 v[13:14], v6 offset:2112
	s_waitcnt lgkmcnt(0)
	v_fma_f64 v[11:12], -v[17:18], v[13:14], v[11:12]
	ds_write_b64 v8, v[11:12] offset:2080
.LBB101_18:
	s_or_b64 exec, exec, s[6:7]
	s_waitcnt lgkmcnt(0)
	; wave barrier
	s_and_saveexec_b64 s[4:5], s[2:3]
	s_cbranch_execz .LBB101_20
; %bb.19:
	v_lshlrev_b32_e32 v6, 2, v0
	v_max_u32_e32 v8, 1, v6
	v_add_u32_e32 v9, 0x800, v7
	v_lshlrev_b32_e32 v23, 3, v8
	ds_read2_b64 v[11:14], v9 offset0:2 offset1:65
	ds_read2_b64 v[15:18], v7 offset0:130 offset1:193
	ds_read_b64 v[8:9], v23 offset:2552
	v_min_u32_e32 v6, 59, v6
	v_lshlrev_b32_e32 v6, 3, v6
	ds_read_b64 v[21:22], v6 offset:2080
	s_waitcnt lgkmcnt(1)
	v_fma_f64 v[8:9], -v[17:18], v[8:9], v[13:14]
	ds_read2_b64 v[17:20], v7 offset0:2 offset1:65
	s_waitcnt lgkmcnt(0)
	v_fma_f64 v[8:9], -v[19:20], v[21:22], v[8:9]
	ds_write_b64 v7, v[8:9] offset:2568
	ds_read_b64 v[8:9], v23 offset:2552
	s_waitcnt lgkmcnt(0)
	v_fma_f64 v[8:9], -v[15:16], v[8:9], v[11:12]
	ds_write_b64 v7, v[8:9] offset:2064
	ds_read_b64 v[11:12], v6 offset:2080
	s_waitcnt lgkmcnt(0)
	v_fma_f64 v[8:9], -v[17:18], v[11:12], v[8:9]
	ds_write_b64 v7, v[8:9] offset:2064
.LBB101_20:
	s_or_b64 exec, exec, s[4:5]
	s_waitcnt lgkmcnt(0)
	; wave barrier
	s_and_saveexec_b64 s[2:3], s[0:1]
	s_cbranch_execz .LBB101_22
; %bb.21:
	v_lshlrev_b32_e32 v0, 1, v0
	v_max_u32_e32 v15, 1, v0
	v_add_u32_e32 v6, 0x800, v10
	v_lshlrev_b32_e32 v19, 3, v15
	ds_read2_b64 v[6:9], v6 offset0:1 offset1:64
	ds_read2_b64 v[11:14], v10 offset0:129 offset1:192
	ds_read_b64 v[15:16], v19 offset:2552
	v_min_u32_e32 v0, 61, v0
	v_lshlrev_b32_e32 v0, 3, v0
	ds_read_b64 v[17:18], v0 offset:2064
	s_waitcnt lgkmcnt(1)
	v_fma_f64 v[8:9], -v[13:14], v[15:16], v[8:9]
	ds_read2_b64 v[13:16], v10 offset0:1 offset1:64
	s_waitcnt lgkmcnt(0)
	v_fma_f64 v[8:9], -v[15:16], v[17:18], v[8:9]
	ds_write_b64 v10, v[8:9] offset:2560
	ds_read_b64 v[8:9], v19 offset:2552
	s_waitcnt lgkmcnt(0)
	v_fma_f64 v[6:7], -v[11:12], v[8:9], v[6:7]
	ds_write_b64 v10, v[6:7] offset:2056
	ds_read_b64 v[8:9], v0 offset:2064
	s_waitcnt lgkmcnt(0)
	v_fma_f64 v[6:7], -v[13:14], v[8:9], v[6:7]
	ds_write_b64 v10, v[6:7] offset:2056
.LBB101_22:
	s_or_b64 exec, exec, s[2:3]
	s_waitcnt lgkmcnt(0)
	; wave barrier
	ds_read2st64_b64 v[5:8], v5 offset1:1
	s_waitcnt lgkmcnt(0)
	global_store_dwordx2 v[1:2], v[5:6], off
	global_store_dwordx2 v[3:4], v[7:8], off
	s_endpgm
	.section	.rodata,"a",@progbits
	.p2align	6, 0x0
	.amdhsa_kernel _ZN9rocsparseL34gtsv_solve_spike_grid_level_kernelILj64EdEEviiiPT0_PKS1_S4_
		.amdhsa_group_segment_fixed_size 3072
		.amdhsa_private_segment_fixed_size 0
		.amdhsa_kernarg_size 40
		.amdhsa_user_sgpr_count 6
		.amdhsa_user_sgpr_private_segment_buffer 1
		.amdhsa_user_sgpr_dispatch_ptr 0
		.amdhsa_user_sgpr_queue_ptr 0
		.amdhsa_user_sgpr_kernarg_segment_ptr 1
		.amdhsa_user_sgpr_dispatch_id 0
		.amdhsa_user_sgpr_flat_scratch_init 0
		.amdhsa_user_sgpr_private_segment_size 0
		.amdhsa_uses_dynamic_stack 0
		.amdhsa_system_sgpr_private_segment_wavefront_offset 0
		.amdhsa_system_sgpr_workgroup_id_x 1
		.amdhsa_system_sgpr_workgroup_id_y 1
		.amdhsa_system_sgpr_workgroup_id_z 0
		.amdhsa_system_sgpr_workgroup_info 0
		.amdhsa_system_vgpr_workitem_id 0
		.amdhsa_next_free_vgpr 42
		.amdhsa_next_free_sgpr 93
		.amdhsa_reserve_vcc 1
		.amdhsa_reserve_flat_scratch 0
		.amdhsa_float_round_mode_32 0
		.amdhsa_float_round_mode_16_64 0
		.amdhsa_float_denorm_mode_32 3
		.amdhsa_float_denorm_mode_16_64 3
		.amdhsa_dx10_clamp 1
		.amdhsa_ieee_mode 1
		.amdhsa_fp16_overflow 0
		.amdhsa_exception_fp_ieee_invalid_op 0
		.amdhsa_exception_fp_denorm_src 0
		.amdhsa_exception_fp_ieee_div_zero 0
		.amdhsa_exception_fp_ieee_overflow 0
		.amdhsa_exception_fp_ieee_underflow 0
		.amdhsa_exception_fp_ieee_inexact 0
		.amdhsa_exception_int_div_zero 0
	.end_amdhsa_kernel
	.section	.text._ZN9rocsparseL34gtsv_solve_spike_grid_level_kernelILj64EdEEviiiPT0_PKS1_S4_,"axG",@progbits,_ZN9rocsparseL34gtsv_solve_spike_grid_level_kernelILj64EdEEviiiPT0_PKS1_S4_,comdat
.Lfunc_end101:
	.size	_ZN9rocsparseL34gtsv_solve_spike_grid_level_kernelILj64EdEEviiiPT0_PKS1_S4_, .Lfunc_end101-_ZN9rocsparseL34gtsv_solve_spike_grid_level_kernelILj64EdEEviiiPT0_PKS1_S4_
                                        ; -- End function
	.set _ZN9rocsparseL34gtsv_solve_spike_grid_level_kernelILj64EdEEviiiPT0_PKS1_S4_.num_vgpr, 42
	.set _ZN9rocsparseL34gtsv_solve_spike_grid_level_kernelILj64EdEEviiiPT0_PKS1_S4_.num_agpr, 0
	.set _ZN9rocsparseL34gtsv_solve_spike_grid_level_kernelILj64EdEEviiiPT0_PKS1_S4_.numbered_sgpr, 14
	.set _ZN9rocsparseL34gtsv_solve_spike_grid_level_kernelILj64EdEEviiiPT0_PKS1_S4_.num_named_barrier, 0
	.set _ZN9rocsparseL34gtsv_solve_spike_grid_level_kernelILj64EdEEviiiPT0_PKS1_S4_.private_seg_size, 0
	.set _ZN9rocsparseL34gtsv_solve_spike_grid_level_kernelILj64EdEEviiiPT0_PKS1_S4_.uses_vcc, 1
	.set _ZN9rocsparseL34gtsv_solve_spike_grid_level_kernelILj64EdEEviiiPT0_PKS1_S4_.uses_flat_scratch, 0
	.set _ZN9rocsparseL34gtsv_solve_spike_grid_level_kernelILj64EdEEviiiPT0_PKS1_S4_.has_dyn_sized_stack, 0
	.set _ZN9rocsparseL34gtsv_solve_spike_grid_level_kernelILj64EdEEviiiPT0_PKS1_S4_.has_recursion, 0
	.set _ZN9rocsparseL34gtsv_solve_spike_grid_level_kernelILj64EdEEviiiPT0_PKS1_S4_.has_indirect_call, 0
	.section	.AMDGPU.csdata,"",@progbits
; Kernel info:
; codeLenInByte = 3296
; TotalNumSgprs: 18
; NumVgprs: 42
; ScratchSize: 0
; MemoryBound: 1
; FloatMode: 240
; IeeeMode: 1
; LDSByteSize: 3072 bytes/workgroup (compile time only)
; SGPRBlocks: 12
; VGPRBlocks: 10
; NumSGPRsForWavesPerEU: 97
; NumVGPRsForWavesPerEU: 42
; Occupancy: 5
; WaveLimiterHint : 1
; COMPUTE_PGM_RSRC2:SCRATCH_EN: 0
; COMPUTE_PGM_RSRC2:USER_SGPR: 6
; COMPUTE_PGM_RSRC2:TRAP_HANDLER: 0
; COMPUTE_PGM_RSRC2:TGID_X_EN: 1
; COMPUTE_PGM_RSRC2:TGID_Y_EN: 1
; COMPUTE_PGM_RSRC2:TGID_Z_EN: 0
; COMPUTE_PGM_RSRC2:TIDIG_COMP_CNT: 0
	.section	.text._ZN9rocsparseL34gtsv_solve_spike_grid_level_kernelILj128EdEEviiiPT0_PKS1_S4_,"axG",@progbits,_ZN9rocsparseL34gtsv_solve_spike_grid_level_kernelILj128EdEEviiiPT0_PKS1_S4_,comdat
	.globl	_ZN9rocsparseL34gtsv_solve_spike_grid_level_kernelILj128EdEEviiiPT0_PKS1_S4_ ; -- Begin function _ZN9rocsparseL34gtsv_solve_spike_grid_level_kernelILj128EdEEviiiPT0_PKS1_S4_
	.p2align	8
	.type	_ZN9rocsparseL34gtsv_solve_spike_grid_level_kernelILj128EdEEviiiPT0_PKS1_S4_,@function
_ZN9rocsparseL34gtsv_solve_spike_grid_level_kernelILj128EdEEviiiPT0_PKS1_S4_: ; @_ZN9rocsparseL34gtsv_solve_spike_grid_level_kernelILj128EdEEviiiPT0_PKS1_S4_
; %bb.0:
	s_load_dwordx4 s[0:3], s[4:5], 0x10
	s_load_dwordx2 s[8:9], s[4:5], 0x20
	v_lshl_or_b32 v3, s7, 8, v0
	v_mov_b32_e32 v4, 0
	v_lshlrev_b64 v[1:2], 3, v[3:4]
	v_or_b32_e32 v3, 0x80, v3
	s_waitcnt lgkmcnt(0)
	v_mov_b32_e32 v5, s1
	v_add_co_u32_e32 v1, vcc, s0, v1
	v_lshlrev_b64 v[3:4], 3, v[3:4]
	v_addc_co_u32_e32 v2, vcc, v5, v2, vcc
	v_lshlrev_b32_e32 v6, 3, v0
	v_add_co_u32_e32 v3, vcc, s0, v3
	global_load_dwordx2 v[7:8], v6, s[2:3]
	global_load_dwordx2 v[9:10], v6, s[2:3] offset:1024
	global_load_dwordx2 v[11:12], v6, s[8:9]
	global_load_dwordx2 v[13:14], v6, s[8:9] offset:1024
	v_addc_co_u32_e32 v4, vcc, v5, v4, vcc
	global_load_dwordx2 v[15:16], v[1:2], off
	global_load_dwordx2 v[17:18], v[3:4], off
	v_or_b32_e32 v5, 0x1000, v6
	v_cmp_gt_u32_e64 s[0:1], 64, v0
	s_waitcnt vmcnt(4)
	ds_write2st64_b64 v6, v[7:8], v[9:10] offset0:4 offset1:6
	s_waitcnt vmcnt(2)
	ds_write2st64_b64 v6, v[11:12], v[13:14] offset1:2
	s_waitcnt vmcnt(0)
	ds_write2st64_b64 v6, v[15:16], v[17:18] offset0:8 offset1:10
	s_waitcnt lgkmcnt(0)
	s_barrier
	s_and_saveexec_b64 s[2:3], s[0:1]
	s_cbranch_execz .LBB102_2
; %bb.1:
	v_or_b32_e32 v7, 0x800, v6
	v_add_u32_e32 v39, v7, v6
	ds_read_b128 v[7:10], v39
	v_add_u32_e32 v40, v6, v6
	ds_read_b128 v[11:14], v40 offset:1024
	ds_read_b128 v[15:18], v40
	ds_read_b128 v[19:22], v39 offset:1024
	v_add_u32_e32 v41, v5, v6
	s_waitcnt lgkmcnt(2)
	v_fma_f64 v[31:32], -v[9:10], v[11:12], 1.0
	v_div_scale_f64 v[23:24], s[4:5], v[31:32], v[31:32], 1.0
	v_rcp_f64_e32 v[25:26], v[23:24]
	v_fma_f64 v[27:28], -v[23:24], v[25:26], 1.0
	v_fma_f64 v[25:26], v[25:26], v[27:28], v[25:26]
	v_div_scale_f64 v[27:28], vcc, 1.0, v[31:32], 1.0
	v_fma_f64 v[29:30], -v[23:24], v[25:26], 1.0
	v_fma_f64 v[25:26], v[25:26], v[29:30], v[25:26]
	v_mul_f64 v[29:30], v[27:28], v[25:26]
	v_fma_f64 v[23:24], -v[23:24], v[29:30], v[27:28]
	v_div_fmas_f64 v[33:34], v[23:24], v[25:26], v[29:30]
	ds_read_b128 v[23:26], v41 offset:1024
	ds_read_b128 v[27:30], v41
	s_waitcnt lgkmcnt(0)
	v_fma_f64 v[35:36], -v[9:10], v[23:24], v[29:30]
	v_fma_f64 v[23:24], -v[11:12], v[29:30], v[23:24]
	v_mul_f64 v[11:12], v[11:12], v[17:18]
	v_div_fixup_f64 v[37:38], v[33:34], v[31:32], 1.0
	v_mul_f64 v[31:32], v[9:10], v[19:20]
	v_mul_f64 v[29:30], v[35:36], v[37:38]
	;; [unrolled: 1-line block ×3, first 2 shown]
	v_mul_f64 v[33:34], v[31:32], -v[37:38]
	v_mul_f64 v[17:18], v[37:38], v[17:18]
	v_mul_f64 v[23:24], v[11:12], -v[37:38]
	v_mul_f64 v[19:20], v[37:38], v[19:20]
	v_fma_f64 v[27:28], -v[29:30], v[15:16], v[27:28]
	v_fma_f64 v[11:12], -v[21:22], v[9:10], v[25:26]
	v_fma_f64 v[31:32], -v[33:34], v[15:16], v[7:8]
	v_mul_f64 v[15:16], v[17:18], -v[15:16]
	v_fma_f64 v[25:26], -v[23:24], v[21:22], v[13:14]
	v_mul_f64 v[21:22], v[19:20], -v[21:22]
	ds_write_b128 v41, v[27:30]
	ds_write_b128 v41, v[9:12] offset:1024
	ds_write_b128 v39, v[31:34]
	ds_write_b128 v40, v[15:18]
	ds_write_b128 v40, v[23:26] offset:1024
	ds_write_b128 v39, v[19:22] offset:1024
.LBB102_2:
	s_or_b64 exec, exec, s[2:3]
	v_cmp_gt_u32_e64 s[2:3], 32, v0
	v_lshlrev_b32_e32 v7, 5, v0
	s_waitcnt lgkmcnt(0)
	s_barrier
	s_and_saveexec_b64 s[4:5], s[2:3]
	s_cbranch_execz .LBB102_4
; %bb.3:
	v_add_u32_e32 v38, 0x800, v7
	v_mad_u32_u24 v39, v0, 24, v6
	ds_read2_b64 v[8:11], v38 offset1:2
	ds_read2_b64 v[12:15], v39 offset0:129 offset1:131
	v_mad_u32_u24 v40, v0, 24, v5
	s_waitcnt lgkmcnt(0)
	v_fma_f64 v[32:33], -v[10:11], v[12:13], 1.0
	v_div_scale_f64 v[16:17], s[6:7], v[32:33], v[32:33], 1.0
	v_rcp_f64_e32 v[18:19], v[16:17]
	v_fma_f64 v[20:21], -v[16:17], v[18:19], 1.0
	v_fma_f64 v[18:19], v[18:19], v[20:21], v[18:19]
	v_div_scale_f64 v[20:21], vcc, 1.0, v[32:33], 1.0
	v_fma_f64 v[22:23], -v[16:17], v[18:19], 1.0
	v_fma_f64 v[18:19], v[18:19], v[22:23], v[18:19]
	v_mul_f64 v[22:23], v[20:21], v[18:19]
	v_fma_f64 v[16:17], -v[16:17], v[22:23], v[20:21]
	v_div_fmas_f64 v[34:35], v[16:17], v[18:19], v[22:23]
	ds_read2_b64 v[16:19], v40 offset0:129 offset1:131
	ds_read2_b64 v[20:23], v40 offset1:2
	ds_read2_b64 v[24:27], v38 offset0:129 offset1:131
	ds_read2_b64 v[28:31], v39 offset1:2
	s_waitcnt lgkmcnt(2)
	v_fma_f64 v[36:37], -v[10:11], v[16:17], v[22:23]
	v_fma_f64 v[16:17], -v[12:13], v[22:23], v[16:17]
	s_waitcnt lgkmcnt(1)
	v_mul_f64 v[10:11], v[10:11], v[24:25]
	s_waitcnt lgkmcnt(0)
	v_mul_f64 v[12:13], v[12:13], v[30:31]
	v_div_fixup_f64 v[32:33], v[34:35], v[32:33], 1.0
	v_mul_f64 v[22:23], v[36:37], v[32:33]
	v_mul_f64 v[16:17], v[32:33], v[16:17]
	v_mul_f64 v[10:11], v[10:11], -v[32:33]
	v_mul_f64 v[30:31], v[32:33], v[30:31]
	v_mul_f64 v[12:13], v[12:13], -v[32:33]
	v_mul_f64 v[24:25], v[32:33], v[24:25]
	v_fma_f64 v[20:21], -v[22:23], v[28:29], v[20:21]
	v_fma_f64 v[18:19], -v[26:27], v[16:17], v[18:19]
	;; [unrolled: 1-line block ×3, first 2 shown]
	v_mul_f64 v[28:29], v[30:31], -v[28:29]
	v_fma_f64 v[14:15], -v[12:13], v[26:27], v[14:15]
	v_mul_f64 v[26:27], v[24:25], -v[26:27]
	ds_write2_b64 v40, v[20:21], v[22:23] offset1:2
	ds_write2_b64 v40, v[16:17], v[18:19] offset0:129 offset1:131
	ds_write2_b64 v38, v[8:9], v[10:11] offset1:2
	ds_write2_b64 v39, v[28:29], v[30:31] offset1:2
	ds_write2_b64 v39, v[12:13], v[14:15] offset0:129 offset1:131
	ds_write2_b64 v38, v[24:25], v[26:27] offset0:129 offset1:131
.LBB102_4:
	s_or_b64 exec, exec, s[4:5]
	v_cmp_gt_u32_e64 s[4:5], 16, v0
	v_lshlrev_b32_e32 v8, 6, v0
	s_waitcnt lgkmcnt(0)
	s_barrier
	s_and_saveexec_b64 s[6:7], s[4:5]
	s_cbranch_execz .LBB102_6
; %bb.5:
	v_add_u32_e32 v39, 0x800, v8
	ds_read2_b64 v[9:12], v8 offset0:131 offset1:135
	ds_read2_b64 v[13:16], v39 offset1:4
	v_add_u32_e32 v40, 0x1000, v8
	s_waitcnt lgkmcnt(0)
	v_fma_f64 v[33:34], -v[15:16], v[9:10], 1.0
	v_div_scale_f64 v[17:18], s[8:9], v[33:34], v[33:34], 1.0
	v_rcp_f64_e32 v[19:20], v[17:18]
	v_fma_f64 v[21:22], -v[17:18], v[19:20], 1.0
	v_fma_f64 v[19:20], v[19:20], v[21:22], v[19:20]
	v_div_scale_f64 v[21:22], vcc, 1.0, v[33:34], 1.0
	v_fma_f64 v[23:24], -v[17:18], v[19:20], 1.0
	v_fma_f64 v[19:20], v[19:20], v[23:24], v[19:20]
	v_mul_f64 v[23:24], v[21:22], v[19:20]
	v_fma_f64 v[17:18], -v[17:18], v[23:24], v[21:22]
	v_div_fmas_f64 v[35:36], v[17:18], v[19:20], v[23:24]
	ds_read2_b64 v[17:20], v40 offset0:131 offset1:135
	ds_read2_b64 v[21:24], v40 offset1:4
	ds_read2_b64 v[25:28], v39 offset0:131 offset1:135
	ds_read2_b64 v[29:32], v8 offset1:4
	s_waitcnt lgkmcnt(2)
	v_fma_f64 v[37:38], -v[15:16], v[17:18], v[23:24]
	v_fma_f64 v[17:18], -v[9:10], v[23:24], v[17:18]
	s_waitcnt lgkmcnt(1)
	v_mul_f64 v[15:16], v[15:16], v[25:26]
	s_waitcnt lgkmcnt(0)
	v_mul_f64 v[9:10], v[9:10], v[31:32]
	v_div_fixup_f64 v[33:34], v[35:36], v[33:34], 1.0
	v_mul_f64 v[23:24], v[37:38], v[33:34]
	v_mul_f64 v[17:18], v[33:34], v[17:18]
	v_mul_f64 v[15:16], v[15:16], -v[33:34]
	v_mul_f64 v[31:32], v[33:34], v[31:32]
	v_mul_f64 v[9:10], v[9:10], -v[33:34]
	v_mul_f64 v[25:26], v[33:34], v[25:26]
	v_fma_f64 v[21:22], -v[23:24], v[29:30], v[21:22]
	v_fma_f64 v[19:20], -v[27:28], v[17:18], v[19:20]
	v_fma_f64 v[13:14], -v[15:16], v[29:30], v[13:14]
	v_mul_f64 v[29:30], v[31:32], -v[29:30]
	v_fma_f64 v[11:12], -v[9:10], v[27:28], v[11:12]
	v_mul_f64 v[27:28], v[25:26], -v[27:28]
	ds_write2_b64 v40, v[21:22], v[23:24] offset1:4
	ds_write2_b64 v40, v[17:18], v[19:20] offset0:131 offset1:135
	ds_write2_b64 v39, v[13:14], v[15:16] offset1:4
	ds_write2_b64 v8, v[29:30], v[31:32] offset1:4
	ds_write2_b64 v8, v[9:10], v[11:12] offset0:131 offset1:135
	ds_write2_b64 v39, v[25:26], v[27:28] offset0:131 offset1:135
.LBB102_6:
	s_or_b64 exec, exec, s[6:7]
	v_cmp_gt_u32_e64 s[6:7], 8, v0
	v_lshlrev_b32_e32 v9, 7, v0
	s_waitcnt lgkmcnt(0)
	s_barrier
	s_and_saveexec_b64 s[8:9], s[6:7]
	s_cbranch_execz .LBB102_8
; %bb.7:
	v_add_u32_e32 v40, 0x800, v9
	ds_read2_b64 v[10:13], v9 offset0:135 offset1:143
	ds_read2_b64 v[14:17], v40 offset1:8
	v_add_u32_e32 v41, 0x1000, v9
	s_waitcnt lgkmcnt(0)
	v_fma_f64 v[34:35], -v[16:17], v[10:11], 1.0
	v_div_scale_f64 v[18:19], s[10:11], v[34:35], v[34:35], 1.0
	v_rcp_f64_e32 v[20:21], v[18:19]
	v_fma_f64 v[22:23], -v[18:19], v[20:21], 1.0
	v_fma_f64 v[20:21], v[20:21], v[22:23], v[20:21]
	v_div_scale_f64 v[22:23], vcc, 1.0, v[34:35], 1.0
	v_fma_f64 v[24:25], -v[18:19], v[20:21], 1.0
	v_fma_f64 v[20:21], v[20:21], v[24:25], v[20:21]
	v_mul_f64 v[24:25], v[22:23], v[20:21]
	v_fma_f64 v[18:19], -v[18:19], v[24:25], v[22:23]
	v_div_fmas_f64 v[36:37], v[18:19], v[20:21], v[24:25]
	ds_read2_b64 v[18:21], v41 offset0:135 offset1:143
	ds_read2_b64 v[22:25], v41 offset1:8
	ds_read2_b64 v[26:29], v40 offset0:135 offset1:143
	ds_read2_b64 v[30:33], v9 offset1:8
	s_waitcnt lgkmcnt(2)
	v_fma_f64 v[38:39], -v[16:17], v[18:19], v[24:25]
	v_fma_f64 v[18:19], -v[10:11], v[24:25], v[18:19]
	s_waitcnt lgkmcnt(1)
	v_mul_f64 v[16:17], v[16:17], v[26:27]
	s_waitcnt lgkmcnt(0)
	v_mul_f64 v[10:11], v[10:11], v[32:33]
	v_div_fixup_f64 v[34:35], v[36:37], v[34:35], 1.0
	v_mul_f64 v[24:25], v[38:39], v[34:35]
	v_mul_f64 v[18:19], v[34:35], v[18:19]
	v_mul_f64 v[16:17], v[16:17], -v[34:35]
	v_mul_f64 v[32:33], v[34:35], v[32:33]
	v_mul_f64 v[10:11], v[10:11], -v[34:35]
	v_mul_f64 v[26:27], v[34:35], v[26:27]
	v_fma_f64 v[22:23], -v[24:25], v[30:31], v[22:23]
	v_fma_f64 v[20:21], -v[28:29], v[18:19], v[20:21]
	v_fma_f64 v[14:15], -v[16:17], v[30:31], v[14:15]
	v_mul_f64 v[30:31], v[32:33], -v[30:31]
	v_fma_f64 v[12:13], -v[10:11], v[28:29], v[12:13]
	v_mul_f64 v[28:29], v[26:27], -v[28:29]
	ds_write2_b64 v41, v[22:23], v[24:25] offset1:8
	ds_write2_b64 v41, v[18:19], v[20:21] offset0:135 offset1:143
	ds_write2_b64 v40, v[14:15], v[16:17] offset1:8
	ds_write2_b64 v9, v[30:31], v[32:33] offset1:8
	ds_write2_b64 v9, v[10:11], v[12:13] offset0:135 offset1:143
	ds_write2_b64 v40, v[26:27], v[28:29] offset0:135 offset1:143
.LBB102_8:
	;; [unrolled: 55-line block ×4, first 2 shown]
	s_or_b64 exec, exec, s[12:13]
	v_cmp_eq_u32_e32 vcc, 0, v0
	s_waitcnt lgkmcnt(0)
	s_barrier
	s_and_saveexec_b64 s[12:13], vcc
	s_cbranch_execz .LBB102_14
; %bb.13:
	s_movk_i32 s14, 0x400
	v_add_u32_e64 v36, s14, 0
	ds_read2_b64 v[12:15], v36 offset0:63 offset1:192
	v_mov_b32_e32 v39, 0
	v_mov_b32_e32 v40, 0xff8
	v_mov_b32_e32 v41, 0x7f8
	s_waitcnt lgkmcnt(0)
	v_fma_f64 v[28:29], -v[14:15], v[12:13], 1.0
	v_div_scale_f64 v[16:17], s[14:15], v[28:29], v[28:29], 1.0
	s_movk_i32 s14, 0x1f8
	s_movk_i32 s15, 0xc00
	v_add_u32_e64 v37, s14, 0
	v_add_u32_e64 v38, s15, 0
	v_rcp_f64_e32 v[18:19], v[16:17]
	v_fma_f64 v[20:21], -v[16:17], v[18:19], 1.0
	v_fma_f64 v[18:19], v[18:19], v[20:21], v[18:19]
	v_div_scale_f64 v[20:21], vcc, 1.0, v[28:29], 1.0
	v_fma_f64 v[22:23], -v[16:17], v[18:19], 1.0
	v_fma_f64 v[18:19], v[18:19], v[22:23], v[18:19]
	v_mul_f64 v[22:23], v[20:21], v[18:19]
	v_fma_f64 v[16:17], -v[16:17], v[22:23], v[20:21]
	v_div_fmas_f64 v[30:31], v[16:17], v[18:19], v[22:23]
	ds_read2st64_b64 v[16:19], v37 offset0:10 offset1:11
	ds_read2_b64 v[20:23], v38 offset0:63 offset1:192
	ds_read2st64_b64 v[24:27], v39 offset1:1
	s_waitcnt lgkmcnt(1)
	v_fma_f64 v[32:33], -v[12:13], v[22:23], v[16:17]
	v_fma_f64 v[16:17], -v[14:15], v[16:17], v[22:23]
	s_waitcnt lgkmcnt(0)
	v_mul_f64 v[22:23], v[12:13], v[26:27]
	v_div_fixup_f64 v[28:29], v[30:31], v[28:29], 1.0
	v_mul_f64 v[30:31], v[14:15], v[20:21]
	ds_read2_b64 v[12:15], v40 offset1:1
	v_mul_f64 v[32:33], v[28:29], v[32:33]
	v_mul_f64 v[16:17], v[16:17], v[28:29]
	v_mul_f64 v[30:31], v[30:31], -v[28:29]
	v_mul_f64 v[26:27], v[28:29], v[26:27]
	v_mul_f64 v[34:35], v[22:23], -v[28:29]
	v_mul_f64 v[28:29], v[28:29], v[20:21]
	ds_read2_b64 v[20:23], v41 offset1:1
	s_waitcnt lgkmcnt(1)
	v_fma_f64 v[18:19], -v[12:13], v[32:33], v[18:19]
	v_fma_f64 v[14:15], -v[16:17], v[24:25], v[14:15]
	s_waitcnt lgkmcnt(0)
	v_fma_f64 v[22:23], -v[30:31], v[24:25], v[22:23]
	v_mul_f64 v[24:25], v[26:27], -v[24:25]
	v_fma_f64 v[20:21], -v[34:35], v[12:13], v[20:21]
	v_mul_f64 v[12:13], v[28:29], -v[12:13]
	ds_write2_b64 v36, v[34:35], v[30:31] offset0:63 offset1:192
	ds_write2_b64 v38, v[28:29], v[16:17] offset0:63 offset1:192
	ds_write2st64_b64 v37, v[32:33], v[18:19] offset0:10 offset1:11
	ds_write2st64_b64 v39, v[24:25], v[26:27] offset1:1
	ds_write2_b64 v41, v[20:21], v[22:23] offset1:1
	ds_write2_b64 v40, v[12:13], v[14:15] offset1:1
.LBB102_14:
	s_or_b64 exec, exec, s[12:13]
	s_waitcnt lgkmcnt(0)
	s_barrier
	s_and_saveexec_b64 s[12:13], s[10:11]
	s_cbranch_execz .LBB102_16
; %bb.15:
	v_max_u32_e32 v20, 1, v8
	v_add_u32_e32 v12, 0x1000, v11
	v_add_u32_e32 v16, 0x800, v11
	v_lshlrev_b32_e32 v24, 3, v20
	ds_read2_b64 v[12:15], v12 offset0:32 offset1:159
	ds_read2_b64 v[16:19], v16 offset0:32 offset1:159
	ds_read_b64 v[20:21], v24 offset:5112
	v_min_u32_e32 v22, 63, v8
	v_lshlrev_b32_e32 v25, 3, v22
	ds_read_b64 v[22:23], v25 offset:4608
	s_waitcnt lgkmcnt(1)
	v_fma_f64 v[14:15], -v[18:19], v[20:21], v[14:15]
	ds_read2_b64 v[18:21], v11 offset0:32 offset1:159
	s_waitcnt lgkmcnt(0)
	v_fma_f64 v[14:15], -v[20:21], v[22:23], v[14:15]
	ds_write_b64 v11, v[14:15] offset:5368
	ds_read_b64 v[14:15], v24 offset:5112
	s_waitcnt lgkmcnt(0)
	v_fma_f64 v[12:13], -v[16:17], v[14:15], v[12:13]
	ds_write_b64 v11, v[12:13] offset:4352
	ds_read_b64 v[14:15], v25 offset:4608
	s_waitcnt lgkmcnt(0)
	v_fma_f64 v[12:13], -v[18:19], v[14:15], v[12:13]
	ds_write_b64 v11, v[12:13] offset:4352
.LBB102_16:
	s_or_b64 exec, exec, s[12:13]
	s_waitcnt lgkmcnt(0)
	s_barrier
	s_and_saveexec_b64 s[10:11], s[8:9]
	s_cbranch_execz .LBB102_18
; %bb.17:
	v_max_u32_e32 v19, 1, v7
	v_add_u32_e32 v11, 0x1000, v10
	v_add_u32_e32 v15, 0x800, v10
	v_lshlrev_b32_e32 v23, 3, v19
	ds_read2_b64 v[11:14], v11 offset0:16 offset1:143
	ds_read2_b64 v[15:18], v15 offset0:16 offset1:143
	ds_read_b64 v[19:20], v23 offset:5112
	v_min_u32_e32 v21, 0x5f, v7
	v_lshlrev_b32_e32 v24, 3, v21
	ds_read_b64 v[21:22], v24 offset:4352
	s_waitcnt lgkmcnt(1)
	v_fma_f64 v[13:14], -v[17:18], v[19:20], v[13:14]
	ds_read2_b64 v[17:20], v10 offset0:16 offset1:143
	s_waitcnt lgkmcnt(0)
	v_fma_f64 v[13:14], -v[19:20], v[21:22], v[13:14]
	ds_write_b64 v10, v[13:14] offset:5240
	ds_read_b64 v[13:14], v23 offset:5112
	s_waitcnt lgkmcnt(0)
	v_fma_f64 v[11:12], -v[15:16], v[13:14], v[11:12]
	ds_write_b64 v10, v[11:12] offset:4224
	ds_read_b64 v[13:14], v24 offset:4352
	s_waitcnt lgkmcnt(0)
	v_fma_f64 v[11:12], -v[17:18], v[13:14], v[11:12]
	ds_write_b64 v10, v[11:12] offset:4224
.LBB102_18:
	s_or_b64 exec, exec, s[10:11]
	v_lshlrev_b32_e32 v10, 4, v0
	s_waitcnt lgkmcnt(0)
	s_barrier
	s_and_saveexec_b64 s[8:9], s[6:7]
	s_cbranch_execz .LBB102_20
; %bb.19:
	v_max_u32_e32 v19, 1, v10
	v_add_u32_e32 v11, 0x1000, v9
	v_add_u32_e32 v15, 0x800, v9
	v_lshlrev_b32_e32 v23, 3, v19
	ds_read2_b64 v[11:14], v11 offset0:8 offset1:135
	ds_read2_b64 v[15:18], v15 offset0:8 offset1:135
	ds_read_b64 v[19:20], v23 offset:5112
	v_min_u32_e32 v21, 0x6f, v10
	v_lshlrev_b32_e32 v24, 3, v21
	ds_read_b64 v[21:22], v24 offset:4224
	s_waitcnt lgkmcnt(1)
	v_fma_f64 v[13:14], -v[17:18], v[19:20], v[13:14]
	ds_read2_b64 v[17:20], v9 offset0:8 offset1:135
	s_waitcnt lgkmcnt(0)
	v_fma_f64 v[13:14], -v[19:20], v[21:22], v[13:14]
	ds_write_b64 v9, v[13:14] offset:5176
	ds_read_b64 v[13:14], v23 offset:5112
	s_waitcnt lgkmcnt(0)
	v_fma_f64 v[11:12], -v[15:16], v[13:14], v[11:12]
	ds_write_b64 v9, v[11:12] offset:4160
	ds_read_b64 v[13:14], v24 offset:4224
	s_waitcnt lgkmcnt(0)
	v_fma_f64 v[11:12], -v[17:18], v[13:14], v[11:12]
	ds_write_b64 v9, v[11:12] offset:4160
.LBB102_20:
	s_or_b64 exec, exec, s[8:9]
	s_waitcnt lgkmcnt(0)
	s_barrier
	s_and_saveexec_b64 s[6:7], s[4:5]
	s_cbranch_execz .LBB102_22
; %bb.21:
	v_max_u32_e32 v9, 1, v6
	v_add_u32_e32 v11, 0x1000, v8
	v_add_u32_e32 v15, 0x800, v8
	v_lshlrev_b32_e32 v9, 3, v9
	ds_read2_b64 v[11:14], v11 offset0:4 offset1:131
	ds_read2_b64 v[15:18], v15 offset0:4 offset1:131
	ds_read_b64 v[19:20], v9 offset:5112
	v_min_u32_e32 v6, 0x77, v6
	v_lshlrev_b32_e32 v6, 3, v6
	ds_read_b64 v[21:22], v6 offset:4160
	s_waitcnt lgkmcnt(1)
	v_fma_f64 v[13:14], -v[17:18], v[19:20], v[13:14]
	ds_read2_b64 v[17:20], v8 offset0:4 offset1:131
	s_waitcnt lgkmcnt(0)
	v_fma_f64 v[13:14], -v[19:20], v[21:22], v[13:14]
	ds_write_b64 v8, v[13:14] offset:5144
	ds_read_b64 v[13:14], v9 offset:5112
	s_waitcnt lgkmcnt(0)
	v_fma_f64 v[11:12], -v[15:16], v[13:14], v[11:12]
	ds_write_b64 v8, v[11:12] offset:4128
	ds_read_b64 v[13:14], v6 offset:4160
	s_waitcnt lgkmcnt(0)
	v_fma_f64 v[11:12], -v[17:18], v[13:14], v[11:12]
	ds_write_b64 v8, v[11:12] offset:4128
.LBB102_22:
	s_or_b64 exec, exec, s[6:7]
	s_waitcnt lgkmcnt(0)
	s_barrier
	s_and_saveexec_b64 s[4:5], s[2:3]
	s_cbranch_execz .LBB102_24
; %bb.23:
	v_lshlrev_b32_e32 v6, 2, v0
	v_max_u32_e32 v8, 1, v6
	v_add_u32_e32 v9, 0x1000, v7
	ds_read2_b64 v[11:14], v9 offset0:2 offset1:129
	v_add_u32_e32 v9, 0x800, v7
	v_lshlrev_b32_e32 v23, 3, v8
	ds_read2_b64 v[15:18], v9 offset0:2 offset1:129
	ds_read_b64 v[8:9], v23 offset:5112
	v_min_u32_e32 v6, 0x7b, v6
	v_lshlrev_b32_e32 v6, 3, v6
	ds_read_b64 v[21:22], v6 offset:4128
	s_waitcnt lgkmcnt(1)
	v_fma_f64 v[8:9], -v[17:18], v[8:9], v[13:14]
	ds_read2_b64 v[17:20], v7 offset0:2 offset1:129
	s_waitcnt lgkmcnt(0)
	v_fma_f64 v[8:9], -v[19:20], v[21:22], v[8:9]
	ds_write_b64 v7, v[8:9] offset:5128
	ds_read_b64 v[8:9], v23 offset:5112
	s_waitcnt lgkmcnt(0)
	v_fma_f64 v[8:9], -v[15:16], v[8:9], v[11:12]
	ds_write_b64 v7, v[8:9] offset:4112
	ds_read_b64 v[11:12], v6 offset:4128
	s_waitcnt lgkmcnt(0)
	v_fma_f64 v[8:9], -v[17:18], v[11:12], v[8:9]
	ds_write_b64 v7, v[8:9] offset:4112
.LBB102_24:
	s_or_b64 exec, exec, s[4:5]
	s_waitcnt lgkmcnt(0)
	s_barrier
	s_and_saveexec_b64 s[2:3], s[0:1]
	s_cbranch_execz .LBB102_26
; %bb.25:
	v_lshlrev_b32_e32 v0, 1, v0
	v_max_u32_e32 v15, 1, v0
	v_add_u32_e32 v6, 0x1000, v10
	v_add_u32_e32 v11, 0x800, v10
	v_lshlrev_b32_e32 v19, 3, v15
	ds_read2_b64 v[6:9], v6 offset0:1 offset1:128
	ds_read2_b64 v[11:14], v11 offset0:1 offset1:128
	ds_read_b64 v[15:16], v19 offset:5112
	v_min_u32_e32 v0, 0x7d, v0
	v_lshlrev_b32_e32 v0, 3, v0
	ds_read_b64 v[17:18], v0 offset:4112
	s_waitcnt lgkmcnt(1)
	v_fma_f64 v[8:9], -v[13:14], v[15:16], v[8:9]
	ds_read2_b64 v[13:16], v10 offset0:1 offset1:128
	s_waitcnt lgkmcnt(0)
	v_fma_f64 v[8:9], -v[15:16], v[17:18], v[8:9]
	ds_write_b64 v10, v[8:9] offset:5120
	ds_read_b64 v[8:9], v19 offset:5112
	s_waitcnt lgkmcnt(0)
	v_fma_f64 v[6:7], -v[11:12], v[8:9], v[6:7]
	ds_write_b64 v10, v[6:7] offset:4104
	ds_read_b64 v[8:9], v0 offset:4112
	s_waitcnt lgkmcnt(0)
	v_fma_f64 v[6:7], -v[13:14], v[8:9], v[6:7]
	ds_write_b64 v10, v[6:7] offset:4104
.LBB102_26:
	s_or_b64 exec, exec, s[2:3]
	s_waitcnt lgkmcnt(0)
	s_barrier
	ds_read2st64_b64 v[5:8], v5 offset1:2
	s_waitcnt lgkmcnt(0)
	global_store_dwordx2 v[1:2], v[5:6], off
	global_store_dwordx2 v[3:4], v[7:8], off
	s_endpgm
	.section	.rodata,"a",@progbits
	.p2align	6, 0x0
	.amdhsa_kernel _ZN9rocsparseL34gtsv_solve_spike_grid_level_kernelILj128EdEEviiiPT0_PKS1_S4_
		.amdhsa_group_segment_fixed_size 6144
		.amdhsa_private_segment_fixed_size 0
		.amdhsa_kernarg_size 40
		.amdhsa_user_sgpr_count 6
		.amdhsa_user_sgpr_private_segment_buffer 1
		.amdhsa_user_sgpr_dispatch_ptr 0
		.amdhsa_user_sgpr_queue_ptr 0
		.amdhsa_user_sgpr_kernarg_segment_ptr 1
		.amdhsa_user_sgpr_dispatch_id 0
		.amdhsa_user_sgpr_flat_scratch_init 0
		.amdhsa_user_sgpr_private_segment_size 0
		.amdhsa_uses_dynamic_stack 0
		.amdhsa_system_sgpr_private_segment_wavefront_offset 0
		.amdhsa_system_sgpr_workgroup_id_x 1
		.amdhsa_system_sgpr_workgroup_id_y 1
		.amdhsa_system_sgpr_workgroup_id_z 0
		.amdhsa_system_sgpr_workgroup_info 0
		.amdhsa_system_vgpr_workitem_id 0
		.amdhsa_next_free_vgpr 44
		.amdhsa_next_free_sgpr 98
		.amdhsa_reserve_vcc 1
		.amdhsa_reserve_flat_scratch 0
		.amdhsa_float_round_mode_32 0
		.amdhsa_float_round_mode_16_64 0
		.amdhsa_float_denorm_mode_32 3
		.amdhsa_float_denorm_mode_16_64 3
		.amdhsa_dx10_clamp 1
		.amdhsa_ieee_mode 1
		.amdhsa_fp16_overflow 0
		.amdhsa_exception_fp_ieee_invalid_op 0
		.amdhsa_exception_fp_denorm_src 0
		.amdhsa_exception_fp_ieee_div_zero 0
		.amdhsa_exception_fp_ieee_overflow 0
		.amdhsa_exception_fp_ieee_underflow 0
		.amdhsa_exception_fp_ieee_inexact 0
		.amdhsa_exception_int_div_zero 0
	.end_amdhsa_kernel
	.section	.text._ZN9rocsparseL34gtsv_solve_spike_grid_level_kernelILj128EdEEviiiPT0_PKS1_S4_,"axG",@progbits,_ZN9rocsparseL34gtsv_solve_spike_grid_level_kernelILj128EdEEviiiPT0_PKS1_S4_,comdat
.Lfunc_end102:
	.size	_ZN9rocsparseL34gtsv_solve_spike_grid_level_kernelILj128EdEEviiiPT0_PKS1_S4_, .Lfunc_end102-_ZN9rocsparseL34gtsv_solve_spike_grid_level_kernelILj128EdEEviiiPT0_PKS1_S4_
                                        ; -- End function
	.set _ZN9rocsparseL34gtsv_solve_spike_grid_level_kernelILj128EdEEviiiPT0_PKS1_S4_.num_vgpr, 44
	.set _ZN9rocsparseL34gtsv_solve_spike_grid_level_kernelILj128EdEEviiiPT0_PKS1_S4_.num_agpr, 0
	.set _ZN9rocsparseL34gtsv_solve_spike_grid_level_kernelILj128EdEEviiiPT0_PKS1_S4_.numbered_sgpr, 16
	.set _ZN9rocsparseL34gtsv_solve_spike_grid_level_kernelILj128EdEEviiiPT0_PKS1_S4_.num_named_barrier, 0
	.set _ZN9rocsparseL34gtsv_solve_spike_grid_level_kernelILj128EdEEviiiPT0_PKS1_S4_.private_seg_size, 0
	.set _ZN9rocsparseL34gtsv_solve_spike_grid_level_kernelILj128EdEEviiiPT0_PKS1_S4_.uses_vcc, 1
	.set _ZN9rocsparseL34gtsv_solve_spike_grid_level_kernelILj128EdEEviiiPT0_PKS1_S4_.uses_flat_scratch, 0
	.set _ZN9rocsparseL34gtsv_solve_spike_grid_level_kernelILj128EdEEviiiPT0_PKS1_S4_.has_dyn_sized_stack, 0
	.set _ZN9rocsparseL34gtsv_solve_spike_grid_level_kernelILj128EdEEviiiPT0_PKS1_S4_.has_recursion, 0
	.set _ZN9rocsparseL34gtsv_solve_spike_grid_level_kernelILj128EdEEviiiPT0_PKS1_S4_.has_indirect_call, 0
	.section	.AMDGPU.csdata,"",@progbits
; Kernel info:
; codeLenInByte = 4020
; TotalNumSgprs: 20
; NumVgprs: 44
; ScratchSize: 0
; MemoryBound: 1
; FloatMode: 240
; IeeeMode: 1
; LDSByteSize: 6144 bytes/workgroup (compile time only)
; SGPRBlocks: 12
; VGPRBlocks: 10
; NumSGPRsForWavesPerEU: 102
; NumVGPRsForWavesPerEU: 44
; Occupancy: 5
; WaveLimiterHint : 1
; COMPUTE_PGM_RSRC2:SCRATCH_EN: 0
; COMPUTE_PGM_RSRC2:USER_SGPR: 6
; COMPUTE_PGM_RSRC2:TRAP_HANDLER: 0
; COMPUTE_PGM_RSRC2:TGID_X_EN: 1
; COMPUTE_PGM_RSRC2:TGID_Y_EN: 1
; COMPUTE_PGM_RSRC2:TGID_Z_EN: 0
; COMPUTE_PGM_RSRC2:TIDIG_COMP_CNT: 0
	.section	.text._ZN9rocsparseL34gtsv_solve_spike_grid_level_kernelILj256EdEEviiiPT0_PKS1_S4_,"axG",@progbits,_ZN9rocsparseL34gtsv_solve_spike_grid_level_kernelILj256EdEEviiiPT0_PKS1_S4_,comdat
	.globl	_ZN9rocsparseL34gtsv_solve_spike_grid_level_kernelILj256EdEEviiiPT0_PKS1_S4_ ; -- Begin function _ZN9rocsparseL34gtsv_solve_spike_grid_level_kernelILj256EdEEviiiPT0_PKS1_S4_
	.p2align	8
	.type	_ZN9rocsparseL34gtsv_solve_spike_grid_level_kernelILj256EdEEviiiPT0_PKS1_S4_,@function
_ZN9rocsparseL34gtsv_solve_spike_grid_level_kernelILj256EdEEviiiPT0_PKS1_S4_: ; @_ZN9rocsparseL34gtsv_solve_spike_grid_level_kernelILj256EdEEviiiPT0_PKS1_S4_
; %bb.0:
	s_load_dwordx4 s[0:3], s[4:5], 0x10
	s_load_dwordx2 s[8:9], s[4:5], 0x20
	v_lshl_or_b32 v3, s7, 9, v0
	v_mov_b32_e32 v4, 0
	v_lshlrev_b64 v[1:2], 3, v[3:4]
	v_or_b32_e32 v3, 0x100, v3
	s_waitcnt lgkmcnt(0)
	v_mov_b32_e32 v5, s1
	v_add_co_u32_e32 v1, vcc, s0, v1
	v_lshlrev_b64 v[3:4], 3, v[3:4]
	v_addc_co_u32_e32 v2, vcc, v5, v2, vcc
	v_lshlrev_b32_e32 v6, 3, v0
	v_add_co_u32_e32 v3, vcc, s0, v3
	global_load_dwordx2 v[7:8], v6, s[2:3]
	global_load_dwordx2 v[9:10], v6, s[2:3] offset:2048
	global_load_dwordx2 v[11:12], v6, s[8:9]
	global_load_dwordx2 v[13:14], v6, s[8:9] offset:2048
	v_addc_co_u32_e32 v4, vcc, v5, v4, vcc
	global_load_dwordx2 v[15:16], v[1:2], off
	global_load_dwordx2 v[17:18], v[3:4], off
	s_movk_i32 s0, 0x80
	v_or_b32_e32 v5, 0x2000, v6
	v_cmp_gt_u32_e64 s[0:1], s0, v0
	s_waitcnt vmcnt(4)
	ds_write2st64_b64 v6, v[7:8], v[9:10] offset0:8 offset1:12
	s_waitcnt vmcnt(2)
	ds_write2st64_b64 v6, v[11:12], v[13:14] offset1:4
	s_waitcnt vmcnt(0)
	ds_write2st64_b64 v6, v[15:16], v[17:18] offset0:16 offset1:20
	s_waitcnt lgkmcnt(0)
	s_barrier
	s_and_saveexec_b64 s[2:3], s[0:1]
	s_cbranch_execz .LBB103_2
; %bb.1:
	v_or_b32_e32 v7, 0x1000, v6
	v_add_u32_e32 v39, v7, v6
	ds_read_b128 v[7:10], v39
	v_add_u32_e32 v40, v6, v6
	ds_read_b128 v[11:14], v40 offset:2048
	ds_read_b128 v[15:18], v40
	ds_read_b128 v[19:22], v39 offset:2048
	v_add_u32_e32 v41, v5, v6
	s_waitcnt lgkmcnt(2)
	v_fma_f64 v[31:32], -v[9:10], v[11:12], 1.0
	v_div_scale_f64 v[23:24], s[4:5], v[31:32], v[31:32], 1.0
	v_rcp_f64_e32 v[25:26], v[23:24]
	v_fma_f64 v[27:28], -v[23:24], v[25:26], 1.0
	v_fma_f64 v[25:26], v[25:26], v[27:28], v[25:26]
	v_div_scale_f64 v[27:28], vcc, 1.0, v[31:32], 1.0
	v_fma_f64 v[29:30], -v[23:24], v[25:26], 1.0
	v_fma_f64 v[25:26], v[25:26], v[29:30], v[25:26]
	v_mul_f64 v[29:30], v[27:28], v[25:26]
	v_fma_f64 v[23:24], -v[23:24], v[29:30], v[27:28]
	v_div_fmas_f64 v[33:34], v[23:24], v[25:26], v[29:30]
	ds_read_b128 v[23:26], v41 offset:2048
	ds_read_b128 v[27:30], v41
	s_waitcnt lgkmcnt(0)
	v_fma_f64 v[35:36], -v[9:10], v[23:24], v[29:30]
	v_fma_f64 v[23:24], -v[11:12], v[29:30], v[23:24]
	v_mul_f64 v[11:12], v[11:12], v[17:18]
	v_div_fixup_f64 v[37:38], v[33:34], v[31:32], 1.0
	v_mul_f64 v[31:32], v[9:10], v[19:20]
	v_mul_f64 v[29:30], v[35:36], v[37:38]
	;; [unrolled: 1-line block ×3, first 2 shown]
	v_mul_f64 v[33:34], v[31:32], -v[37:38]
	v_mul_f64 v[17:18], v[37:38], v[17:18]
	v_mul_f64 v[23:24], v[11:12], -v[37:38]
	v_mul_f64 v[19:20], v[37:38], v[19:20]
	v_fma_f64 v[27:28], -v[29:30], v[15:16], v[27:28]
	v_fma_f64 v[11:12], -v[21:22], v[9:10], v[25:26]
	;; [unrolled: 1-line block ×3, first 2 shown]
	v_mul_f64 v[15:16], v[17:18], -v[15:16]
	v_fma_f64 v[25:26], -v[23:24], v[21:22], v[13:14]
	v_mul_f64 v[21:22], v[19:20], -v[21:22]
	ds_write_b128 v41, v[27:30]
	ds_write_b128 v41, v[9:12] offset:2048
	ds_write_b128 v39, v[31:34]
	ds_write_b128 v40, v[15:18]
	ds_write_b128 v40, v[23:26] offset:2048
	ds_write_b128 v39, v[19:22] offset:2048
.LBB103_2:
	s_or_b64 exec, exec, s[2:3]
	v_cmp_gt_u32_e64 s[2:3], 64, v0
	v_lshlrev_b32_e32 v7, 5, v0
	s_waitcnt lgkmcnt(0)
	s_barrier
	s_and_saveexec_b64 s[4:5], s[2:3]
	s_cbranch_execz .LBB103_4
; %bb.3:
	v_mad_u32_u24 v37, v0, 24, v6
	v_add_u32_e32 v36, 0x1000, v7
	v_add_u32_e32 v38, 0x800, v37
	ds_read2_b64 v[8:11], v36 offset1:2
	ds_read2_b64 v[12:15], v38 offset0:1 offset1:3
	v_mad_u32_u24 v39, v0, 24, v5
	v_add_u32_e32 v40, 0x800, v39
	v_add_u32_e32 v41, 0x1800, v7
	s_waitcnt lgkmcnt(0)
	v_fma_f64 v[24:25], -v[10:11], v[12:13], 1.0
	v_div_scale_f64 v[16:17], s[6:7], v[24:25], v[24:25], 1.0
	v_rcp_f64_e32 v[18:19], v[16:17]
	v_fma_f64 v[20:21], -v[16:17], v[18:19], 1.0
	v_fma_f64 v[18:19], v[18:19], v[20:21], v[18:19]
	v_div_scale_f64 v[20:21], vcc, 1.0, v[24:25], 1.0
	v_fma_f64 v[22:23], -v[16:17], v[18:19], 1.0
	v_fma_f64 v[18:19], v[18:19], v[22:23], v[18:19]
	v_mul_f64 v[22:23], v[20:21], v[18:19]
	v_fma_f64 v[16:17], -v[16:17], v[22:23], v[20:21]
	v_div_fmas_f64 v[26:27], v[16:17], v[18:19], v[22:23]
	ds_read2_b64 v[16:19], v39 offset1:2
	ds_read2_b64 v[20:23], v40 offset0:1 offset1:3
	s_waitcnt lgkmcnt(0)
	v_fma_f64 v[32:33], -v[10:11], v[20:21], v[18:19]
	v_fma_f64 v[18:19], -v[12:13], v[18:19], v[20:21]
	v_div_fixup_f64 v[34:35], v[26:27], v[24:25], 1.0
	ds_read2_b64 v[24:27], v41 offset0:1 offset1:3
	ds_read2_b64 v[28:31], v37 offset1:2
	s_waitcnt lgkmcnt(1)
	v_mul_f64 v[10:11], v[10:11], v[24:25]
	s_waitcnt lgkmcnt(0)
	v_mul_f64 v[12:13], v[12:13], v[30:31]
	v_mul_f64 v[20:21], v[32:33], v[34:35]
	;; [unrolled: 1-line block ×5, first 2 shown]
	v_mul_f64 v[10:11], v[10:11], -v[34:35]
	v_mul_f64 v[12:13], v[12:13], -v[34:35]
	v_fma_f64 v[16:17], -v[20:21], v[28:29], v[16:17]
	v_fma_f64 v[22:23], -v[26:27], v[18:19], v[22:23]
	;; [unrolled: 1-line block ×3, first 2 shown]
	v_mul_f64 v[28:29], v[30:31], -v[28:29]
	v_fma_f64 v[14:15], -v[12:13], v[26:27], v[14:15]
	v_mul_f64 v[26:27], v[24:25], -v[26:27]
	ds_write2_b64 v39, v[16:17], v[20:21] offset1:2
	ds_write2_b64 v40, v[18:19], v[22:23] offset0:1 offset1:3
	ds_write2_b64 v36, v[8:9], v[10:11] offset1:2
	ds_write2_b64 v37, v[28:29], v[30:31] offset1:2
	ds_write2_b64 v38, v[12:13], v[14:15] offset0:1 offset1:3
	ds_write2_b64 v41, v[24:25], v[26:27] offset0:1 offset1:3
.LBB103_4:
	s_or_b64 exec, exec, s[4:5]
	v_cmp_gt_u32_e64 s[4:5], 32, v0
	v_lshlrev_b32_e32 v8, 6, v0
	s_waitcnt lgkmcnt(0)
	s_barrier
	s_and_saveexec_b64 s[6:7], s[4:5]
	s_cbranch_execz .LBB103_6
; %bb.5:
	v_add_u32_e32 v39, 0x1000, v8
	v_add_u32_e32 v40, 0x800, v8
	ds_read2_b64 v[9:12], v39 offset1:4
	ds_read2_b64 v[13:16], v40 offset0:3 offset1:7
	v_add_u32_e32 v41, 0x2800, v8
	v_add_u32_e32 v42, 0x2000, v8
	v_add_u32_e32 v43, 0x1800, v8
	s_waitcnt lgkmcnt(0)
	v_fma_f64 v[33:34], -v[11:12], v[13:14], 1.0
	v_div_scale_f64 v[17:18], s[8:9], v[33:34], v[33:34], 1.0
	v_rcp_f64_e32 v[19:20], v[17:18]
	v_fma_f64 v[21:22], -v[17:18], v[19:20], 1.0
	v_fma_f64 v[19:20], v[19:20], v[21:22], v[19:20]
	v_div_scale_f64 v[21:22], vcc, 1.0, v[33:34], 1.0
	v_fma_f64 v[23:24], -v[17:18], v[19:20], 1.0
	v_fma_f64 v[19:20], v[19:20], v[23:24], v[19:20]
	v_mul_f64 v[23:24], v[21:22], v[19:20]
	v_fma_f64 v[17:18], -v[17:18], v[23:24], v[21:22]
	v_div_fmas_f64 v[35:36], v[17:18], v[19:20], v[23:24]
	ds_read2_b64 v[17:20], v41 offset0:3 offset1:7
	ds_read2_b64 v[21:24], v42 offset1:4
	ds_read2_b64 v[25:28], v43 offset0:3 offset1:7
	ds_read2_b64 v[29:32], v8 offset1:4
	s_waitcnt lgkmcnt(2)
	v_fma_f64 v[37:38], -v[11:12], v[17:18], v[23:24]
	v_fma_f64 v[17:18], -v[13:14], v[23:24], v[17:18]
	s_waitcnt lgkmcnt(1)
	v_mul_f64 v[11:12], v[11:12], v[25:26]
	s_waitcnt lgkmcnt(0)
	v_mul_f64 v[13:14], v[13:14], v[31:32]
	v_div_fixup_f64 v[33:34], v[35:36], v[33:34], 1.0
	v_mul_f64 v[23:24], v[37:38], v[33:34]
	v_mul_f64 v[17:18], v[33:34], v[17:18]
	v_mul_f64 v[11:12], v[11:12], -v[33:34]
	v_mul_f64 v[31:32], v[33:34], v[31:32]
	v_mul_f64 v[13:14], v[13:14], -v[33:34]
	v_mul_f64 v[25:26], v[33:34], v[25:26]
	v_fma_f64 v[21:22], -v[23:24], v[29:30], v[21:22]
	v_fma_f64 v[19:20], -v[27:28], v[17:18], v[19:20]
	v_fma_f64 v[9:10], -v[11:12], v[29:30], v[9:10]
	v_mul_f64 v[29:30], v[31:32], -v[29:30]
	v_fma_f64 v[15:16], -v[13:14], v[27:28], v[15:16]
	v_mul_f64 v[27:28], v[25:26], -v[27:28]
	ds_write2_b64 v42, v[21:22], v[23:24] offset1:4
	ds_write2_b64 v41, v[17:18], v[19:20] offset0:3 offset1:7
	ds_write2_b64 v39, v[9:10], v[11:12] offset1:4
	ds_write2_b64 v8, v[29:30], v[31:32] offset1:4
	ds_write2_b64 v40, v[13:14], v[15:16] offset0:3 offset1:7
	ds_write2_b64 v43, v[25:26], v[27:28] offset0:3 offset1:7
.LBB103_6:
	s_or_b64 exec, exec, s[6:7]
	v_cmp_gt_u32_e64 s[6:7], 16, v0
	v_lshlrev_b32_e32 v9, 7, v0
	s_waitcnt lgkmcnt(0)
	s_barrier
	s_and_saveexec_b64 s[8:9], s[6:7]
	s_cbranch_execz .LBB103_8
; %bb.7:
	v_add_u32_e32 v40, 0x1000, v9
	v_add_u32_e32 v41, 0x800, v9
	ds_read2_b64 v[10:13], v40 offset1:8
	ds_read2_b64 v[14:17], v41 offset0:7 offset1:15
	v_add_u32_e32 v42, 0x2800, v9
	v_add_u32_e32 v43, 0x2000, v9
	v_add_u32_e32 v44, 0x1800, v9
	s_waitcnt lgkmcnt(0)
	v_fma_f64 v[34:35], -v[12:13], v[14:15], 1.0
	v_div_scale_f64 v[18:19], s[10:11], v[34:35], v[34:35], 1.0
	v_rcp_f64_e32 v[20:21], v[18:19]
	v_fma_f64 v[22:23], -v[18:19], v[20:21], 1.0
	v_fma_f64 v[20:21], v[20:21], v[22:23], v[20:21]
	v_div_scale_f64 v[22:23], vcc, 1.0, v[34:35], 1.0
	v_fma_f64 v[24:25], -v[18:19], v[20:21], 1.0
	v_fma_f64 v[20:21], v[20:21], v[24:25], v[20:21]
	v_mul_f64 v[24:25], v[22:23], v[20:21]
	v_fma_f64 v[18:19], -v[18:19], v[24:25], v[22:23]
	v_div_fmas_f64 v[36:37], v[18:19], v[20:21], v[24:25]
	ds_read2_b64 v[18:21], v42 offset0:7 offset1:15
	ds_read2_b64 v[22:25], v43 offset1:8
	ds_read2_b64 v[26:29], v44 offset0:7 offset1:15
	ds_read2_b64 v[30:33], v9 offset1:8
	s_waitcnt lgkmcnt(2)
	v_fma_f64 v[38:39], -v[12:13], v[18:19], v[24:25]
	v_fma_f64 v[18:19], -v[14:15], v[24:25], v[18:19]
	s_waitcnt lgkmcnt(1)
	v_mul_f64 v[12:13], v[12:13], v[26:27]
	s_waitcnt lgkmcnt(0)
	v_mul_f64 v[14:15], v[14:15], v[32:33]
	v_div_fixup_f64 v[34:35], v[36:37], v[34:35], 1.0
	v_mul_f64 v[24:25], v[38:39], v[34:35]
	v_mul_f64 v[18:19], v[34:35], v[18:19]
	v_mul_f64 v[12:13], v[12:13], -v[34:35]
	v_mul_f64 v[32:33], v[34:35], v[32:33]
	v_mul_f64 v[14:15], v[14:15], -v[34:35]
	v_mul_f64 v[26:27], v[34:35], v[26:27]
	v_fma_f64 v[22:23], -v[24:25], v[30:31], v[22:23]
	v_fma_f64 v[20:21], -v[28:29], v[18:19], v[20:21]
	v_fma_f64 v[10:11], -v[12:13], v[30:31], v[10:11]
	v_mul_f64 v[30:31], v[32:33], -v[30:31]
	v_fma_f64 v[16:17], -v[14:15], v[28:29], v[16:17]
	v_mul_f64 v[28:29], v[26:27], -v[28:29]
	ds_write2_b64 v43, v[22:23], v[24:25] offset1:8
	ds_write2_b64 v42, v[18:19], v[20:21] offset0:7 offset1:15
	ds_write2_b64 v40, v[10:11], v[12:13] offset1:8
	ds_write2_b64 v9, v[30:31], v[32:33] offset1:8
	ds_write2_b64 v41, v[14:15], v[16:17] offset0:7 offset1:15
	ds_write2_b64 v44, v[26:27], v[28:29] offset0:7 offset1:15
.LBB103_8:
	;; [unrolled: 58-line block ×3, first 2 shown]
	s_or_b64 exec, exec, s[10:11]
	v_cmp_gt_u32_e64 s[10:11], 4, v0
	v_lshlrev_b32_e32 v11, 9, v0
	s_waitcnt lgkmcnt(0)
	s_barrier
	s_and_saveexec_b64 s[12:13], s[10:11]
	s_cbranch_execz .LBB103_12
; %bb.11:
	v_add_u32_e32 v38, 0x1000, v11
	v_add_u32_e32 v39, 0x800, v11
	ds_read2_b64 v[12:15], v38 offset1:32
	ds_read2_b64 v[16:19], v39 offset0:31 offset1:63
	v_add_u32_e32 v40, 0x2800, v11
	v_add_u32_e32 v41, 0x2000, v11
	v_add_u32_e32 v42, 0x1800, v11
	s_waitcnt lgkmcnt(0)
	v_fma_f64 v[28:29], -v[14:15], v[16:17], 1.0
	v_div_scale_f64 v[20:21], s[14:15], v[28:29], v[28:29], 1.0
	v_rcp_f64_e32 v[22:23], v[20:21]
	v_fma_f64 v[24:25], -v[20:21], v[22:23], 1.0
	v_fma_f64 v[22:23], v[22:23], v[24:25], v[22:23]
	v_div_scale_f64 v[24:25], vcc, 1.0, v[28:29], 1.0
	v_fma_f64 v[26:27], -v[20:21], v[22:23], 1.0
	v_fma_f64 v[22:23], v[22:23], v[26:27], v[22:23]
	v_mul_f64 v[26:27], v[24:25], v[22:23]
	v_fma_f64 v[20:21], -v[20:21], v[26:27], v[24:25]
	v_div_fmas_f64 v[30:31], v[20:21], v[22:23], v[26:27]
	ds_read2_b64 v[20:23], v40 offset0:31 offset1:63
	ds_read2_b64 v[24:27], v41 offset1:32
	s_waitcnt lgkmcnt(0)
	v_fma_f64 v[32:33], -v[14:15], v[20:21], v[26:27]
	v_fma_f64 v[20:21], -v[16:17], v[26:27], v[20:21]
	v_div_fixup_f64 v[34:35], v[30:31], v[28:29], 1.0
	v_mul_f64 v[36:37], v[32:33], v[34:35]
	ds_read2_b64 v[26:29], v11 offset1:32
	ds_read2_b64 v[30:33], v42 offset0:31 offset1:63
	v_mul_f64 v[20:21], v[34:35], v[20:21]
	s_waitcnt lgkmcnt(1)
	v_mul_f64 v[16:17], v[16:17], v[28:29]
	s_waitcnt lgkmcnt(0)
	v_mul_f64 v[14:15], v[14:15], v[30:31]
	v_mul_f64 v[28:29], v[34:35], v[28:29]
	;; [unrolled: 1-line block ×3, first 2 shown]
	v_fma_f64 v[24:25], -v[36:37], v[26:27], v[24:25]
	v_fma_f64 v[22:23], -v[32:33], v[20:21], v[22:23]
	v_mul_f64 v[16:17], v[16:17], -v[34:35]
	v_mul_f64 v[14:15], v[14:15], -v[34:35]
	v_fma_f64 v[18:19], -v[16:17], v[32:33], v[18:19]
	v_fma_f64 v[12:13], -v[14:15], v[26:27], v[12:13]
	v_mul_f64 v[26:27], v[28:29], -v[26:27]
	v_mul_f64 v[32:33], v[30:31], -v[32:33]
	ds_write2_b64 v41, v[24:25], v[36:37] offset1:32
	ds_write2_b64 v40, v[20:21], v[22:23] offset0:31 offset1:63
	ds_write2_b64 v38, v[12:13], v[14:15] offset1:32
	ds_write2_b64 v11, v[26:27], v[28:29] offset1:32
	ds_write2_b64 v39, v[16:17], v[18:19] offset0:31 offset1:63
	ds_write2_b64 v42, v[30:31], v[32:33] offset0:31 offset1:63
.LBB103_12:
	s_or_b64 exec, exec, s[12:13]
	v_cmp_gt_u32_e64 s[12:13], 2, v0
	v_lshlrev_b32_e32 v12, 10, v0
	s_waitcnt lgkmcnt(0)
	s_barrier
	s_and_saveexec_b64 s[14:15], s[12:13]
	s_cbranch_execz .LBB103_14
; %bb.13:
	v_add_u32_e32 v43, 0x1f8, v12
	ds_read2st64_b64 v[13:16], v43 offset0:4 offset1:5
	ds_read2st64_b64 v[17:20], v12 offset0:8 offset1:9
	ds_read2st64_b64 v[21:24], v12 offset1:1
	ds_read2st64_b64 v[25:28], v43 offset0:12 offset1:13
	s_waitcnt lgkmcnt(2)
	v_fma_f64 v[37:38], -v[19:20], v[13:14], 1.0
	v_div_scale_f64 v[29:30], s[16:17], v[37:38], v[37:38], 1.0
	v_rcp_f64_e32 v[31:32], v[29:30]
	v_fma_f64 v[33:34], -v[29:30], v[31:32], 1.0
	v_fma_f64 v[31:32], v[31:32], v[33:34], v[31:32]
	v_div_scale_f64 v[33:34], vcc, 1.0, v[37:38], 1.0
	v_fma_f64 v[35:36], -v[29:30], v[31:32], 1.0
	v_fma_f64 v[31:32], v[31:32], v[35:36], v[31:32]
	v_mul_f64 v[35:36], v[33:34], v[31:32]
	v_fma_f64 v[29:30], -v[29:30], v[35:36], v[33:34]
	v_div_fmas_f64 v[39:40], v[29:30], v[31:32], v[35:36]
	ds_read2st64_b64 v[29:32], v12 offset0:16 offset1:17
	ds_read2st64_b64 v[33:36], v43 offset0:20 offset1:21
	s_waitcnt lgkmcnt(0)
	v_fma_f64 v[41:42], -v[19:20], v[33:34], v[31:32]
	v_fma_f64 v[31:32], -v[13:14], v[31:32], v[33:34]
	v_mul_f64 v[19:20], v[19:20], v[25:26]
	v_mul_f64 v[13:14], v[13:14], v[23:24]
	v_div_fixup_f64 v[37:38], v[39:40], v[37:38], 1.0
	v_mul_f64 v[33:34], v[41:42], v[37:38]
	v_mul_f64 v[31:32], v[37:38], v[31:32]
	v_mul_f64 v[19:20], v[19:20], -v[37:38]
	v_mul_f64 v[23:24], v[37:38], v[23:24]
	v_mul_f64 v[13:14], v[13:14], -v[37:38]
	v_mul_f64 v[25:26], v[37:38], v[25:26]
	v_fma_f64 v[29:30], -v[33:34], v[21:22], v[29:30]
	v_fma_f64 v[35:36], -v[27:28], v[31:32], v[35:36]
	;; [unrolled: 1-line block ×3, first 2 shown]
	v_mul_f64 v[21:22], v[23:24], -v[21:22]
	v_fma_f64 v[15:16], -v[13:14], v[27:28], v[15:16]
	v_mul_f64 v[27:28], v[25:26], -v[27:28]
	ds_write2st64_b64 v12, v[29:30], v[33:34] offset0:16 offset1:17
	ds_write2st64_b64 v43, v[31:32], v[35:36] offset0:20 offset1:21
	;; [unrolled: 1-line block ×3, first 2 shown]
	ds_write2st64_b64 v12, v[21:22], v[23:24] offset1:1
	ds_write2st64_b64 v43, v[13:14], v[15:16] offset0:4 offset1:5
	ds_write2st64_b64 v43, v[25:26], v[27:28] offset0:12 offset1:13
.LBB103_14:
	s_or_b64 exec, exec, s[14:15]
	v_cmp_eq_u32_e32 vcc, 0, v0
	s_waitcnt lgkmcnt(0)
	s_barrier
	s_and_saveexec_b64 s[14:15], vcc
	s_cbranch_execz .LBB103_16
; %bb.15:
	s_movk_i32 s16, 0x1400
	v_add_u32_e64 v38, s16, 0
	v_mov_b32_e32 v37, 0
	ds_read2_b64 v[13:16], v38 offset1:255
	ds_read_b64 v[25:26], v37 offset:3064
	ds_read_b64 v[27:28], v37 offset:12280
	v_mov_b32_e32 v40, 0x1ff8
	v_mov_b32_e32 v41, 0xff8
	s_waitcnt lgkmcnt(1)
	v_fma_f64 v[29:30], -v[13:14], v[25:26], 1.0
	v_div_scale_f64 v[17:18], s[16:17], v[29:30], v[29:30], 1.0
	s_movk_i32 s16, 0x2400
	v_add_u32_e64 v39, s16, 0
	v_rcp_f64_e32 v[19:20], v[17:18]
	v_fma_f64 v[21:22], -v[17:18], v[19:20], 1.0
	v_fma_f64 v[19:20], v[19:20], v[21:22], v[19:20]
	v_div_scale_f64 v[21:22], vcc, 1.0, v[29:30], 1.0
	v_fma_f64 v[23:24], -v[17:18], v[19:20], 1.0
	v_fma_f64 v[19:20], v[19:20], v[23:24], v[19:20]
	v_mul_f64 v[23:24], v[21:22], v[19:20]
	v_fma_f64 v[17:18], -v[17:18], v[23:24], v[21:22]
	v_div_fmas_f64 v[31:32], v[17:18], v[19:20], v[23:24]
	ds_read2_b64 v[17:20], v39 offset1:255
	ds_read2st64_b64 v[21:24], v37 offset1:2
	s_waitcnt lgkmcnt(1)
	v_fma_f64 v[33:34], -v[25:26], v[17:18], v[19:20]
	s_waitcnt lgkmcnt(0)
	v_mul_f64 v[25:26], v[25:26], v[23:24]
	v_div_fixup_f64 v[29:30], v[31:32], v[29:30], 1.0
	v_fma_f64 v[31:32], -v[13:14], v[19:20], v[17:18]
	v_mul_f64 v[13:14], v[13:14], v[15:16]
	ds_read2_b64 v[17:20], v40 offset1:1
	v_mul_f64 v[33:34], v[29:30], v[33:34]
	v_mul_f64 v[31:32], v[31:32], v[29:30]
	v_mul_f64 v[35:36], v[13:14], -v[29:30]
	v_mul_f64 v[23:24], v[29:30], v[23:24]
	v_mul_f64 v[25:26], v[25:26], -v[29:30]
	v_mul_f64 v[29:30], v[29:30], v[15:16]
	ds_read2_b64 v[13:16], v41 offset1:1
	s_waitcnt lgkmcnt(1)
	v_fma_f64 v[27:28], -v[17:18], v[33:34], v[27:28]
	v_fma_f64 v[19:20], -v[31:32], v[21:22], v[19:20]
	s_waitcnt lgkmcnt(0)
	v_fma_f64 v[15:16], -v[35:36], v[21:22], v[15:16]
	v_mul_f64 v[21:22], v[23:24], -v[21:22]
	v_fma_f64 v[13:14], -v[25:26], v[17:18], v[13:14]
	v_mul_f64 v[17:18], v[29:30], -v[17:18]
	ds_write2_b64 v39, v[31:32], v[33:34] offset1:255
	ds_write_b64 v37, v[25:26] offset:3064
	ds_write2_b64 v38, v[35:36], v[29:30] offset1:255
	ds_write_b64 v37, v[27:28] offset:12280
	ds_write2st64_b64 v37, v[21:22], v[23:24] offset1:2
	ds_write2_b64 v41, v[13:14], v[15:16] offset1:1
	ds_write2_b64 v40, v[17:18], v[19:20] offset1:1
.LBB103_16:
	s_or_b64 exec, exec, s[14:15]
	s_waitcnt lgkmcnt(0)
	s_barrier
	s_and_saveexec_b64 s[14:15], s[12:13]
	s_cbranch_execz .LBB103_18
; %bb.17:
	v_max_u32_e32 v21, 1, v9
	v_add_u32_e32 v13, 0x2200, v12
	v_add_u32_e32 v17, 0x1200, v12
	v_lshlrev_b32_e32 v25, 3, v21
	ds_read2_b64 v[13:16], v13 offset1:255
	ds_read2_b64 v[17:20], v17 offset1:255
	ds_read_b64 v[21:22], v25 offset:10232
	v_min_u32_e32 v23, 0x7f, v9
	v_lshlrev_b32_e32 v26, 3, v23
	ds_read_b64 v[23:24], v26 offset:9216
	s_waitcnt lgkmcnt(1)
	v_fma_f64 v[15:16], -v[19:20], v[21:22], v[15:16]
	v_add_u32_e32 v19, 0x200, v12
	ds_read2_b64 v[19:22], v19 offset1:255
	s_waitcnt lgkmcnt(0)
	v_fma_f64 v[15:16], -v[21:22], v[23:24], v[15:16]
	ds_write_b64 v12, v[15:16] offset:10744
	ds_read_b64 v[15:16], v25 offset:10232
	s_waitcnt lgkmcnt(0)
	v_fma_f64 v[13:14], -v[17:18], v[15:16], v[13:14]
	ds_write_b64 v12, v[13:14] offset:8704
	ds_read_b64 v[15:16], v26 offset:9216
	s_waitcnt lgkmcnt(0)
	v_fma_f64 v[13:14], -v[19:20], v[15:16], v[13:14]
	ds_write_b64 v12, v[13:14] offset:8704
.LBB103_18:
	s_or_b64 exec, exec, s[14:15]
	s_waitcnt lgkmcnt(0)
	s_barrier
	s_and_saveexec_b64 s[12:13], s[10:11]
	s_cbranch_execz .LBB103_20
; %bb.19:
	v_max_u32_e32 v20, 1, v8
	v_add_u32_e32 v12, 0x2100, v11
	v_add_u32_e32 v16, 0x1100, v11
	v_lshlrev_b32_e32 v24, 3, v20
	ds_read2_b64 v[12:15], v12 offset1:255
	ds_read2_b64 v[16:19], v16 offset1:255
	ds_read_b64 v[20:21], v24 offset:10232
	v_min_u32_e32 v22, 0xbf, v8
	v_lshlrev_b32_e32 v25, 3, v22
	ds_read_b64 v[22:23], v25 offset:8704
	s_waitcnt lgkmcnt(1)
	v_fma_f64 v[14:15], -v[18:19], v[20:21], v[14:15]
	v_add_u32_e32 v18, 0x100, v11
	ds_read2_b64 v[18:21], v18 offset1:255
	s_waitcnt lgkmcnt(0)
	v_fma_f64 v[14:15], -v[20:21], v[22:23], v[14:15]
	ds_write_b64 v11, v[14:15] offset:10488
	ds_read_b64 v[14:15], v24 offset:10232
	s_waitcnt lgkmcnt(0)
	v_fma_f64 v[12:13], -v[16:17], v[14:15], v[12:13]
	ds_write_b64 v11, v[12:13] offset:8448
	ds_read_b64 v[14:15], v25 offset:8704
	s_waitcnt lgkmcnt(0)
	v_fma_f64 v[12:13], -v[18:19], v[14:15], v[12:13]
	ds_write_b64 v11, v[12:13] offset:8448
.LBB103_20:
	;; [unrolled: 32-line block ×3, first 2 shown]
	s_or_b64 exec, exec, s[10:11]
	v_lshlrev_b32_e32 v10, 4, v0
	s_waitcnt lgkmcnt(0)
	s_barrier
	s_and_saveexec_b64 s[8:9], s[6:7]
	s_cbranch_execz .LBB103_24
; %bb.23:
	v_max_u32_e32 v19, 1, v10
	v_add_u32_e32 v11, 0x2040, v9
	v_add_u32_e32 v15, 0x1040, v9
	v_lshlrev_b32_e32 v23, 3, v19
	ds_read2_b64 v[11:14], v11 offset1:255
	ds_read2_b64 v[15:18], v15 offset1:255
	ds_read_b64 v[19:20], v23 offset:10232
	v_min_u32_e32 v21, 0xef, v10
	v_lshlrev_b32_e32 v24, 3, v21
	ds_read_b64 v[21:22], v24 offset:8320
	s_waitcnt lgkmcnt(1)
	v_fma_f64 v[13:14], -v[17:18], v[19:20], v[13:14]
	v_add_u32_e32 v17, 64, v9
	ds_read2_b64 v[17:20], v17 offset1:255
	s_waitcnt lgkmcnt(0)
	v_fma_f64 v[13:14], -v[19:20], v[21:22], v[13:14]
	ds_write_b64 v9, v[13:14] offset:10296
	ds_read_b64 v[13:14], v23 offset:10232
	s_waitcnt lgkmcnt(0)
	v_fma_f64 v[11:12], -v[15:16], v[13:14], v[11:12]
	ds_write_b64 v9, v[11:12] offset:8256
	ds_read_b64 v[13:14], v24 offset:8320
	s_waitcnt lgkmcnt(0)
	v_fma_f64 v[11:12], -v[17:18], v[13:14], v[11:12]
	ds_write_b64 v9, v[11:12] offset:8256
.LBB103_24:
	s_or_b64 exec, exec, s[8:9]
	s_waitcnt lgkmcnt(0)
	s_barrier
	s_and_saveexec_b64 s[6:7], s[4:5]
	s_cbranch_execz .LBB103_26
; %bb.25:
	v_max_u32_e32 v9, 1, v6
	v_add_u32_e32 v11, 0x2020, v8
	v_add_u32_e32 v15, 0x1020, v8
	v_lshlrev_b32_e32 v9, 3, v9
	ds_read2_b64 v[11:14], v11 offset1:255
	ds_read2_b64 v[15:18], v15 offset1:255
	ds_read_b64 v[19:20], v9 offset:10232
	v_min_u32_e32 v6, 0xf7, v6
	v_lshlrev_b32_e32 v6, 3, v6
	ds_read_b64 v[21:22], v6 offset:8256
	s_waitcnt lgkmcnt(1)
	v_fma_f64 v[13:14], -v[17:18], v[19:20], v[13:14]
	v_add_u32_e32 v17, 32, v8
	ds_read2_b64 v[17:20], v17 offset1:255
	s_waitcnt lgkmcnt(0)
	v_fma_f64 v[13:14], -v[19:20], v[21:22], v[13:14]
	ds_write_b64 v8, v[13:14] offset:10264
	ds_read_b64 v[13:14], v9 offset:10232
	s_waitcnt lgkmcnt(0)
	v_fma_f64 v[11:12], -v[15:16], v[13:14], v[11:12]
	ds_write_b64 v8, v[11:12] offset:8224
	ds_read_b64 v[13:14], v6 offset:8256
	s_waitcnt lgkmcnt(0)
	v_fma_f64 v[11:12], -v[17:18], v[13:14], v[11:12]
	ds_write_b64 v8, v[11:12] offset:8224
.LBB103_26:
	s_or_b64 exec, exec, s[6:7]
	s_waitcnt lgkmcnt(0)
	s_barrier
	s_and_saveexec_b64 s[4:5], s[2:3]
	s_cbranch_execz .LBB103_28
; %bb.27:
	v_lshlrev_b32_e32 v6, 2, v0
	v_max_u32_e32 v8, 1, v6
	v_add_u32_e32 v9, 0x2010, v7
	ds_read2_b64 v[11:14], v9 offset1:255
	v_add_u32_e32 v9, 0x1010, v7
	v_lshlrev_b32_e32 v23, 3, v8
	ds_read2_b64 v[15:18], v9 offset1:255
	ds_read_b64 v[8:9], v23 offset:10232
	v_min_u32_e32 v6, 0xfb, v6
	v_lshlrev_b32_e32 v6, 3, v6
	ds_read_b64 v[21:22], v6 offset:8224
	s_waitcnt lgkmcnt(1)
	v_fma_f64 v[8:9], -v[17:18], v[8:9], v[13:14]
	v_add_u32_e32 v13, 16, v7
	ds_read2_b64 v[17:20], v13 offset1:255
	s_waitcnt lgkmcnt(0)
	v_fma_f64 v[8:9], -v[19:20], v[21:22], v[8:9]
	ds_write_b64 v7, v[8:9] offset:10248
	ds_read_b64 v[8:9], v23 offset:10232
	s_waitcnt lgkmcnt(0)
	v_fma_f64 v[8:9], -v[15:16], v[8:9], v[11:12]
	ds_write_b64 v7, v[8:9] offset:8208
	ds_read_b64 v[11:12], v6 offset:8224
	s_waitcnt lgkmcnt(0)
	v_fma_f64 v[8:9], -v[17:18], v[11:12], v[8:9]
	ds_write_b64 v7, v[8:9] offset:8208
.LBB103_28:
	s_or_b64 exec, exec, s[4:5]
	s_waitcnt lgkmcnt(0)
	s_barrier
	s_and_saveexec_b64 s[2:3], s[0:1]
	s_cbranch_execz .LBB103_30
; %bb.29:
	v_lshlrev_b32_e32 v0, 1, v0
	v_max_u32_e32 v15, 1, v0
	v_add_u32_e32 v6, 0x2008, v10
	v_add_u32_e32 v11, 0x1008, v10
	v_lshlrev_b32_e32 v19, 3, v15
	ds_read2_b64 v[6:9], v6 offset1:255
	ds_read2_b64 v[11:14], v11 offset1:255
	ds_read_b64 v[15:16], v19 offset:10232
	v_min_u32_e32 v0, 0xfd, v0
	v_lshlrev_b32_e32 v0, 3, v0
	ds_read_b64 v[17:18], v0 offset:8208
	s_waitcnt lgkmcnt(1)
	v_fma_f64 v[8:9], -v[13:14], v[15:16], v[8:9]
	v_add_u32_e32 v13, 8, v10
	ds_read2_b64 v[13:16], v13 offset1:255
	s_waitcnt lgkmcnt(0)
	v_fma_f64 v[8:9], -v[15:16], v[17:18], v[8:9]
	ds_write_b64 v10, v[8:9] offset:10240
	ds_read_b64 v[8:9], v19 offset:10232
	s_waitcnt lgkmcnt(0)
	v_fma_f64 v[6:7], -v[11:12], v[8:9], v[6:7]
	ds_write_b64 v10, v[6:7] offset:8200
	ds_read_b64 v[8:9], v0 offset:8208
	s_waitcnt lgkmcnt(0)
	v_fma_f64 v[6:7], -v[13:14], v[8:9], v[6:7]
	ds_write_b64 v10, v[6:7] offset:8200
.LBB103_30:
	s_or_b64 exec, exec, s[2:3]
	s_waitcnt lgkmcnt(0)
	s_barrier
	ds_read2st64_b64 v[5:8], v5 offset1:4
	s_waitcnt lgkmcnt(0)
	global_store_dwordx2 v[1:2], v[5:6], off
	global_store_dwordx2 v[3:4], v[7:8], off
	s_endpgm
	.section	.rodata,"a",@progbits
	.p2align	6, 0x0
	.amdhsa_kernel _ZN9rocsparseL34gtsv_solve_spike_grid_level_kernelILj256EdEEviiiPT0_PKS1_S4_
		.amdhsa_group_segment_fixed_size 12288
		.amdhsa_private_segment_fixed_size 0
		.amdhsa_kernarg_size 40
		.amdhsa_user_sgpr_count 6
		.amdhsa_user_sgpr_private_segment_buffer 1
		.amdhsa_user_sgpr_dispatch_ptr 0
		.amdhsa_user_sgpr_queue_ptr 0
		.amdhsa_user_sgpr_kernarg_segment_ptr 1
		.amdhsa_user_sgpr_dispatch_id 0
		.amdhsa_user_sgpr_flat_scratch_init 0
		.amdhsa_user_sgpr_private_segment_size 0
		.amdhsa_uses_dynamic_stack 0
		.amdhsa_system_sgpr_private_segment_wavefront_offset 0
		.amdhsa_system_sgpr_workgroup_id_x 1
		.amdhsa_system_sgpr_workgroup_id_y 1
		.amdhsa_system_sgpr_workgroup_id_z 0
		.amdhsa_system_sgpr_workgroup_info 0
		.amdhsa_system_vgpr_workitem_id 0
		.amdhsa_next_free_vgpr 46
		.amdhsa_next_free_sgpr 98
		.amdhsa_reserve_vcc 1
		.amdhsa_reserve_flat_scratch 0
		.amdhsa_float_round_mode_32 0
		.amdhsa_float_round_mode_16_64 0
		.amdhsa_float_denorm_mode_32 3
		.amdhsa_float_denorm_mode_16_64 3
		.amdhsa_dx10_clamp 1
		.amdhsa_ieee_mode 1
		.amdhsa_fp16_overflow 0
		.amdhsa_exception_fp_ieee_invalid_op 0
		.amdhsa_exception_fp_denorm_src 0
		.amdhsa_exception_fp_ieee_div_zero 0
		.amdhsa_exception_fp_ieee_overflow 0
		.amdhsa_exception_fp_ieee_underflow 0
		.amdhsa_exception_fp_ieee_inexact 0
		.amdhsa_exception_int_div_zero 0
	.end_amdhsa_kernel
	.section	.text._ZN9rocsparseL34gtsv_solve_spike_grid_level_kernelILj256EdEEviiiPT0_PKS1_S4_,"axG",@progbits,_ZN9rocsparseL34gtsv_solve_spike_grid_level_kernelILj256EdEEviiiPT0_PKS1_S4_,comdat
.Lfunc_end103:
	.size	_ZN9rocsparseL34gtsv_solve_spike_grid_level_kernelILj256EdEEviiiPT0_PKS1_S4_, .Lfunc_end103-_ZN9rocsparseL34gtsv_solve_spike_grid_level_kernelILj256EdEEviiiPT0_PKS1_S4_
                                        ; -- End function
	.set _ZN9rocsparseL34gtsv_solve_spike_grid_level_kernelILj256EdEEviiiPT0_PKS1_S4_.num_vgpr, 46
	.set _ZN9rocsparseL34gtsv_solve_spike_grid_level_kernelILj256EdEEviiiPT0_PKS1_S4_.num_agpr, 0
	.set _ZN9rocsparseL34gtsv_solve_spike_grid_level_kernelILj256EdEEviiiPT0_PKS1_S4_.numbered_sgpr, 18
	.set _ZN9rocsparseL34gtsv_solve_spike_grid_level_kernelILj256EdEEviiiPT0_PKS1_S4_.num_named_barrier, 0
	.set _ZN9rocsparseL34gtsv_solve_spike_grid_level_kernelILj256EdEEviiiPT0_PKS1_S4_.private_seg_size, 0
	.set _ZN9rocsparseL34gtsv_solve_spike_grid_level_kernelILj256EdEEviiiPT0_PKS1_S4_.uses_vcc, 1
	.set _ZN9rocsparseL34gtsv_solve_spike_grid_level_kernelILj256EdEEviiiPT0_PKS1_S4_.uses_flat_scratch, 0
	.set _ZN9rocsparseL34gtsv_solve_spike_grid_level_kernelILj256EdEEviiiPT0_PKS1_S4_.has_dyn_sized_stack, 0
	.set _ZN9rocsparseL34gtsv_solve_spike_grid_level_kernelILj256EdEEviiiPT0_PKS1_S4_.has_recursion, 0
	.set _ZN9rocsparseL34gtsv_solve_spike_grid_level_kernelILj256EdEEviiiPT0_PKS1_S4_.has_indirect_call, 0
	.section	.AMDGPU.csdata,"",@progbits
; Kernel info:
; codeLenInByte = 4740
; TotalNumSgprs: 22
; NumVgprs: 46
; ScratchSize: 0
; MemoryBound: 1
; FloatMode: 240
; IeeeMode: 1
; LDSByteSize: 12288 bytes/workgroup (compile time only)
; SGPRBlocks: 12
; VGPRBlocks: 11
; NumSGPRsForWavesPerEU: 102
; NumVGPRsForWavesPerEU: 46
; Occupancy: 5
; WaveLimiterHint : 1
; COMPUTE_PGM_RSRC2:SCRATCH_EN: 0
; COMPUTE_PGM_RSRC2:USER_SGPR: 6
; COMPUTE_PGM_RSRC2:TRAP_HANDLER: 0
; COMPUTE_PGM_RSRC2:TGID_X_EN: 1
; COMPUTE_PGM_RSRC2:TGID_Y_EN: 1
; COMPUTE_PGM_RSRC2:TGID_Z_EN: 0
; COMPUTE_PGM_RSRC2:TIDIG_COMP_CNT: 0
	.section	.text._ZN9rocsparseL34gtsv_solve_spike_grid_level_kernelILj512EdEEviiiPT0_PKS1_S4_,"axG",@progbits,_ZN9rocsparseL34gtsv_solve_spike_grid_level_kernelILj512EdEEviiiPT0_PKS1_S4_,comdat
	.globl	_ZN9rocsparseL34gtsv_solve_spike_grid_level_kernelILj512EdEEviiiPT0_PKS1_S4_ ; -- Begin function _ZN9rocsparseL34gtsv_solve_spike_grid_level_kernelILj512EdEEviiiPT0_PKS1_S4_
	.p2align	8
	.type	_ZN9rocsparseL34gtsv_solve_spike_grid_level_kernelILj512EdEEviiiPT0_PKS1_S4_,@function
_ZN9rocsparseL34gtsv_solve_spike_grid_level_kernelILj512EdEEviiiPT0_PKS1_S4_: ; @_ZN9rocsparseL34gtsv_solve_spike_grid_level_kernelILj512EdEEviiiPT0_PKS1_S4_
; %bb.0:
	s_load_dwordx4 s[8:11], s[4:5], 0x10
	s_load_dwordx2 s[0:1], s[4:5], 0x20
	v_lshlrev_b32_e32 v6, 3, v0
	v_mov_b32_e32 v4, 0
	s_movk_i32 s2, 0x1000
	s_waitcnt lgkmcnt(0)
	v_mov_b32_e32 v1, s11
	v_add_co_u32_e32 v2, vcc, s10, v6
	v_addc_co_u32_e32 v3, vcc, 0, v1, vcc
	v_add_co_u32_e32 v1, vcc, 0x1000, v2
	v_addc_co_u32_e32 v2, vcc, 0, v3, vcc
	global_load_dwordx2 v[8:9], v[1:2], off
	v_mov_b32_e32 v1, s1
	v_add_co_u32_e32 v2, vcc, s0, v6
	v_addc_co_u32_e32 v5, vcc, 0, v1, vcc
	v_lshl_or_b32 v3, s7, 10, v0
	v_add_co_u32_e32 v14, vcc, s2, v2
	v_lshlrev_b64 v[1:2], 3, v[3:4]
	v_or_b32_e32 v3, 0x200, v3
	global_load_dwordx2 v[10:11], v6, s[10:11]
	global_load_dwordx2 v[12:13], v6, s[0:1]
	v_mov_b32_e32 v7, s9
	v_add_co_u32_e64 v1, s[0:1], s8, v1
	v_lshlrev_b64 v[3:4], 3, v[3:4]
	v_addc_co_u32_e64 v2, s[0:1], v7, v2, s[0:1]
	v_add_co_u32_e64 v3, s[0:1], s8, v3
	v_addc_co_u32_e64 v4, s[0:1], v7, v4, s[0:1]
	global_load_dwordx2 v[16:17], v[1:2], off
	global_load_dwordx2 v[18:19], v[3:4], off
	v_addc_co_u32_e32 v15, vcc, 0, v5, vcc
	global_load_dwordx2 v[14:15], v[14:15], off
	s_movk_i32 s0, 0x100
	v_or_b32_e32 v7, 0x2000, v6
	v_or_b32_e32 v5, 0x4000, v6
	v_cmp_gt_u32_e64 s[0:1], s0, v0
	s_waitcnt vmcnt(1)
	ds_write2st64_b64 v6, v[16:17], v[18:19] offset0:32 offset1:40
	ds_write2st64_b64 v6, v[10:11], v[8:9] offset0:16 offset1:24
	s_waitcnt vmcnt(0)
	ds_write2st64_b64 v6, v[12:13], v[14:15] offset1:8
	s_waitcnt lgkmcnt(0)
	s_barrier
	s_and_saveexec_b64 s[2:3], s[0:1]
	s_cbranch_execz .LBB104_2
; %bb.1:
	v_add_u32_e32 v38, v7, v6
	ds_read_b128 v[8:11], v38
	v_add_u32_e32 v39, v6, v6
	ds_read_b128 v[12:15], v39 offset:4096
	ds_read_b128 v[16:19], v39
	ds_read_b128 v[20:23], v38 offset:4096
	v_add_u32_e32 v40, v5, v6
	s_waitcnt lgkmcnt(2)
	v_fma_f64 v[32:33], -v[10:11], v[12:13], 1.0
	v_div_scale_f64 v[24:25], s[4:5], v[32:33], v[32:33], 1.0
	v_rcp_f64_e32 v[26:27], v[24:25]
	v_fma_f64 v[28:29], -v[24:25], v[26:27], 1.0
	v_fma_f64 v[26:27], v[26:27], v[28:29], v[26:27]
	v_div_scale_f64 v[28:29], vcc, 1.0, v[32:33], 1.0
	v_fma_f64 v[30:31], -v[24:25], v[26:27], 1.0
	v_fma_f64 v[26:27], v[26:27], v[30:31], v[26:27]
	v_mul_f64 v[30:31], v[28:29], v[26:27]
	v_fma_f64 v[24:25], -v[24:25], v[30:31], v[28:29]
	v_div_fmas_f64 v[34:35], v[24:25], v[26:27], v[30:31]
	ds_read_b128 v[24:27], v40 offset:4096
	ds_read_b128 v[28:31], v40
	s_waitcnt lgkmcnt(0)
	v_fma_f64 v[36:37], -v[10:11], v[24:25], v[30:31]
	v_fma_f64 v[24:25], -v[12:13], v[30:31], v[24:25]
	v_mul_f64 v[10:11], v[10:11], v[20:21]
	v_div_fixup_f64 v[34:35], v[34:35], v[32:33], 1.0
	v_mul_f64 v[32:33], v[12:13], v[18:19]
	v_mul_f64 v[12:13], v[36:37], v[34:35]
	;; [unrolled: 1-line block ×3, first 2 shown]
	v_mul_f64 v[30:31], v[10:11], -v[34:35]
	v_mul_f64 v[18:19], v[34:35], v[18:19]
	v_mul_f64 v[32:33], v[32:33], -v[34:35]
	v_mul_f64 v[20:21], v[34:35], v[20:21]
	v_fma_f64 v[10:11], -v[12:13], v[16:17], v[28:29]
	v_fma_f64 v[26:27], -v[22:23], v[24:25], v[26:27]
	;; [unrolled: 1-line block ×3, first 2 shown]
	v_mul_f64 v[16:17], v[18:19], -v[16:17]
	v_fma_f64 v[34:35], -v[32:33], v[22:23], v[14:15]
	v_mul_f64 v[22:23], v[20:21], -v[22:23]
	ds_write_b128 v40, v[10:13]
	ds_write_b128 v40, v[24:27] offset:4096
	ds_write_b128 v38, v[28:31]
	ds_write_b128 v39, v[16:19]
	ds_write_b128 v39, v[32:35] offset:4096
	ds_write_b128 v38, v[20:23] offset:4096
.LBB104_2:
	s_or_b64 exec, exec, s[2:3]
	s_movk_i32 s2, 0x80
	v_cmp_gt_u32_e64 s[2:3], s2, v0
	s_waitcnt lgkmcnt(0)
	s_barrier
	s_and_saveexec_b64 s[4:5], s[2:3]
	s_cbranch_execz .LBB104_4
; %bb.3:
	v_mad_u32_u24 v38, v0, 24, v6
	v_mad_u32_u24 v37, v0, 24, v7
	v_add_u32_e32 v39, 0x1000, v38
	ds_read2_b64 v[7:10], v37 offset1:2
	ds_read2_b64 v[11:14], v39 offset0:1 offset1:3
	v_mad_u32_u24 v40, v0, 24, v5
	v_add_u32_e32 v41, 0x1000, v40
	v_add_u32_e32 v42, 0x1000, v37
	s_waitcnt lgkmcnt(0)
	v_fma_f64 v[31:32], -v[9:10], v[11:12], 1.0
	v_div_scale_f64 v[15:16], s[6:7], v[31:32], v[31:32], 1.0
	v_rcp_f64_e32 v[17:18], v[15:16]
	v_fma_f64 v[19:20], -v[15:16], v[17:18], 1.0
	v_fma_f64 v[17:18], v[17:18], v[19:20], v[17:18]
	v_div_scale_f64 v[19:20], vcc, 1.0, v[31:32], 1.0
	v_fma_f64 v[21:22], -v[15:16], v[17:18], 1.0
	v_fma_f64 v[17:18], v[17:18], v[21:22], v[17:18]
	v_mul_f64 v[21:22], v[19:20], v[17:18]
	v_fma_f64 v[15:16], -v[15:16], v[21:22], v[19:20]
	v_div_fmas_f64 v[33:34], v[15:16], v[17:18], v[21:22]
	ds_read2_b64 v[15:18], v40 offset1:2
	ds_read2_b64 v[19:22], v41 offset0:1 offset1:3
	ds_read2_b64 v[23:26], v42 offset0:1 offset1:3
	ds_read2_b64 v[27:30], v38 offset1:2
	s_waitcnt lgkmcnt(2)
	v_fma_f64 v[35:36], -v[9:10], v[19:20], v[17:18]
	v_fma_f64 v[17:18], -v[11:12], v[17:18], v[19:20]
	s_waitcnt lgkmcnt(1)
	v_mul_f64 v[9:10], v[9:10], v[23:24]
	s_waitcnt lgkmcnt(0)
	v_mul_f64 v[11:12], v[11:12], v[29:30]
	v_div_fixup_f64 v[31:32], v[33:34], v[31:32], 1.0
	v_mul_f64 v[19:20], v[35:36], v[31:32]
	v_mul_f64 v[17:18], v[31:32], v[17:18]
	v_mul_f64 v[9:10], v[9:10], -v[31:32]
	v_mul_f64 v[29:30], v[31:32], v[29:30]
	v_mul_f64 v[11:12], v[11:12], -v[31:32]
	v_mul_f64 v[23:24], v[31:32], v[23:24]
	v_fma_f64 v[15:16], -v[19:20], v[27:28], v[15:16]
	v_fma_f64 v[21:22], -v[25:26], v[17:18], v[21:22]
	;; [unrolled: 1-line block ×3, first 2 shown]
	v_mul_f64 v[27:28], v[29:30], -v[27:28]
	v_fma_f64 v[13:14], -v[11:12], v[25:26], v[13:14]
	v_mul_f64 v[25:26], v[23:24], -v[25:26]
	ds_write2_b64 v40, v[15:16], v[19:20] offset1:2
	ds_write2_b64 v41, v[17:18], v[21:22] offset0:1 offset1:3
	ds_write2_b64 v37, v[7:8], v[9:10] offset1:2
	ds_write2_b64 v38, v[27:28], v[29:30] offset1:2
	ds_write2_b64 v39, v[11:12], v[13:14] offset0:1 offset1:3
	ds_write2_b64 v42, v[23:24], v[25:26] offset0:1 offset1:3
.LBB104_4:
	s_or_b64 exec, exec, s[4:5]
	v_cmp_gt_u32_e64 s[4:5], 64, v0
	v_lshlrev_b32_e32 v7, 6, v0
	s_waitcnt lgkmcnt(0)
	s_barrier
	s_and_saveexec_b64 s[6:7], s[4:5]
	s_cbranch_execz .LBB104_6
; %bb.5:
	v_add_u32_e32 v38, 0x2000, v7
	v_add_u32_e32 v39, 0x1000, v7
	ds_read2_b64 v[8:11], v38 offset1:4
	ds_read2_b64 v[12:15], v39 offset0:3 offset1:7
	v_add_u32_e32 v40, 0x5000, v7
	v_add_u32_e32 v41, 0x4000, v7
	v_add_u32_e32 v42, 0x3000, v7
	s_waitcnt lgkmcnt(0)
	v_fma_f64 v[32:33], -v[10:11], v[12:13], 1.0
	v_div_scale_f64 v[16:17], s[8:9], v[32:33], v[32:33], 1.0
	v_rcp_f64_e32 v[18:19], v[16:17]
	v_fma_f64 v[20:21], -v[16:17], v[18:19], 1.0
	v_fma_f64 v[18:19], v[18:19], v[20:21], v[18:19]
	v_div_scale_f64 v[20:21], vcc, 1.0, v[32:33], 1.0
	v_fma_f64 v[22:23], -v[16:17], v[18:19], 1.0
	v_fma_f64 v[18:19], v[18:19], v[22:23], v[18:19]
	v_mul_f64 v[22:23], v[20:21], v[18:19]
	v_fma_f64 v[16:17], -v[16:17], v[22:23], v[20:21]
	v_div_fmas_f64 v[34:35], v[16:17], v[18:19], v[22:23]
	ds_read2_b64 v[16:19], v40 offset0:3 offset1:7
	ds_read2_b64 v[20:23], v41 offset1:4
	ds_read2_b64 v[24:27], v42 offset0:3 offset1:7
	ds_read2_b64 v[28:31], v7 offset1:4
	s_waitcnt lgkmcnt(2)
	v_fma_f64 v[36:37], -v[10:11], v[16:17], v[22:23]
	v_fma_f64 v[16:17], -v[12:13], v[22:23], v[16:17]
	s_waitcnt lgkmcnt(1)
	v_mul_f64 v[10:11], v[10:11], v[24:25]
	s_waitcnt lgkmcnt(0)
	v_mul_f64 v[12:13], v[12:13], v[30:31]
	v_div_fixup_f64 v[32:33], v[34:35], v[32:33], 1.0
	v_mul_f64 v[22:23], v[36:37], v[32:33]
	v_mul_f64 v[16:17], v[32:33], v[16:17]
	v_mul_f64 v[10:11], v[10:11], -v[32:33]
	v_mul_f64 v[30:31], v[32:33], v[30:31]
	v_mul_f64 v[12:13], v[12:13], -v[32:33]
	v_mul_f64 v[24:25], v[32:33], v[24:25]
	v_fma_f64 v[20:21], -v[22:23], v[28:29], v[20:21]
	v_fma_f64 v[18:19], -v[26:27], v[16:17], v[18:19]
	v_fma_f64 v[8:9], -v[10:11], v[28:29], v[8:9]
	v_mul_f64 v[28:29], v[30:31], -v[28:29]
	v_fma_f64 v[14:15], -v[12:13], v[26:27], v[14:15]
	v_mul_f64 v[26:27], v[24:25], -v[26:27]
	ds_write2_b64 v41, v[20:21], v[22:23] offset1:4
	ds_write2_b64 v40, v[16:17], v[18:19] offset0:3 offset1:7
	ds_write2_b64 v38, v[8:9], v[10:11] offset1:4
	ds_write2_b64 v7, v[28:29], v[30:31] offset1:4
	ds_write2_b64 v39, v[12:13], v[14:15] offset0:3 offset1:7
	ds_write2_b64 v42, v[24:25], v[26:27] offset0:3 offset1:7
.LBB104_6:
	s_or_b64 exec, exec, s[6:7]
	v_cmp_gt_u32_e64 s[6:7], 32, v0
	v_lshlrev_b32_e32 v8, 7, v0
	s_waitcnt lgkmcnt(0)
	s_barrier
	s_and_saveexec_b64 s[8:9], s[6:7]
	s_cbranch_execz .LBB104_8
; %bb.7:
	v_add_u32_e32 v39, 0x2000, v8
	v_add_u32_e32 v40, 0x1000, v8
	ds_read2_b64 v[9:12], v39 offset1:8
	ds_read2_b64 v[13:16], v40 offset0:7 offset1:15
	v_add_u32_e32 v41, 0x5000, v8
	v_add_u32_e32 v42, 0x4000, v8
	v_add_u32_e32 v43, 0x3000, v8
	s_waitcnt lgkmcnt(0)
	v_fma_f64 v[33:34], -v[11:12], v[13:14], 1.0
	v_div_scale_f64 v[17:18], s[10:11], v[33:34], v[33:34], 1.0
	v_rcp_f64_e32 v[19:20], v[17:18]
	v_fma_f64 v[21:22], -v[17:18], v[19:20], 1.0
	v_fma_f64 v[19:20], v[19:20], v[21:22], v[19:20]
	v_div_scale_f64 v[21:22], vcc, 1.0, v[33:34], 1.0
	v_fma_f64 v[23:24], -v[17:18], v[19:20], 1.0
	v_fma_f64 v[19:20], v[19:20], v[23:24], v[19:20]
	v_mul_f64 v[23:24], v[21:22], v[19:20]
	v_fma_f64 v[17:18], -v[17:18], v[23:24], v[21:22]
	v_div_fmas_f64 v[35:36], v[17:18], v[19:20], v[23:24]
	ds_read2_b64 v[17:20], v41 offset0:7 offset1:15
	ds_read2_b64 v[21:24], v42 offset1:8
	ds_read2_b64 v[25:28], v43 offset0:7 offset1:15
	ds_read2_b64 v[29:32], v8 offset1:8
	s_waitcnt lgkmcnt(2)
	v_fma_f64 v[37:38], -v[11:12], v[17:18], v[23:24]
	v_fma_f64 v[17:18], -v[13:14], v[23:24], v[17:18]
	s_waitcnt lgkmcnt(1)
	v_mul_f64 v[11:12], v[11:12], v[25:26]
	s_waitcnt lgkmcnt(0)
	v_mul_f64 v[13:14], v[13:14], v[31:32]
	v_div_fixup_f64 v[33:34], v[35:36], v[33:34], 1.0
	v_mul_f64 v[23:24], v[37:38], v[33:34]
	v_mul_f64 v[17:18], v[33:34], v[17:18]
	v_mul_f64 v[11:12], v[11:12], -v[33:34]
	v_mul_f64 v[31:32], v[33:34], v[31:32]
	v_mul_f64 v[13:14], v[13:14], -v[33:34]
	v_mul_f64 v[25:26], v[33:34], v[25:26]
	v_fma_f64 v[21:22], -v[23:24], v[29:30], v[21:22]
	v_fma_f64 v[19:20], -v[27:28], v[17:18], v[19:20]
	v_fma_f64 v[9:10], -v[11:12], v[29:30], v[9:10]
	v_mul_f64 v[29:30], v[31:32], -v[29:30]
	v_fma_f64 v[15:16], -v[13:14], v[27:28], v[15:16]
	v_mul_f64 v[27:28], v[25:26], -v[27:28]
	ds_write2_b64 v42, v[21:22], v[23:24] offset1:8
	ds_write2_b64 v41, v[17:18], v[19:20] offset0:7 offset1:15
	ds_write2_b64 v39, v[9:10], v[11:12] offset1:8
	ds_write2_b64 v8, v[29:30], v[31:32] offset1:8
	ds_write2_b64 v40, v[13:14], v[15:16] offset0:7 offset1:15
	ds_write2_b64 v43, v[25:26], v[27:28] offset0:7 offset1:15
.LBB104_8:
	;; [unrolled: 58-line block ×4, first 2 shown]
	s_or_b64 exec, exec, s[12:13]
	v_cmp_gt_u32_e64 s[12:13], 4, v0
	v_lshlrev_b32_e32 v11, 10, v0
	s_waitcnt lgkmcnt(0)
	s_barrier
	s_and_saveexec_b64 s[14:15], s[12:13]
	s_cbranch_execz .LBB104_14
; %bb.13:
	v_add_u32_e32 v42, 0x1f8, v11
	ds_read2st64_b64 v[12:15], v42 offset0:8 offset1:9
	ds_read2st64_b64 v[16:19], v11 offset0:16 offset1:17
	ds_read2st64_b64 v[20:23], v11 offset1:1
	ds_read2st64_b64 v[24:27], v42 offset0:24 offset1:25
	s_waitcnt lgkmcnt(2)
	v_fma_f64 v[36:37], -v[18:19], v[12:13], 1.0
	v_div_scale_f64 v[28:29], s[16:17], v[36:37], v[36:37], 1.0
	v_rcp_f64_e32 v[30:31], v[28:29]
	v_fma_f64 v[32:33], -v[28:29], v[30:31], 1.0
	v_fma_f64 v[30:31], v[30:31], v[32:33], v[30:31]
	v_div_scale_f64 v[32:33], vcc, 1.0, v[36:37], 1.0
	v_fma_f64 v[34:35], -v[28:29], v[30:31], 1.0
	v_fma_f64 v[30:31], v[30:31], v[34:35], v[30:31]
	v_mul_f64 v[34:35], v[32:33], v[30:31]
	v_fma_f64 v[28:29], -v[28:29], v[34:35], v[32:33]
	v_div_fmas_f64 v[38:39], v[28:29], v[30:31], v[34:35]
	ds_read2st64_b64 v[28:31], v11 offset0:32 offset1:33
	ds_read2st64_b64 v[32:35], v42 offset0:40 offset1:41
	s_waitcnt lgkmcnt(0)
	v_fma_f64 v[40:41], -v[18:19], v[32:33], v[30:31]
	v_fma_f64 v[30:31], -v[12:13], v[30:31], v[32:33]
	v_mul_f64 v[18:19], v[18:19], v[24:25]
	v_mul_f64 v[12:13], v[12:13], v[22:23]
	v_div_fixup_f64 v[36:37], v[38:39], v[36:37], 1.0
	v_mul_f64 v[32:33], v[40:41], v[36:37]
	v_mul_f64 v[30:31], v[36:37], v[30:31]
	v_mul_f64 v[18:19], v[18:19], -v[36:37]
	v_mul_f64 v[22:23], v[36:37], v[22:23]
	v_mul_f64 v[12:13], v[12:13], -v[36:37]
	v_mul_f64 v[24:25], v[36:37], v[24:25]
	v_fma_f64 v[28:29], -v[32:33], v[20:21], v[28:29]
	v_fma_f64 v[34:35], -v[26:27], v[30:31], v[34:35]
	;; [unrolled: 1-line block ×3, first 2 shown]
	v_mul_f64 v[20:21], v[22:23], -v[20:21]
	v_fma_f64 v[14:15], -v[12:13], v[26:27], v[14:15]
	v_mul_f64 v[26:27], v[24:25], -v[26:27]
	ds_write2st64_b64 v11, v[28:29], v[32:33] offset0:32 offset1:33
	ds_write2st64_b64 v42, v[30:31], v[34:35] offset0:40 offset1:41
	;; [unrolled: 1-line block ×3, first 2 shown]
	ds_write2st64_b64 v11, v[20:21], v[22:23] offset1:1
	ds_write2st64_b64 v42, v[12:13], v[14:15] offset0:8 offset1:9
	ds_write2st64_b64 v42, v[24:25], v[26:27] offset0:24 offset1:25
.LBB104_14:
	s_or_b64 exec, exec, s[14:15]
	v_cmp_gt_u32_e64 s[14:15], 2, v0
	v_lshlrev_b32_e32 v12, 11, v0
	s_waitcnt lgkmcnt(0)
	s_barrier
	s_and_saveexec_b64 s[16:17], s[14:15]
	s_cbranch_execz .LBB104_16
; %bb.15:
	v_add_u32_e32 v43, 0x1f8, v12
	ds_read2st64_b64 v[13:16], v12 offset0:16 offset1:18
	ds_read2st64_b64 v[17:20], v43 offset0:9 offset1:11
	s_waitcnt lgkmcnt(0)
	v_fma_f64 v[37:38], -v[15:16], v[17:18], 1.0
	v_div_scale_f64 v[21:22], s[18:19], v[37:38], v[37:38], 1.0
	v_rcp_f64_e32 v[23:24], v[21:22]
	v_fma_f64 v[25:26], -v[21:22], v[23:24], 1.0
	v_fma_f64 v[23:24], v[23:24], v[25:26], v[23:24]
	v_div_scale_f64 v[25:26], vcc, 1.0, v[37:38], 1.0
	v_fma_f64 v[27:28], -v[21:22], v[23:24], 1.0
	v_fma_f64 v[23:24], v[23:24], v[27:28], v[23:24]
	v_mul_f64 v[27:28], v[25:26], v[23:24]
	v_fma_f64 v[21:22], -v[21:22], v[27:28], v[25:26]
	v_div_fmas_f64 v[39:40], v[21:22], v[23:24], v[27:28]
	ds_read2st64_b64 v[21:24], v12 offset0:32 offset1:34
	ds_read2st64_b64 v[25:28], v43 offset0:41 offset1:43
	;; [unrolled: 1-line block ×3, first 2 shown]
	ds_read2st64_b64 v[33:36], v12 offset1:2
	s_waitcnt lgkmcnt(2)
	v_fma_f64 v[41:42], -v[15:16], v[25:26], v[23:24]
	v_fma_f64 v[23:24], -v[17:18], v[23:24], v[25:26]
	s_waitcnt lgkmcnt(1)
	v_mul_f64 v[15:16], v[15:16], v[29:30]
	s_waitcnt lgkmcnt(0)
	v_mul_f64 v[17:18], v[17:18], v[35:36]
	v_div_fixup_f64 v[37:38], v[39:40], v[37:38], 1.0
	v_mul_f64 v[25:26], v[41:42], v[37:38]
	v_mul_f64 v[23:24], v[37:38], v[23:24]
	v_mul_f64 v[15:16], v[15:16], -v[37:38]
	v_mul_f64 v[35:36], v[37:38], v[35:36]
	v_mul_f64 v[17:18], v[17:18], -v[37:38]
	v_mul_f64 v[29:30], v[37:38], v[29:30]
	v_fma_f64 v[21:22], -v[25:26], v[33:34], v[21:22]
	v_fma_f64 v[27:28], -v[31:32], v[23:24], v[27:28]
	;; [unrolled: 1-line block ×3, first 2 shown]
	v_mul_f64 v[33:34], v[35:36], -v[33:34]
	v_fma_f64 v[19:20], -v[17:18], v[31:32], v[19:20]
	v_mul_f64 v[31:32], v[29:30], -v[31:32]
	ds_write2st64_b64 v12, v[21:22], v[25:26] offset0:32 offset1:34
	ds_write2st64_b64 v43, v[23:24], v[27:28] offset0:41 offset1:43
	;; [unrolled: 1-line block ×3, first 2 shown]
	ds_write2st64_b64 v12, v[33:34], v[35:36] offset1:2
	ds_write2st64_b64 v43, v[17:18], v[19:20] offset0:9 offset1:11
	ds_write2st64_b64 v43, v[29:30], v[31:32] offset0:25 offset1:27
.LBB104_16:
	s_or_b64 exec, exec, s[16:17]
	v_cmp_eq_u32_e32 vcc, 0, v0
	s_waitcnt lgkmcnt(0)
	s_barrier
	s_and_saveexec_b64 s[16:17], vcc
	s_cbranch_execz .LBB104_18
; %bb.17:
	v_mov_b32_e32 v37, 0
	ds_read_b64 v[21:22], v37 offset:10240
	ds_read_b64 v[25:26], v37 offset:14328
	;; [unrolled: 1-line block ×4, first 2 shown]
	v_mov_b32_e32 v39, 0x3ff8
	v_mov_b32_e32 v40, 0x1ff8
	s_waitcnt lgkmcnt(1)
	v_fma_f64 v[27:28], -v[21:22], v[23:24], 1.0
	v_div_scale_f64 v[13:14], s[18:19], v[27:28], v[27:28], 1.0
	s_movk_i32 s18, 0x1f8
	v_add_u32_e64 v38, s18, 0
	v_rcp_f64_e32 v[15:16], v[13:14]
	v_fma_f64 v[17:18], -v[13:14], v[15:16], 1.0
	v_fma_f64 v[15:16], v[15:16], v[17:18], v[15:16]
	v_div_scale_f64 v[17:18], vcc, 1.0, v[27:28], 1.0
	v_fma_f64 v[19:20], -v[13:14], v[15:16], 1.0
	v_fma_f64 v[15:16], v[15:16], v[19:20], v[15:16]
	v_mul_f64 v[19:20], v[17:18], v[15:16]
	v_fma_f64 v[13:14], -v[13:14], v[19:20], v[17:18]
	v_div_fmas_f64 v[29:30], v[13:14], v[15:16], v[19:20]
	ds_read2st64_b64 v[13:16], v38 offset0:43 offset1:47
	ds_read2st64_b64 v[17:20], v37 offset1:4
	s_waitcnt lgkmcnt(1)
	v_fma_f64 v[33:34], -v[23:24], v[31:32], v[13:14]
	v_fma_f64 v[13:14], -v[21:22], v[13:14], v[31:32]
	v_mul_f64 v[31:32], v[21:22], v[25:26]
	v_div_fixup_f64 v[27:28], v[29:30], v[27:28], 1.0
	s_waitcnt lgkmcnt(0)
	v_mul_f64 v[29:30], v[23:24], v[19:20]
	ds_read2_b64 v[21:24], v39 offset1:1
	v_mul_f64 v[33:34], v[27:28], v[33:34]
	v_mul_f64 v[13:14], v[13:14], v[27:28]
	v_mul_f64 v[31:32], v[31:32], -v[27:28]
	v_mul_f64 v[19:20], v[27:28], v[19:20]
	v_mul_f64 v[29:30], v[29:30], -v[27:28]
	v_mul_f64 v[35:36], v[27:28], v[25:26]
	ds_read2_b64 v[25:28], v40 offset1:1
	s_waitcnt lgkmcnt(1)
	v_fma_f64 v[15:16], -v[21:22], v[33:34], v[15:16]
	v_fma_f64 v[23:24], -v[13:14], v[17:18], v[23:24]
	s_waitcnt lgkmcnt(0)
	v_fma_f64 v[27:28], -v[31:32], v[17:18], v[27:28]
	v_mul_f64 v[17:18], v[19:20], -v[17:18]
	v_fma_f64 v[25:26], -v[29:30], v[21:22], v[25:26]
	v_mul_f64 v[21:22], v[35:36], -v[21:22]
	ds_write_b64 v37, v[13:14] offset:18432
	ds_write_b64 v37, v[29:30] offset:6136
	;; [unrolled: 1-line block ×4, first 2 shown]
	ds_write2st64_b64 v38, v[33:34], v[15:16] offset0:43 offset1:47
	ds_write2st64_b64 v37, v[17:18], v[19:20] offset1:4
	ds_write2_b64 v40, v[25:26], v[27:28] offset1:1
	ds_write2_b64 v39, v[21:22], v[23:24] offset1:1
.LBB104_18:
	s_or_b64 exec, exec, s[16:17]
	s_waitcnt lgkmcnt(0)
	s_barrier
	s_and_saveexec_b64 s[16:17], s[14:15]
	s_cbranch_execz .LBB104_20
; %bb.19:
	v_max_u32_e32 v15, 1, v9
	ds_read_b64 v[13:14], v12 offset:21496
	v_lshlrev_b32_e32 v23, 3, v15
	ds_read_b64 v[15:16], v12 offset:13304
	ds_read_b64 v[17:18], v23 offset:20472
	v_min_u32_e32 v19, 0xff, v9
	v_lshlrev_b32_e32 v24, 3, v19
	ds_read_b64 v[19:20], v12 offset:5112
	ds_read_b64 v[21:22], v24 offset:18432
	s_waitcnt lgkmcnt(2)
	v_fma_f64 v[13:14], -v[15:16], v[17:18], v[13:14]
	s_waitcnt lgkmcnt(0)
	v_fma_f64 v[13:14], -v[19:20], v[21:22], v[13:14]
	ds_write_b64 v12, v[13:14] offset:21496
	ds_read_b64 v[13:14], v12 offset:17408
	ds_read_b64 v[15:16], v12 offset:9216
	ds_read_b64 v[17:18], v23 offset:20472
	ds_read_b64 v[19:20], v12 offset:1024
	s_waitcnt lgkmcnt(1)
	v_fma_f64 v[13:14], -v[15:16], v[17:18], v[13:14]
	ds_write_b64 v12, v[13:14] offset:17408
	ds_read_b64 v[15:16], v24 offset:18432
	s_waitcnt lgkmcnt(0)
	v_fma_f64 v[13:14], -v[19:20], v[15:16], v[13:14]
	ds_write_b64 v12, v[13:14] offset:17408
.LBB104_20:
	s_or_b64 exec, exec, s[16:17]
	s_waitcnt lgkmcnt(0)
	s_barrier
	s_and_saveexec_b64 s[14:15], s[12:13]
	s_cbranch_execz .LBB104_22
; %bb.21:
	v_max_u32_e32 v14, 1, v8
	ds_read_b64 v[12:13], v11 offset:20984
	v_lshlrev_b32_e32 v22, 3, v14
	ds_read_b64 v[14:15], v11 offset:12792
	ds_read_b64 v[16:17], v22 offset:20472
	v_min_u32_e32 v18, 0x17f, v8
	v_lshlrev_b32_e32 v23, 3, v18
	ds_read_b64 v[18:19], v11 offset:4600
	ds_read_b64 v[20:21], v23 offset:17408
	s_waitcnt lgkmcnt(2)
	v_fma_f64 v[12:13], -v[14:15], v[16:17], v[12:13]
	s_waitcnt lgkmcnt(0)
	v_fma_f64 v[12:13], -v[18:19], v[20:21], v[12:13]
	ds_write_b64 v11, v[12:13] offset:20984
	ds_read_b64 v[12:13], v11 offset:16896
	ds_read_b64 v[14:15], v11 offset:8704
	ds_read_b64 v[16:17], v22 offset:20472
	ds_read_b64 v[18:19], v11 offset:512
	s_waitcnt lgkmcnt(1)
	v_fma_f64 v[12:13], -v[14:15], v[16:17], v[12:13]
	ds_write_b64 v11, v[12:13] offset:16896
	ds_read_b64 v[14:15], v23 offset:17408
	s_waitcnt lgkmcnt(0)
	v_fma_f64 v[12:13], -v[18:19], v[14:15], v[12:13]
	ds_write_b64 v11, v[12:13] offset:16896
.LBB104_22:
	s_or_b64 exec, exec, s[14:15]
	s_waitcnt lgkmcnt(0)
	s_barrier
	s_and_saveexec_b64 s[12:13], s[10:11]
	s_cbranch_execz .LBB104_24
; %bb.23:
	v_max_u32_e32 v13, 1, v7
	ds_read_b64 v[11:12], v10 offset:20728
	v_lshlrev_b32_e32 v21, 3, v13
	ds_read_b64 v[13:14], v10 offset:12536
	ds_read_b64 v[15:16], v21 offset:20472
	v_min_u32_e32 v17, 0x1bf, v7
	v_lshlrev_b32_e32 v22, 3, v17
	ds_read_b64 v[17:18], v10 offset:4344
	ds_read_b64 v[19:20], v22 offset:16896
	s_waitcnt lgkmcnt(2)
	v_fma_f64 v[11:12], -v[13:14], v[15:16], v[11:12]
	s_waitcnt lgkmcnt(0)
	v_fma_f64 v[11:12], -v[17:18], v[19:20], v[11:12]
	ds_write_b64 v10, v[11:12] offset:20728
	ds_read_b64 v[11:12], v10 offset:16640
	ds_read_b64 v[13:14], v10 offset:8448
	ds_read_b64 v[15:16], v21 offset:20472
	ds_read_b64 v[17:18], v10 offset:256
	s_waitcnt lgkmcnt(1)
	v_fma_f64 v[11:12], -v[13:14], v[15:16], v[11:12]
	ds_write_b64 v10, v[11:12] offset:16640
	ds_read_b64 v[13:14], v22 offset:16896
	s_waitcnt lgkmcnt(0)
	v_fma_f64 v[11:12], -v[17:18], v[13:14], v[11:12]
	ds_write_b64 v10, v[11:12] offset:16640
.LBB104_24:
	s_or_b64 exec, exec, s[12:13]
	v_lshlrev_b32_e32 v10, 5, v0
	s_waitcnt lgkmcnt(0)
	s_barrier
	s_and_saveexec_b64 s[10:11], s[8:9]
	s_cbranch_execz .LBB104_26
; %bb.25:
	v_max_u32_e32 v13, 1, v10
	ds_read_b64 v[11:12], v9 offset:20600
	v_lshlrev_b32_e32 v21, 3, v13
	ds_read_b64 v[13:14], v9 offset:12408
	ds_read_b64 v[15:16], v21 offset:20472
	v_min_u32_e32 v17, 0x1df, v10
	v_lshlrev_b32_e32 v22, 3, v17
	ds_read_b64 v[17:18], v9 offset:4216
	ds_read_b64 v[19:20], v22 offset:16640
	s_waitcnt lgkmcnt(2)
	v_fma_f64 v[11:12], -v[13:14], v[15:16], v[11:12]
	s_waitcnt lgkmcnt(0)
	v_fma_f64 v[11:12], -v[17:18], v[19:20], v[11:12]
	ds_write_b64 v9, v[11:12] offset:20600
	ds_read_b64 v[11:12], v9 offset:16512
	ds_read_b64 v[13:14], v9 offset:8320
	;; [unrolled: 1-line block ×4, first 2 shown]
	s_waitcnt lgkmcnt(1)
	v_fma_f64 v[11:12], -v[13:14], v[15:16], v[11:12]
	ds_write_b64 v9, v[11:12] offset:16512
	ds_read_b64 v[13:14], v22 offset:16640
	s_waitcnt lgkmcnt(0)
	v_fma_f64 v[11:12], -v[17:18], v[13:14], v[11:12]
	ds_write_b64 v9, v[11:12] offset:16512
.LBB104_26:
	s_or_b64 exec, exec, s[10:11]
	v_lshlrev_b32_e32 v9, 4, v0
	s_waitcnt lgkmcnt(0)
	s_barrier
	s_and_saveexec_b64 s[8:9], s[6:7]
	s_cbranch_execz .LBB104_28
; %bb.27:
	v_max_u32_e32 v13, 1, v9
	ds_read_b64 v[11:12], v8 offset:20536
	v_lshlrev_b32_e32 v21, 3, v13
	ds_read_b64 v[13:14], v8 offset:12344
	ds_read_b64 v[15:16], v21 offset:20472
	v_min_u32_e32 v17, 0x1ef, v9
	v_lshlrev_b32_e32 v22, 3, v17
	ds_read_b64 v[17:18], v8 offset:4152
	ds_read_b64 v[19:20], v22 offset:16512
	s_waitcnt lgkmcnt(2)
	v_fma_f64 v[11:12], -v[13:14], v[15:16], v[11:12]
	s_waitcnt lgkmcnt(0)
	v_fma_f64 v[11:12], -v[17:18], v[19:20], v[11:12]
	ds_write_b64 v8, v[11:12] offset:20536
	ds_read_b64 v[11:12], v8 offset:16448
	ds_read_b64 v[13:14], v8 offset:8256
	;; [unrolled: 1-line block ×4, first 2 shown]
	s_waitcnt lgkmcnt(1)
	v_fma_f64 v[11:12], -v[13:14], v[15:16], v[11:12]
	ds_write_b64 v8, v[11:12] offset:16448
	ds_read_b64 v[13:14], v22 offset:16512
	s_waitcnt lgkmcnt(0)
	v_fma_f64 v[11:12], -v[17:18], v[13:14], v[11:12]
	ds_write_b64 v8, v[11:12] offset:16448
.LBB104_28:
	s_or_b64 exec, exec, s[8:9]
	s_waitcnt lgkmcnt(0)
	s_barrier
	s_and_saveexec_b64 s[6:7], s[4:5]
	s_cbranch_execz .LBB104_30
; %bb.29:
	v_max_u32_e32 v8, 1, v6
	ds_read_b64 v[11:12], v7 offset:20504
	v_lshlrev_b32_e32 v8, 3, v8
	ds_read_b64 v[13:14], v7 offset:12312
	ds_read_b64 v[15:16], v8 offset:20472
	v_min_u32_e32 v6, 0x1f7, v6
	v_lshlrev_b32_e32 v6, 3, v6
	ds_read_b64 v[17:18], v7 offset:4120
	ds_read_b64 v[19:20], v6 offset:16448
	s_waitcnt lgkmcnt(2)
	v_fma_f64 v[11:12], -v[13:14], v[15:16], v[11:12]
	s_waitcnt lgkmcnt(0)
	v_fma_f64 v[11:12], -v[17:18], v[19:20], v[11:12]
	ds_write_b64 v7, v[11:12] offset:20504
	ds_read_b64 v[11:12], v7 offset:16416
	ds_read_b64 v[13:14], v7 offset:8224
	;; [unrolled: 1-line block ×4, first 2 shown]
	s_waitcnt lgkmcnt(1)
	v_fma_f64 v[11:12], -v[13:14], v[15:16], v[11:12]
	ds_write_b64 v7, v[11:12] offset:16416
	ds_read_b64 v[13:14], v6 offset:16448
	s_waitcnt lgkmcnt(0)
	v_fma_f64 v[11:12], -v[17:18], v[13:14], v[11:12]
	ds_write_b64 v7, v[11:12] offset:16416
.LBB104_30:
	s_or_b64 exec, exec, s[6:7]
	s_waitcnt lgkmcnt(0)
	s_barrier
	s_and_saveexec_b64 s[4:5], s[2:3]
	s_cbranch_execz .LBB104_32
; %bb.31:
	v_lshlrev_b32_e32 v8, 2, v0
	v_max_u32_e32 v11, 1, v8
	ds_read_b64 v[6:7], v10 offset:20488
	v_lshlrev_b32_e32 v19, 3, v11
	ds_read_b64 v[11:12], v10 offset:12296
	ds_read_b64 v[13:14], v19 offset:20472
	v_min_u32_e32 v8, 0x1fb, v8
	v_lshlrev_b32_e32 v8, 3, v8
	ds_read_b64 v[15:16], v10 offset:4104
	ds_read_b64 v[17:18], v8 offset:16416
	s_waitcnt lgkmcnt(2)
	v_fma_f64 v[6:7], -v[11:12], v[13:14], v[6:7]
	s_waitcnt lgkmcnt(0)
	v_fma_f64 v[6:7], -v[15:16], v[17:18], v[6:7]
	ds_write_b64 v10, v[6:7] offset:20488
	ds_read_b64 v[6:7], v10 offset:16400
	ds_read_b64 v[11:12], v10 offset:8208
	;; [unrolled: 1-line block ×4, first 2 shown]
	s_waitcnt lgkmcnt(1)
	v_fma_f64 v[6:7], -v[11:12], v[13:14], v[6:7]
	ds_write_b64 v10, v[6:7] offset:16400
	ds_read_b64 v[11:12], v8 offset:16416
	s_waitcnt lgkmcnt(0)
	v_fma_f64 v[6:7], -v[15:16], v[11:12], v[6:7]
	ds_write_b64 v10, v[6:7] offset:16400
.LBB104_32:
	s_or_b64 exec, exec, s[4:5]
	s_waitcnt lgkmcnt(0)
	s_barrier
	s_and_saveexec_b64 s[2:3], s[0:1]
	s_cbranch_execz .LBB104_34
; %bb.33:
	v_lshlrev_b32_e32 v0, 1, v0
	v_max_u32_e32 v8, 1, v0
	ds_read_b64 v[6:7], v9 offset:20480
	v_lshlrev_b32_e32 v8, 3, v8
	ds_read_b64 v[10:11], v9 offset:12288
	ds_read_b64 v[12:13], v8 offset:20472
	v_min_u32_e32 v0, 0x1fd, v0
	v_lshlrev_b32_e32 v0, 3, v0
	ds_read_b64 v[14:15], v9 offset:4096
	ds_read_b64 v[16:17], v0 offset:16400
	s_waitcnt lgkmcnt(2)
	v_fma_f64 v[6:7], -v[10:11], v[12:13], v[6:7]
	s_waitcnt lgkmcnt(0)
	v_fma_f64 v[6:7], -v[14:15], v[16:17], v[6:7]
	ds_write_b64 v9, v[6:7] offset:20480
	ds_read_b64 v[6:7], v9 offset:16392
	ds_read_b64 v[10:11], v9 offset:8200
	;; [unrolled: 1-line block ×4, first 2 shown]
	s_waitcnt lgkmcnt(1)
	v_fma_f64 v[6:7], -v[10:11], v[12:13], v[6:7]
	ds_write_b64 v9, v[6:7] offset:16392
	ds_read_b64 v[10:11], v0 offset:16400
	s_waitcnt lgkmcnt(0)
	v_fma_f64 v[6:7], -v[14:15], v[10:11], v[6:7]
	ds_write_b64 v9, v[6:7] offset:16392
.LBB104_34:
	s_or_b64 exec, exec, s[2:3]
	s_waitcnt lgkmcnt(0)
	s_barrier
	ds_read2st64_b64 v[5:8], v5 offset1:8
	s_waitcnt lgkmcnt(0)
	global_store_dwordx2 v[1:2], v[5:6], off
	global_store_dwordx2 v[3:4], v[7:8], off
	s_endpgm
	.section	.rodata,"a",@progbits
	.p2align	6, 0x0
	.amdhsa_kernel _ZN9rocsparseL34gtsv_solve_spike_grid_level_kernelILj512EdEEviiiPT0_PKS1_S4_
		.amdhsa_group_segment_fixed_size 24576
		.amdhsa_private_segment_fixed_size 0
		.amdhsa_kernarg_size 40
		.amdhsa_user_sgpr_count 6
		.amdhsa_user_sgpr_private_segment_buffer 1
		.amdhsa_user_sgpr_dispatch_ptr 0
		.amdhsa_user_sgpr_queue_ptr 0
		.amdhsa_user_sgpr_kernarg_segment_ptr 1
		.amdhsa_user_sgpr_dispatch_id 0
		.amdhsa_user_sgpr_flat_scratch_init 0
		.amdhsa_user_sgpr_private_segment_size 0
		.amdhsa_uses_dynamic_stack 0
		.amdhsa_system_sgpr_private_segment_wavefront_offset 0
		.amdhsa_system_sgpr_workgroup_id_x 1
		.amdhsa_system_sgpr_workgroup_id_y 1
		.amdhsa_system_sgpr_workgroup_id_z 0
		.amdhsa_system_sgpr_workgroup_info 0
		.amdhsa_system_vgpr_workitem_id 0
		.amdhsa_next_free_vgpr 49
		.amdhsa_next_free_sgpr 98
		.amdhsa_reserve_vcc 1
		.amdhsa_reserve_flat_scratch 0
		.amdhsa_float_round_mode_32 0
		.amdhsa_float_round_mode_16_64 0
		.amdhsa_float_denorm_mode_32 3
		.amdhsa_float_denorm_mode_16_64 3
		.amdhsa_dx10_clamp 1
		.amdhsa_ieee_mode 1
		.amdhsa_fp16_overflow 0
		.amdhsa_exception_fp_ieee_invalid_op 0
		.amdhsa_exception_fp_denorm_src 0
		.amdhsa_exception_fp_ieee_div_zero 0
		.amdhsa_exception_fp_ieee_overflow 0
		.amdhsa_exception_fp_ieee_underflow 0
		.amdhsa_exception_fp_ieee_inexact 0
		.amdhsa_exception_int_div_zero 0
	.end_amdhsa_kernel
	.section	.text._ZN9rocsparseL34gtsv_solve_spike_grid_level_kernelILj512EdEEviiiPT0_PKS1_S4_,"axG",@progbits,_ZN9rocsparseL34gtsv_solve_spike_grid_level_kernelILj512EdEEviiiPT0_PKS1_S4_,comdat
.Lfunc_end104:
	.size	_ZN9rocsparseL34gtsv_solve_spike_grid_level_kernelILj512EdEEviiiPT0_PKS1_S4_, .Lfunc_end104-_ZN9rocsparseL34gtsv_solve_spike_grid_level_kernelILj512EdEEviiiPT0_PKS1_S4_
                                        ; -- End function
	.set _ZN9rocsparseL34gtsv_solve_spike_grid_level_kernelILj512EdEEviiiPT0_PKS1_S4_.num_vgpr, 46
	.set _ZN9rocsparseL34gtsv_solve_spike_grid_level_kernelILj512EdEEviiiPT0_PKS1_S4_.num_agpr, 0
	.set _ZN9rocsparseL34gtsv_solve_spike_grid_level_kernelILj512EdEEviiiPT0_PKS1_S4_.numbered_sgpr, 20
	.set _ZN9rocsparseL34gtsv_solve_spike_grid_level_kernelILj512EdEEviiiPT0_PKS1_S4_.num_named_barrier, 0
	.set _ZN9rocsparseL34gtsv_solve_spike_grid_level_kernelILj512EdEEviiiPT0_PKS1_S4_.private_seg_size, 0
	.set _ZN9rocsparseL34gtsv_solve_spike_grid_level_kernelILj512EdEEviiiPT0_PKS1_S4_.uses_vcc, 1
	.set _ZN9rocsparseL34gtsv_solve_spike_grid_level_kernelILj512EdEEviiiPT0_PKS1_S4_.uses_flat_scratch, 0
	.set _ZN9rocsparseL34gtsv_solve_spike_grid_level_kernelILj512EdEEviiiPT0_PKS1_S4_.has_dyn_sized_stack, 0
	.set _ZN9rocsparseL34gtsv_solve_spike_grid_level_kernelILj512EdEEviiiPT0_PKS1_S4_.has_recursion, 0
	.set _ZN9rocsparseL34gtsv_solve_spike_grid_level_kernelILj512EdEEviiiPT0_PKS1_S4_.has_indirect_call, 0
	.section	.AMDGPU.csdata,"",@progbits
; Kernel info:
; codeLenInByte = 5388
; TotalNumSgprs: 24
; NumVgprs: 46
; ScratchSize: 0
; MemoryBound: 1
; FloatMode: 240
; IeeeMode: 1
; LDSByteSize: 24576 bytes/workgroup (compile time only)
; SGPRBlocks: 12
; VGPRBlocks: 12
; NumSGPRsForWavesPerEU: 102
; NumVGPRsForWavesPerEU: 49
; Occupancy: 4
; WaveLimiterHint : 1
; COMPUTE_PGM_RSRC2:SCRATCH_EN: 0
; COMPUTE_PGM_RSRC2:USER_SGPR: 6
; COMPUTE_PGM_RSRC2:TRAP_HANDLER: 0
; COMPUTE_PGM_RSRC2:TGID_X_EN: 1
; COMPUTE_PGM_RSRC2:TGID_Y_EN: 1
; COMPUTE_PGM_RSRC2:TGID_Z_EN: 0
; COMPUTE_PGM_RSRC2:TIDIG_COMP_CNT: 0
	.section	.text._ZN9rocsparseL33gtsv_solve_spike_propagate_kernelILj256ELj2EdEEviiiPT1_PKS1_S4_S4_,"axG",@progbits,_ZN9rocsparseL33gtsv_solve_spike_propagate_kernelILj256ELj2EdEEviiiPT1_PKS1_S4_S4_,comdat
	.globl	_ZN9rocsparseL33gtsv_solve_spike_propagate_kernelILj256ELj2EdEEviiiPT1_PKS1_S4_S4_ ; -- Begin function _ZN9rocsparseL33gtsv_solve_spike_propagate_kernelILj256ELj2EdEEviiiPT1_PKS1_S4_S4_
	.p2align	8
	.type	_ZN9rocsparseL33gtsv_solve_spike_propagate_kernelILj256ELj2EdEEviiiPT1_PKS1_S4_S4_,@function
_ZN9rocsparseL33gtsv_solve_spike_propagate_kernelILj256ELj2EdEEviiiPT1_PKS1_S4_S4_: ; @_ZN9rocsparseL33gtsv_solve_spike_propagate_kernelILj256ELj2EdEEviiiPT1_PKS1_S4_S4_
; %bb.0:
	s_load_dword s10, s[4:5], 0x0
	v_lshl_or_b32 v1, s6, 8, v0
	v_mov_b32_e32 v4, 0
	v_mov_b32_e32 v6, 0
	;; [unrolled: 1-line block ×3, first 2 shown]
	s_waitcnt lgkmcnt(0)
	s_lshr_b32 s14, s10, 1
	v_cmp_le_i32_e64 s[0:1], s14, v1
	v_cmp_gt_i32_e32 vcc, s14, v1
	v_ashrrev_i32_e32 v2, 31, v1
	v_mov_b32_e32 v7, 0
	v_add_u32_e32 v3, s14, v1
	s_and_saveexec_b64 s[8:9], vcc
	s_cbranch_execz .LBB105_2
; %bb.1:
	s_load_dwordx2 s[12:13], s[4:5], 0x18
	v_lshlrev_b64 v[4:5], 3, v[1:2]
	s_waitcnt lgkmcnt(0)
	v_mov_b32_e32 v6, s13
	v_add_co_u32_e64 v8, s[2:3], s12, v4
	v_mov_b32_e32 v4, 0
	v_addc_co_u32_e64 v9, s[2:3], v6, v5, s[2:3]
	v_lshlrev_b64 v[4:5], 3, v[3:4]
	v_add_co_u32_e64 v10, s[2:3], s12, v4
	v_addc_co_u32_e64 v11, s[2:3], v6, v5, s[2:3]
	global_load_dwordx2 v[4:5], v[8:9], off
	global_load_dwordx2 v[6:7], v[10:11], off
.LBB105_2:
	s_or_b64 exec, exec, s[8:9]
	s_load_dwordx2 s[2:3], s[4:5], 0x10
	v_lshlrev_b32_e32 v9, 3, v0
	v_add_u32_e32 v8, 16, v9
	s_waitcnt vmcnt(0)
	ds_write2st64_b64 v8, v[4:5], v[6:7] offset0:16 offset1:20
	s_and_saveexec_b64 s[8:9], s[0:1]
	s_xor_b64 s[0:1], exec, s[8:9]
; %bb.3:
	s_mov_b32 s8, 0
	s_mov_b32 s9, s8
	v_mov_b32_e32 v2, s8
	v_mov_b32_e32 v3, s9
	ds_write2st64_b64 v8, v[2:3], v[2:3] offset0:8 offset1:12
                                        ; implicit-def: $vgpr3
; %bb.4:
	s_or_saveexec_b64 s[8:9], s[0:1]
	v_mov_b32_e32 v5, 0
	v_mov_b32_e32 v7, 0
	;; [unrolled: 1-line block ×4, first 2 shown]
	s_mul_i32 s10, s10, s7
	s_xor_b64 exec, exec, s[8:9]
	s_cbranch_execz .LBB105_6
; %bb.5:
	s_load_dwordx2 s[12:13], s[4:5], 0x20
	v_lshlrev_b64 v[7:8], 3, v[1:2]
	v_mov_b32_e32 v4, 0
	v_lshlrev_b64 v[10:11], 3, v[3:4]
	v_add_u32_e32 v3, s10, v3
	s_waitcnt lgkmcnt(0)
	v_mov_b32_e32 v2, s13
	v_add_co_u32_e64 v7, s[0:1], s12, v7
	v_addc_co_u32_e64 v8, s[0:1], v2, v8, s[0:1]
	v_add_co_u32_e64 v10, s[0:1], s12, v10
	v_addc_co_u32_e64 v11, s[0:1], v2, v11, s[0:1]
	v_lshlrev_b64 v[2:3], 3, v[3:4]
	v_mov_b32_e32 v4, s3
	v_add_co_u32_e64 v2, s[0:1], s2, v2
	v_addc_co_u32_e64 v3, s[0:1], v4, v3, s[0:1]
	global_load_dwordx2 v[12:13], v[7:8], off
	global_load_dwordx2 v[14:15], v[10:11], off
	s_nop 0
	global_load_dwordx2 v[7:8], v[2:3], off
	v_add_u32_e32 v2, 16, v9
	s_waitcnt vmcnt(1)
	ds_write2st64_b64 v2, v[12:13], v[14:15] offset0:8 offset1:12
.LBB105_6:
	s_or_b64 exec, exec, s[8:9]
	v_add_u32_e32 v1, s10, v1
	s_waitcnt vmcnt(0)
	ds_write_b64 v9, v[7:8] offset:8
	s_and_saveexec_b64 s[8:9], vcc
	s_cbranch_execz .LBB105_8
; %bb.7:
	v_ashrrev_i32_e32 v2, 31, v1
	v_lshlrev_b64 v[2:3], 3, v[1:2]
	s_waitcnt lgkmcnt(0)
	v_mov_b32_e32 v4, s3
	v_add_co_u32_e64 v2, s[0:1], s2, v2
	v_addc_co_u32_e64 v3, s[0:1], v4, v3, s[0:1]
	global_load_dwordx2 v[5:6], v[2:3], off
.LBB105_8:
	s_or_b64 exec, exec, s[8:9]
	v_cmp_eq_u32_e64 s[0:1], 0, v0
	s_waitcnt vmcnt(0)
	ds_write_b64 v9, v[5:6] offset:2056
	s_waitcnt lgkmcnt(0)
	s_barrier
	s_and_saveexec_b64 s[8:9], s[0:1]
	s_cbranch_execz .LBB105_14
; %bb.9:
	s_load_dword s15, s[4:5], 0x30
	s_load_dwordx2 s[10:11], s[4:5], 0x28
	s_cmp_lt_i32 s6, 1
	s_mov_b64 s[4:5], 0
	s_mov_b64 s[12:13], 0
	s_waitcnt lgkmcnt(0)
	s_mul_i32 s7, s7, s15
	s_cbranch_scc1 .LBB105_11
; %bb.10:
	s_lshl_b32 s12, s7, 1
	s_add_i32 s13, s6, s15
	s_add_i32 s12, s13, s12
	s_add_i32 s12, s12, -1
	s_mov_b32 s13, 0
	s_lshl_b64 s[12:13], s[12:13], 3
	s_add_u32 s12, s10, s12
	s_addc_u32 s13, s11, s13
	s_load_dwordx2 s[12:13], s[12:13], 0x0
.LBB105_11:
	s_waitcnt lgkmcnt(0)
	v_mov_b32_e32 v3, s12
	v_mov_b32_e32 v4, s13
	s_add_i32 s12, s15, -1
	v_mov_b32_e32 v2, 0
	s_cmp_ge_u32 s6, s12
	ds_write_b64 v2, v[3:4]
	s_cbranch_scc1 .LBB105_13
; %bb.12:
	s_lshl_b32 s4, s7, 1
	s_add_i32 s4, s6, s4
	s_add_i32 s4, s4, 1
	s_mov_b32 s5, 0
	s_lshl_b64 s[4:5], s[4:5], 3
	s_add_u32 s4, s10, s4
	s_addc_u32 s5, s11, s5
	s_load_dwordx2 s[4:5], s[4:5], 0x0
.LBB105_13:
	s_lshl_b32 s7, s7, 1
	s_add_i32 s6, s7, s6
	s_mov_b32 s7, 0
	s_lshl_b64 s[12:13], s[6:7], 3
	s_add_u32 s12, s10, s12
	s_addc_u32 s13, s11, s13
	s_add_i32 s6, s6, s15
	s_lshl_b64 s[6:7], s[6:7], 3
	s_add_u32 s6, s10, s6
	s_addc_u32 s7, s11, s7
	s_load_dwordx2 s[10:11], s[6:7], 0x0
	s_load_dwordx2 s[16:17], s[12:13], 0x0
	s_waitcnt lgkmcnt(0)
	v_mov_b32_e32 v3, s4
	v_mov_b32_e32 v4, s5
	ds_write_b64 v2, v[3:4] offset:4104
	v_mov_b32_e32 v3, s10
	v_mov_b32_e32 v4, s11
	;; [unrolled: 1-line block ×4, first 2 shown]
	ds_write_b128 v2, v[3:6] offset:2048
.LBB105_14:
	s_or_b64 exec, exec, s[8:9]
	s_waitcnt lgkmcnt(0)
	s_barrier
	s_and_saveexec_b64 s[4:5], s[0:1]
	s_cbranch_execz .LBB105_16
; %bb.15:
	v_mov_b32_e32 v8, 0
	s_movk_i32 s0, 0x1410
	v_add_u32_e64 v7, 8, 0
	ds_read2st64_b64 v[2:5], v8 offset1:2
	v_add_u32_e64 v6, s0, 0
	ds_read2st64_b64 v[10:13], v7 offset0:6 offset1:8
	ds_read2_b64 v[14:17], v6 offset1:255
	s_movk_i32 s0, 0x2410
	s_waitcnt lgkmcnt(0)
	v_fma_f64 v[16:17], -v[16:17], v[12:13], v[4:5]
	v_fma_f64 v[10:11], -v[14:15], v[12:13], v[10:11]
	v_add_u32_e64 v4, s0, 0
	ds_read2_b64 v[4:7], v4 offset1:255
	s_waitcnt lgkmcnt(0)
	v_fma_f64 v[6:7], -v[6:7], v[2:3], v[16:17]
	v_fma_f64 v[2:3], -v[4:5], v[2:3], v[10:11]
	ds_write_b64 v8, v[6:7] offset:1024
	ds_write_b64 v8, v[2:3] offset:3080
.LBB105_16:
	s_or_b64 exec, exec, s[4:5]
	v_cmp_gt_u32_e64 s[0:1], 2, v0
	s_waitcnt lgkmcnt(0)
	s_barrier
	s_and_saveexec_b64 s[4:5], s[0:1]
	s_cbranch_execz .LBB105_18
; %bb.17:
	s_movk_i32 s0, 0x3f8
	v_lshlrev_b32_e32 v6, 10, v0
	v_mad_u32_u24 v8, v0, s0, v9
	v_add_u32_e32 v7, 0x1210, v6
	ds_read2_b64 v[10:13], v7 offset1:255
	v_add_u32_e32 v7, 8, v8
	ds_read2st64_b64 v[2:5], v8 offset1:1
	ds_read2st64_b64 v[14:17], v7 offset0:5 offset1:6
	s_waitcnt lgkmcnt(0)
	v_fma_f64 v[12:13], -v[12:13], v[16:17], v[4:5]
	v_fma_f64 v[10:11], -v[10:11], v[16:17], v[14:15]
	v_add_u32_e32 v4, 0x2210, v6
	ds_read2_b64 v[4:7], v4 offset1:255
	s_waitcnt lgkmcnt(0)
	v_fma_f64 v[6:7], -v[6:7], v[2:3], v[12:13]
	v_fma_f64 v[2:3], -v[4:5], v[2:3], v[10:11]
	ds_write_b64 v8, v[6:7] offset:512
	ds_write_b64 v8, v[2:3] offset:2568
.LBB105_18:
	s_or_b64 exec, exec, s[4:5]
	v_cmp_gt_u32_e64 s[0:1], 4, v0
	s_waitcnt lgkmcnt(0)
	s_barrier
	s_and_saveexec_b64 s[4:5], s[0:1]
	s_cbranch_execz .LBB105_20
; %bb.19:
	v_lshlrev_b32_e32 v8, 9, v0
	v_add_u32_e32 v6, 0x1110, v8
	ds_read2_b64 v[10:13], v6 offset1:255
	v_add_u32_e32 v6, 0x800, v8
	ds_read2_b64 v[2:5], v8 offset1:32
	ds_read2_b64 v[14:17], v6 offset0:33 offset1:65
	s_waitcnt lgkmcnt(0)
	v_fma_f64 v[12:13], -v[12:13], v[16:17], v[4:5]
	v_fma_f64 v[10:11], -v[10:11], v[16:17], v[14:15]
	v_add_u32_e32 v4, 0x2110, v8
	ds_read2_b64 v[4:7], v4 offset1:255
	s_waitcnt lgkmcnt(0)
	v_fma_f64 v[6:7], -v[6:7], v[2:3], v[12:13]
	v_fma_f64 v[2:3], -v[4:5], v[2:3], v[10:11]
	ds_write_b64 v8, v[6:7] offset:256
	ds_write_b64 v8, v[2:3] offset:2312
.LBB105_20:
	s_or_b64 exec, exec, s[4:5]
	v_cmp_gt_u32_e64 s[0:1], 8, v0
	s_waitcnt lgkmcnt(0)
	s_barrier
	s_and_saveexec_b64 s[4:5], s[0:1]
	s_cbranch_execz .LBB105_22
; %bb.21:
	v_lshlrev_b32_e32 v8, 8, v0
	v_add_u32_e32 v6, 0x1090, v8
	ds_read2_b64 v[10:13], v6 offset1:255
	v_add_u32_e32 v6, 0x800, v8
	ds_read2_b64 v[2:5], v8 offset1:16
	ds_read2_b64 v[14:17], v6 offset0:17 offset1:33
	s_waitcnt lgkmcnt(0)
	v_fma_f64 v[12:13], -v[12:13], v[16:17], v[4:5]
	v_fma_f64 v[10:11], -v[10:11], v[16:17], v[14:15]
	v_add_u32_e32 v4, 0x2090, v8
	ds_read2_b64 v[4:7], v4 offset1:255
	s_waitcnt lgkmcnt(0)
	v_fma_f64 v[6:7], -v[6:7], v[2:3], v[12:13]
	v_fma_f64 v[2:3], -v[4:5], v[2:3], v[10:11]
	ds_write_b64 v8, v[6:7] offset:128
	ds_write_b64 v8, v[2:3] offset:2184
.LBB105_22:
	;; [unrolled: 24-line block ×5, first 2 shown]
	s_or_b64 exec, exec, s[4:5]
	s_movk_i32 s0, 0x80
	v_cmp_gt_u32_e64 s[0:1], s0, v0
	s_waitcnt lgkmcnt(0)
	s_barrier
	s_and_saveexec_b64 s[4:5], s[0:1]
	s_cbranch_execz .LBB105_30
; %bb.29:
	v_lshlrev_b32_e32 v0, 4, v0
	v_add_u32_e32 v6, 0x1018, v0
	ds_read_b128 v[2:5], v0
	ds_read_b128 v[10:13], v0 offset:2064
	ds_read2_b64 v[14:17], v6 offset1:255
	s_waitcnt lgkmcnt(0)
	v_fma_f64 v[16:17], -v[16:17], v[12:13], v[4:5]
	v_fma_f64 v[10:11], -v[14:15], v[12:13], v[10:11]
	v_add_u32_e32 v4, 0x2018, v0
	ds_read2_b64 v[4:7], v4 offset1:255
	s_waitcnt lgkmcnt(0)
	v_fma_f64 v[6:7], -v[6:7], v[2:3], v[16:17]
	v_fma_f64 v[2:3], -v[4:5], v[2:3], v[10:11]
	ds_write_b64 v0, v[6:7] offset:8
	ds_write_b64 v0, v[2:3] offset:2064
.LBB105_30:
	s_or_b64 exec, exec, s[4:5]
	s_waitcnt lgkmcnt(0)
	s_barrier
	s_and_saveexec_b64 s[0:1], vcc
	s_cbranch_execz .LBB105_32
; %bb.31:
	v_ashrrev_i32_e32 v2, 31, v1
	v_lshlrev_b64 v[7:8], 3, v[1:2]
	v_add_u32_e32 v0, 8, v9
	ds_read2st64_b64 v[3:6], v0 offset1:4
	v_mov_b32_e32 v0, s3
	v_add_co_u32_e32 v7, vcc, s2, v7
	v_addc_co_u32_e32 v8, vcc, v0, v8, vcc
	v_add_u32_e32 v0, s14, v1
	v_mov_b32_e32 v1, 0
	v_lshlrev_b64 v[0:1], 3, v[0:1]
	v_mov_b32_e32 v2, s3
	v_add_co_u32_e32 v0, vcc, s2, v0
	v_addc_co_u32_e32 v1, vcc, v2, v1, vcc
	s_waitcnt lgkmcnt(0)
	global_store_dwordx2 v[7:8], v[5:6], off
	global_store_dwordx2 v[0:1], v[3:4], off
.LBB105_32:
	s_endpgm
	.section	.rodata,"a",@progbits
	.p2align	6, 0x0
	.amdhsa_kernel _ZN9rocsparseL33gtsv_solve_spike_propagate_kernelILj256ELj2EdEEviiiPT1_PKS1_S4_S4_
		.amdhsa_group_segment_fixed_size 12304
		.amdhsa_private_segment_fixed_size 0
		.amdhsa_kernarg_size 304
		.amdhsa_user_sgpr_count 6
		.amdhsa_user_sgpr_private_segment_buffer 1
		.amdhsa_user_sgpr_dispatch_ptr 0
		.amdhsa_user_sgpr_queue_ptr 0
		.amdhsa_user_sgpr_kernarg_segment_ptr 1
		.amdhsa_user_sgpr_dispatch_id 0
		.amdhsa_user_sgpr_flat_scratch_init 0
		.amdhsa_user_sgpr_private_segment_size 0
		.amdhsa_uses_dynamic_stack 0
		.amdhsa_system_sgpr_private_segment_wavefront_offset 0
		.amdhsa_system_sgpr_workgroup_id_x 1
		.amdhsa_system_sgpr_workgroup_id_y 1
		.amdhsa_system_sgpr_workgroup_id_z 0
		.amdhsa_system_sgpr_workgroup_info 0
		.amdhsa_system_vgpr_workitem_id 0
		.amdhsa_next_free_vgpr 41
		.amdhsa_next_free_sgpr 98
		.amdhsa_reserve_vcc 1
		.amdhsa_reserve_flat_scratch 0
		.amdhsa_float_round_mode_32 0
		.amdhsa_float_round_mode_16_64 0
		.amdhsa_float_denorm_mode_32 3
		.amdhsa_float_denorm_mode_16_64 3
		.amdhsa_dx10_clamp 1
		.amdhsa_ieee_mode 1
		.amdhsa_fp16_overflow 0
		.amdhsa_exception_fp_ieee_invalid_op 0
		.amdhsa_exception_fp_denorm_src 0
		.amdhsa_exception_fp_ieee_div_zero 0
		.amdhsa_exception_fp_ieee_overflow 0
		.amdhsa_exception_fp_ieee_underflow 0
		.amdhsa_exception_fp_ieee_inexact 0
		.amdhsa_exception_int_div_zero 0
	.end_amdhsa_kernel
	.section	.text._ZN9rocsparseL33gtsv_solve_spike_propagate_kernelILj256ELj2EdEEviiiPT1_PKS1_S4_S4_,"axG",@progbits,_ZN9rocsparseL33gtsv_solve_spike_propagate_kernelILj256ELj2EdEEviiiPT1_PKS1_S4_S4_,comdat
.Lfunc_end105:
	.size	_ZN9rocsparseL33gtsv_solve_spike_propagate_kernelILj256ELj2EdEEviiiPT1_PKS1_S4_S4_, .Lfunc_end105-_ZN9rocsparseL33gtsv_solve_spike_propagate_kernelILj256ELj2EdEEviiiPT1_PKS1_S4_S4_
                                        ; -- End function
	.set _ZN9rocsparseL33gtsv_solve_spike_propagate_kernelILj256ELj2EdEEviiiPT1_PKS1_S4_S4_.num_vgpr, 18
	.set _ZN9rocsparseL33gtsv_solve_spike_propagate_kernelILj256ELj2EdEEviiiPT1_PKS1_S4_S4_.num_agpr, 0
	.set _ZN9rocsparseL33gtsv_solve_spike_propagate_kernelILj256ELj2EdEEviiiPT1_PKS1_S4_S4_.numbered_sgpr, 18
	.set _ZN9rocsparseL33gtsv_solve_spike_propagate_kernelILj256ELj2EdEEviiiPT1_PKS1_S4_S4_.num_named_barrier, 0
	.set _ZN9rocsparseL33gtsv_solve_spike_propagate_kernelILj256ELj2EdEEviiiPT1_PKS1_S4_S4_.private_seg_size, 0
	.set _ZN9rocsparseL33gtsv_solve_spike_propagate_kernelILj256ELj2EdEEviiiPT1_PKS1_S4_S4_.uses_vcc, 1
	.set _ZN9rocsparseL33gtsv_solve_spike_propagate_kernelILj256ELj2EdEEviiiPT1_PKS1_S4_S4_.uses_flat_scratch, 0
	.set _ZN9rocsparseL33gtsv_solve_spike_propagate_kernelILj256ELj2EdEEviiiPT1_PKS1_S4_S4_.has_dyn_sized_stack, 0
	.set _ZN9rocsparseL33gtsv_solve_spike_propagate_kernelILj256ELj2EdEEviiiPT1_PKS1_S4_S4_.has_recursion, 0
	.set _ZN9rocsparseL33gtsv_solve_spike_propagate_kernelILj256ELj2EdEEviiiPT1_PKS1_S4_S4_.has_indirect_call, 0
	.section	.AMDGPU.csdata,"",@progbits
; Kernel info:
; codeLenInByte = 2020
; TotalNumSgprs: 22
; NumVgprs: 18
; ScratchSize: 0
; MemoryBound: 0
; FloatMode: 240
; IeeeMode: 1
; LDSByteSize: 12304 bytes/workgroup (compile time only)
; SGPRBlocks: 12
; VGPRBlocks: 10
; NumSGPRsForWavesPerEU: 102
; NumVGPRsForWavesPerEU: 41
; Occupancy: 5
; WaveLimiterHint : 0
; COMPUTE_PGM_RSRC2:SCRATCH_EN: 0
; COMPUTE_PGM_RSRC2:USER_SGPR: 6
; COMPUTE_PGM_RSRC2:TRAP_HANDLER: 0
; COMPUTE_PGM_RSRC2:TGID_X_EN: 1
; COMPUTE_PGM_RSRC2:TGID_Y_EN: 1
; COMPUTE_PGM_RSRC2:TGID_Z_EN: 0
; COMPUTE_PGM_RSRC2:TIDIG_COMP_CNT: 0
	.section	.text._ZN9rocsparseL39gtsv_spike_backward_substitution_kernelILj256ELj2EdEEviiiPT1_PKS1_S4_,"axG",@progbits,_ZN9rocsparseL39gtsv_spike_backward_substitution_kernelILj256ELj2EdEEviiiPT1_PKS1_S4_,comdat
	.globl	_ZN9rocsparseL39gtsv_spike_backward_substitution_kernelILj256ELj2EdEEviiiPT1_PKS1_S4_ ; -- Begin function _ZN9rocsparseL39gtsv_spike_backward_substitution_kernelILj256ELj2EdEEviiiPT1_PKS1_S4_
	.p2align	8
	.type	_ZN9rocsparseL39gtsv_spike_backward_substitution_kernelILj256ELj2EdEEviiiPT1_PKS1_S4_,@function
_ZN9rocsparseL39gtsv_spike_backward_substitution_kernelILj256ELj2EdEEviiiPT1_PKS1_S4_: ; @_ZN9rocsparseL39gtsv_spike_backward_substitution_kernelILj256ELj2EdEEviiiPT1_PKS1_S4_
; %bb.0:
	s_endpgm
	.section	.rodata,"a",@progbits
	.p2align	6, 0x0
	.amdhsa_kernel _ZN9rocsparseL39gtsv_spike_backward_substitution_kernelILj256ELj2EdEEviiiPT1_PKS1_S4_
		.amdhsa_group_segment_fixed_size 0
		.amdhsa_private_segment_fixed_size 0
		.amdhsa_kernarg_size 40
		.amdhsa_user_sgpr_count 6
		.amdhsa_user_sgpr_private_segment_buffer 1
		.amdhsa_user_sgpr_dispatch_ptr 0
		.amdhsa_user_sgpr_queue_ptr 0
		.amdhsa_user_sgpr_kernarg_segment_ptr 1
		.amdhsa_user_sgpr_dispatch_id 0
		.amdhsa_user_sgpr_flat_scratch_init 0
		.amdhsa_user_sgpr_private_segment_size 0
		.amdhsa_uses_dynamic_stack 0
		.amdhsa_system_sgpr_private_segment_wavefront_offset 0
		.amdhsa_system_sgpr_workgroup_id_x 1
		.amdhsa_system_sgpr_workgroup_id_y 0
		.amdhsa_system_sgpr_workgroup_id_z 0
		.amdhsa_system_sgpr_workgroup_info 0
		.amdhsa_system_vgpr_workitem_id 0
		.amdhsa_next_free_vgpr 1
		.amdhsa_next_free_sgpr 0
		.amdhsa_reserve_vcc 0
		.amdhsa_reserve_flat_scratch 0
		.amdhsa_float_round_mode_32 0
		.amdhsa_float_round_mode_16_64 0
		.amdhsa_float_denorm_mode_32 3
		.amdhsa_float_denorm_mode_16_64 3
		.amdhsa_dx10_clamp 1
		.amdhsa_ieee_mode 1
		.amdhsa_fp16_overflow 0
		.amdhsa_exception_fp_ieee_invalid_op 0
		.amdhsa_exception_fp_denorm_src 0
		.amdhsa_exception_fp_ieee_div_zero 0
		.amdhsa_exception_fp_ieee_overflow 0
		.amdhsa_exception_fp_ieee_underflow 0
		.amdhsa_exception_fp_ieee_inexact 0
		.amdhsa_exception_int_div_zero 0
	.end_amdhsa_kernel
	.section	.text._ZN9rocsparseL39gtsv_spike_backward_substitution_kernelILj256ELj2EdEEviiiPT1_PKS1_S4_,"axG",@progbits,_ZN9rocsparseL39gtsv_spike_backward_substitution_kernelILj256ELj2EdEEviiiPT1_PKS1_S4_,comdat
.Lfunc_end106:
	.size	_ZN9rocsparseL39gtsv_spike_backward_substitution_kernelILj256ELj2EdEEviiiPT1_PKS1_S4_, .Lfunc_end106-_ZN9rocsparseL39gtsv_spike_backward_substitution_kernelILj256ELj2EdEEviiiPT1_PKS1_S4_
                                        ; -- End function
	.set _ZN9rocsparseL39gtsv_spike_backward_substitution_kernelILj256ELj2EdEEviiiPT1_PKS1_S4_.num_vgpr, 0
	.set _ZN9rocsparseL39gtsv_spike_backward_substitution_kernelILj256ELj2EdEEviiiPT1_PKS1_S4_.num_agpr, 0
	.set _ZN9rocsparseL39gtsv_spike_backward_substitution_kernelILj256ELj2EdEEviiiPT1_PKS1_S4_.numbered_sgpr, 0
	.set _ZN9rocsparseL39gtsv_spike_backward_substitution_kernelILj256ELj2EdEEviiiPT1_PKS1_S4_.num_named_barrier, 0
	.set _ZN9rocsparseL39gtsv_spike_backward_substitution_kernelILj256ELj2EdEEviiiPT1_PKS1_S4_.private_seg_size, 0
	.set _ZN9rocsparseL39gtsv_spike_backward_substitution_kernelILj256ELj2EdEEviiiPT1_PKS1_S4_.uses_vcc, 0
	.set _ZN9rocsparseL39gtsv_spike_backward_substitution_kernelILj256ELj2EdEEviiiPT1_PKS1_S4_.uses_flat_scratch, 0
	.set _ZN9rocsparseL39gtsv_spike_backward_substitution_kernelILj256ELj2EdEEviiiPT1_PKS1_S4_.has_dyn_sized_stack, 0
	.set _ZN9rocsparseL39gtsv_spike_backward_substitution_kernelILj256ELj2EdEEviiiPT1_PKS1_S4_.has_recursion, 0
	.set _ZN9rocsparseL39gtsv_spike_backward_substitution_kernelILj256ELj2EdEEviiiPT1_PKS1_S4_.has_indirect_call, 0
	.section	.AMDGPU.csdata,"",@progbits
; Kernel info:
; codeLenInByte = 4
; TotalNumSgprs: 4
; NumVgprs: 0
; ScratchSize: 0
; MemoryBound: 0
; FloatMode: 240
; IeeeMode: 1
; LDSByteSize: 0 bytes/workgroup (compile time only)
; SGPRBlocks: 0
; VGPRBlocks: 0
; NumSGPRsForWavesPerEU: 4
; NumVGPRsForWavesPerEU: 1
; Occupancy: 10
; WaveLimiterHint : 0
; COMPUTE_PGM_RSRC2:SCRATCH_EN: 0
; COMPUTE_PGM_RSRC2:USER_SGPR: 6
; COMPUTE_PGM_RSRC2:TRAP_HANDLER: 0
; COMPUTE_PGM_RSRC2:TGID_X_EN: 1
; COMPUTE_PGM_RSRC2:TGID_Y_EN: 0
; COMPUTE_PGM_RSRC2:TGID_Z_EN: 0
; COMPUTE_PGM_RSRC2:TIDIG_COMP_CNT: 0
	.section	.text._ZN9rocsparseL32gtsv_transpose_back_array_kernelILj256ELj2EdEEviiiPKT1_PS1_,"axG",@progbits,_ZN9rocsparseL32gtsv_transpose_back_array_kernelILj256ELj2EdEEviiiPKT1_PS1_,comdat
	.globl	_ZN9rocsparseL32gtsv_transpose_back_array_kernelILj256ELj2EdEEviiiPKT1_PS1_ ; -- Begin function _ZN9rocsparseL32gtsv_transpose_back_array_kernelILj256ELj2EdEEviiiPKT1_PS1_
	.p2align	8
	.type	_ZN9rocsparseL32gtsv_transpose_back_array_kernelILj256ELj2EdEEviiiPKT1_PS1_,@function
_ZN9rocsparseL32gtsv_transpose_back_array_kernelILj256ELj2EdEEviiiPKT1_PS1_: ; @_ZN9rocsparseL32gtsv_transpose_back_array_kernelILj256ELj2EdEEviiiPKT1_PS1_
; %bb.0:
	s_load_dwordx4 s[0:3], s[4:5], 0x0
	v_lshl_or_b32 v0, s6, 8, v0
	v_lshlrev_b32_e32 v3, 1, v0
	s_waitcnt lgkmcnt(0)
	v_cvt_f32_u32_e32 v1, s1
	s_sub_i32 s3, 0, s1
	v_rcp_iflag_f32_e32 v1, v1
	v_mul_f32_e32 v1, 0x4f7ffffe, v1
	v_cvt_u32_f32_e32 v1, v1
	v_mul_lo_u32 v2, s3, v1
	v_mul_hi_u32 v2, v1, v2
	v_add_u32_e32 v1, v1, v2
	v_mul_hi_u32 v1, v3, v1
	v_mul_lo_u32 v2, v1, s1
	v_add_u32_e32 v4, 1, v1
	v_sub_u32_e32 v2, v3, v2
	v_cmp_le_u32_e32 vcc, s1, v2
	v_cndmask_b32_e32 v1, v1, v4, vcc
	v_subrev_u32_e32 v4, s1, v2
	v_cndmask_b32_e32 v2, v2, v4, vcc
	v_add_u32_e32 v4, 1, v1
	v_cmp_le_u32_e32 vcc, s1, v2
	v_cndmask_b32_e32 v1, v1, v4, vcc
	v_mul_lo_u32 v2, v1, s1
	v_sub_u32_e32 v2, v3, v2
	v_add_u32_e32 v1, v1, v2
	v_cmp_gt_i32_e32 vcc, s0, v1
	s_and_saveexec_b64 s[8:9], vcc
	s_cbranch_execz .LBB107_2
; %bb.1:
	s_load_dwordx4 s[8:11], s[4:5], 0x10
	s_mul_i32 s0, s1, s7
	v_add_u32_e32 v2, s0, v0
	v_ashrrev_i32_e32 v3, 31, v2
	v_lshlrev_b64 v[2:3], 3, v[2:3]
	s_waitcnt lgkmcnt(0)
	v_mov_b32_e32 v0, s9
	v_add_co_u32_e32 v2, vcc, s8, v2
	v_addc_co_u32_e32 v3, vcc, v0, v3, vcc
	global_load_dwordx2 v[2:3], v[2:3], off
	s_mul_i32 s0, s2, s7
	v_add_u32_e32 v0, s0, v1
	v_ashrrev_i32_e32 v1, 31, v0
	v_lshlrev_b64 v[0:1], 3, v[0:1]
	v_mov_b32_e32 v4, s11
	v_add_co_u32_e32 v0, vcc, s10, v0
	v_addc_co_u32_e32 v1, vcc, v4, v1, vcc
	s_waitcnt vmcnt(0)
	global_store_dwordx2 v[0:1], v[2:3], off
.LBB107_2:
	s_endpgm
	.section	.rodata,"a",@progbits
	.p2align	6, 0x0
	.amdhsa_kernel _ZN9rocsparseL32gtsv_transpose_back_array_kernelILj256ELj2EdEEviiiPKT1_PS1_
		.amdhsa_group_segment_fixed_size 0
		.amdhsa_private_segment_fixed_size 0
		.amdhsa_kernarg_size 32
		.amdhsa_user_sgpr_count 6
		.amdhsa_user_sgpr_private_segment_buffer 1
		.amdhsa_user_sgpr_dispatch_ptr 0
		.amdhsa_user_sgpr_queue_ptr 0
		.amdhsa_user_sgpr_kernarg_segment_ptr 1
		.amdhsa_user_sgpr_dispatch_id 0
		.amdhsa_user_sgpr_flat_scratch_init 0
		.amdhsa_user_sgpr_private_segment_size 0
		.amdhsa_uses_dynamic_stack 0
		.amdhsa_system_sgpr_private_segment_wavefront_offset 0
		.amdhsa_system_sgpr_workgroup_id_x 1
		.amdhsa_system_sgpr_workgroup_id_y 1
		.amdhsa_system_sgpr_workgroup_id_z 0
		.amdhsa_system_sgpr_workgroup_info 0
		.amdhsa_system_vgpr_workitem_id 0
		.amdhsa_next_free_vgpr 5
		.amdhsa_next_free_sgpr 12
		.amdhsa_reserve_vcc 1
		.amdhsa_reserve_flat_scratch 0
		.amdhsa_float_round_mode_32 0
		.amdhsa_float_round_mode_16_64 0
		.amdhsa_float_denorm_mode_32 3
		.amdhsa_float_denorm_mode_16_64 3
		.amdhsa_dx10_clamp 1
		.amdhsa_ieee_mode 1
		.amdhsa_fp16_overflow 0
		.amdhsa_exception_fp_ieee_invalid_op 0
		.amdhsa_exception_fp_denorm_src 0
		.amdhsa_exception_fp_ieee_div_zero 0
		.amdhsa_exception_fp_ieee_overflow 0
		.amdhsa_exception_fp_ieee_underflow 0
		.amdhsa_exception_fp_ieee_inexact 0
		.amdhsa_exception_int_div_zero 0
	.end_amdhsa_kernel
	.section	.text._ZN9rocsparseL32gtsv_transpose_back_array_kernelILj256ELj2EdEEviiiPKT1_PS1_,"axG",@progbits,_ZN9rocsparseL32gtsv_transpose_back_array_kernelILj256ELj2EdEEviiiPKT1_PS1_,comdat
.Lfunc_end107:
	.size	_ZN9rocsparseL32gtsv_transpose_back_array_kernelILj256ELj2EdEEviiiPKT1_PS1_, .Lfunc_end107-_ZN9rocsparseL32gtsv_transpose_back_array_kernelILj256ELj2EdEEviiiPKT1_PS1_
                                        ; -- End function
	.set _ZN9rocsparseL32gtsv_transpose_back_array_kernelILj256ELj2EdEEviiiPKT1_PS1_.num_vgpr, 5
	.set _ZN9rocsparseL32gtsv_transpose_back_array_kernelILj256ELj2EdEEviiiPKT1_PS1_.num_agpr, 0
	.set _ZN9rocsparseL32gtsv_transpose_back_array_kernelILj256ELj2EdEEviiiPKT1_PS1_.numbered_sgpr, 12
	.set _ZN9rocsparseL32gtsv_transpose_back_array_kernelILj256ELj2EdEEviiiPKT1_PS1_.num_named_barrier, 0
	.set _ZN9rocsparseL32gtsv_transpose_back_array_kernelILj256ELj2EdEEviiiPKT1_PS1_.private_seg_size, 0
	.set _ZN9rocsparseL32gtsv_transpose_back_array_kernelILj256ELj2EdEEviiiPKT1_PS1_.uses_vcc, 1
	.set _ZN9rocsparseL32gtsv_transpose_back_array_kernelILj256ELj2EdEEviiiPKT1_PS1_.uses_flat_scratch, 0
	.set _ZN9rocsparseL32gtsv_transpose_back_array_kernelILj256ELj2EdEEviiiPKT1_PS1_.has_dyn_sized_stack, 0
	.set _ZN9rocsparseL32gtsv_transpose_back_array_kernelILj256ELj2EdEEviiiPKT1_PS1_.has_recursion, 0
	.set _ZN9rocsparseL32gtsv_transpose_back_array_kernelILj256ELj2EdEEviiiPKT1_PS1_.has_indirect_call, 0
	.section	.AMDGPU.csdata,"",@progbits
; Kernel info:
; codeLenInByte = 248
; TotalNumSgprs: 16
; NumVgprs: 5
; ScratchSize: 0
; MemoryBound: 0
; FloatMode: 240
; IeeeMode: 1
; LDSByteSize: 0 bytes/workgroup (compile time only)
; SGPRBlocks: 1
; VGPRBlocks: 1
; NumSGPRsForWavesPerEU: 16
; NumVGPRsForWavesPerEU: 5
; Occupancy: 10
; WaveLimiterHint : 0
; COMPUTE_PGM_RSRC2:SCRATCH_EN: 0
; COMPUTE_PGM_RSRC2:USER_SGPR: 6
; COMPUTE_PGM_RSRC2:TRAP_HANDLER: 0
; COMPUTE_PGM_RSRC2:TGID_X_EN: 1
; COMPUTE_PGM_RSRC2:TGID_Y_EN: 1
; COMPUTE_PGM_RSRC2:TGID_Z_EN: 0
; COMPUTE_PGM_RSRC2:TIDIG_COMP_CNT: 0
	.section	.text._ZN9rocsparseL42gtsv_transpose_and_pad_array_shared_kernelILj256ELj4EdEEviiiPKT1_PS1_S1_,"axG",@progbits,_ZN9rocsparseL42gtsv_transpose_and_pad_array_shared_kernelILj256ELj4EdEEviiiPKT1_PS1_S1_,comdat
	.globl	_ZN9rocsparseL42gtsv_transpose_and_pad_array_shared_kernelILj256ELj4EdEEviiiPKT1_PS1_S1_ ; -- Begin function _ZN9rocsparseL42gtsv_transpose_and_pad_array_shared_kernelILj256ELj4EdEEviiiPKT1_PS1_S1_
	.p2align	8
	.type	_ZN9rocsparseL42gtsv_transpose_and_pad_array_shared_kernelILj256ELj4EdEEviiiPKT1_PS1_S1_,@function
_ZN9rocsparseL42gtsv_transpose_and_pad_array_shared_kernelILj256ELj4EdEEviiiPKT1_PS1_S1_: ; @_ZN9rocsparseL42gtsv_transpose_and_pad_array_shared_kernelILj256ELj4EdEEviiiPKT1_PS1_S1_
; %bb.0:
	s_load_dwordx4 s[0:3], s[4:5], 0x0
	s_load_dwordx2 s[8:9], s[4:5], 0x20
	v_lshl_or_b32 v3, s6, 8, v0
	s_waitcnt lgkmcnt(0)
	v_cmp_gt_i32_e32 vcc, s0, v3
	v_mov_b32_e32 v1, s8
	v_mov_b32_e32 v2, s9
	s_and_saveexec_b64 s[8:9], vcc
	s_cbranch_execz .LBB108_2
; %bb.1:
	s_load_dwordx2 s[10:11], s[4:5], 0x10
	s_mul_i32 s0, s2, s7
	v_add_u32_e32 v1, s0, v3
	v_ashrrev_i32_e32 v2, 31, v1
	v_lshlrev_b64 v[1:2], 3, v[1:2]
	s_waitcnt lgkmcnt(0)
	v_mov_b32_e32 v3, s11
	v_add_co_u32_e32 v1, vcc, s10, v1
	v_addc_co_u32_e32 v2, vcc, v3, v2, vcc
	global_load_dwordx2 v[1:2], v[1:2], off
.LBB108_2:
	s_or_b64 exec, exec, s[8:9]
	v_lshrrev_b32_e32 v3, 6, v0
	v_and_b32_e32 v4, 63, v0
	v_lshlrev_b32_e32 v0, 3, v0
	s_waitcnt vmcnt(0)
	ds_write_b64 v0, v[1:2]
	s_lshr_b32 s0, s1, 2
	v_lshl_or_b32 v0, s6, 6, v4
	v_mad_u64_u32 v[0:1], s[2:3], s0, v3, v[0:1]
	s_waitcnt lgkmcnt(0)
	s_barrier
	v_cmp_gt_i32_e32 vcc, s1, v0
	s_and_saveexec_b64 s[2:3], vcc
	s_cbranch_execz .LBB108_4
; %bb.3:
	s_load_dwordx2 s[2:3], s[4:5], 0x18
	v_lshlrev_b32_e32 v1, 3, v3
	s_mul_i32 s0, s1, s7
	v_lshl_or_b32 v1, v4, 5, v1
	v_add_u32_e32 v3, s0, v0
	ds_read_b64 v[1:2], v1
	v_ashrrev_i32_e32 v4, 31, v3
	v_lshlrev_b64 v[3:4], 3, v[3:4]
	s_waitcnt lgkmcnt(0)
	v_mov_b32_e32 v0, s3
	v_add_co_u32_e32 v3, vcc, s2, v3
	v_addc_co_u32_e32 v4, vcc, v0, v4, vcc
	global_store_dwordx2 v[3:4], v[1:2], off
.LBB108_4:
	s_endpgm
	.section	.rodata,"a",@progbits
	.p2align	6, 0x0
	.amdhsa_kernel _ZN9rocsparseL42gtsv_transpose_and_pad_array_shared_kernelILj256ELj4EdEEviiiPKT1_PS1_S1_
		.amdhsa_group_segment_fixed_size 2048
		.amdhsa_private_segment_fixed_size 0
		.amdhsa_kernarg_size 40
		.amdhsa_user_sgpr_count 6
		.amdhsa_user_sgpr_private_segment_buffer 1
		.amdhsa_user_sgpr_dispatch_ptr 0
		.amdhsa_user_sgpr_queue_ptr 0
		.amdhsa_user_sgpr_kernarg_segment_ptr 1
		.amdhsa_user_sgpr_dispatch_id 0
		.amdhsa_user_sgpr_flat_scratch_init 0
		.amdhsa_user_sgpr_private_segment_size 0
		.amdhsa_uses_dynamic_stack 0
		.amdhsa_system_sgpr_private_segment_wavefront_offset 0
		.amdhsa_system_sgpr_workgroup_id_x 1
		.amdhsa_system_sgpr_workgroup_id_y 1
		.amdhsa_system_sgpr_workgroup_id_z 0
		.amdhsa_system_sgpr_workgroup_info 0
		.amdhsa_system_vgpr_workitem_id 0
		.amdhsa_next_free_vgpr 5
		.amdhsa_next_free_sgpr 12
		.amdhsa_reserve_vcc 1
		.amdhsa_reserve_flat_scratch 0
		.amdhsa_float_round_mode_32 0
		.amdhsa_float_round_mode_16_64 0
		.amdhsa_float_denorm_mode_32 3
		.amdhsa_float_denorm_mode_16_64 3
		.amdhsa_dx10_clamp 1
		.amdhsa_ieee_mode 1
		.amdhsa_fp16_overflow 0
		.amdhsa_exception_fp_ieee_invalid_op 0
		.amdhsa_exception_fp_denorm_src 0
		.amdhsa_exception_fp_ieee_div_zero 0
		.amdhsa_exception_fp_ieee_overflow 0
		.amdhsa_exception_fp_ieee_underflow 0
		.amdhsa_exception_fp_ieee_inexact 0
		.amdhsa_exception_int_div_zero 0
	.end_amdhsa_kernel
	.section	.text._ZN9rocsparseL42gtsv_transpose_and_pad_array_shared_kernelILj256ELj4EdEEviiiPKT1_PS1_S1_,"axG",@progbits,_ZN9rocsparseL42gtsv_transpose_and_pad_array_shared_kernelILj256ELj4EdEEviiiPKT1_PS1_S1_,comdat
.Lfunc_end108:
	.size	_ZN9rocsparseL42gtsv_transpose_and_pad_array_shared_kernelILj256ELj4EdEEviiiPKT1_PS1_S1_, .Lfunc_end108-_ZN9rocsparseL42gtsv_transpose_and_pad_array_shared_kernelILj256ELj4EdEEviiiPKT1_PS1_S1_
                                        ; -- End function
	.set _ZN9rocsparseL42gtsv_transpose_and_pad_array_shared_kernelILj256ELj4EdEEviiiPKT1_PS1_S1_.num_vgpr, 5
	.set _ZN9rocsparseL42gtsv_transpose_and_pad_array_shared_kernelILj256ELj4EdEEviiiPKT1_PS1_S1_.num_agpr, 0
	.set _ZN9rocsparseL42gtsv_transpose_and_pad_array_shared_kernelILj256ELj4EdEEviiiPKT1_PS1_S1_.numbered_sgpr, 12
	.set _ZN9rocsparseL42gtsv_transpose_and_pad_array_shared_kernelILj256ELj4EdEEviiiPKT1_PS1_S1_.num_named_barrier, 0
	.set _ZN9rocsparseL42gtsv_transpose_and_pad_array_shared_kernelILj256ELj4EdEEviiiPKT1_PS1_S1_.private_seg_size, 0
	.set _ZN9rocsparseL42gtsv_transpose_and_pad_array_shared_kernelILj256ELj4EdEEviiiPKT1_PS1_S1_.uses_vcc, 1
	.set _ZN9rocsparseL42gtsv_transpose_and_pad_array_shared_kernelILj256ELj4EdEEviiiPKT1_PS1_S1_.uses_flat_scratch, 0
	.set _ZN9rocsparseL42gtsv_transpose_and_pad_array_shared_kernelILj256ELj4EdEEviiiPKT1_PS1_S1_.has_dyn_sized_stack, 0
	.set _ZN9rocsparseL42gtsv_transpose_and_pad_array_shared_kernelILj256ELj4EdEEviiiPKT1_PS1_S1_.has_recursion, 0
	.set _ZN9rocsparseL42gtsv_transpose_and_pad_array_shared_kernelILj256ELj4EdEEviiiPKT1_PS1_S1_.has_indirect_call, 0
	.section	.AMDGPU.csdata,"",@progbits
; Kernel info:
; codeLenInByte = 244
; TotalNumSgprs: 16
; NumVgprs: 5
; ScratchSize: 0
; MemoryBound: 0
; FloatMode: 240
; IeeeMode: 1
; LDSByteSize: 2048 bytes/workgroup (compile time only)
; SGPRBlocks: 1
; VGPRBlocks: 1
; NumSGPRsForWavesPerEU: 16
; NumVGPRsForWavesPerEU: 5
; Occupancy: 10
; WaveLimiterHint : 0
; COMPUTE_PGM_RSRC2:SCRATCH_EN: 0
; COMPUTE_PGM_RSRC2:USER_SGPR: 6
; COMPUTE_PGM_RSRC2:TRAP_HANDLER: 0
; COMPUTE_PGM_RSRC2:TGID_X_EN: 1
; COMPUTE_PGM_RSRC2:TGID_Y_EN: 1
; COMPUTE_PGM_RSRC2:TGID_Z_EN: 0
; COMPUTE_PGM_RSRC2:TIDIG_COMP_CNT: 0
	.section	.text._ZN9rocsparseL18gtsv_LBM_wv_kernelILj256ELj4EdEEviiiPKT1_S3_S3_PS1_S4_S4_Pi,"axG",@progbits,_ZN9rocsparseL18gtsv_LBM_wv_kernelILj256ELj4EdEEviiiPKT1_S3_S3_PS1_S4_S4_Pi,comdat
	.globl	_ZN9rocsparseL18gtsv_LBM_wv_kernelILj256ELj4EdEEviiiPKT1_S3_S3_PS1_S4_S4_Pi ; -- Begin function _ZN9rocsparseL18gtsv_LBM_wv_kernelILj256ELj4EdEEviiiPKT1_S3_S3_PS1_S4_S4_Pi
	.p2align	8
	.type	_ZN9rocsparseL18gtsv_LBM_wv_kernelILj256ELj4EdEEviiiPKT1_S3_S3_PS1_S4_S4_Pi,@function
_ZN9rocsparseL18gtsv_LBM_wv_kernelILj256ELj4EdEEviiiPKT1_S3_S3_PS1_S4_S4_Pi: ; @_ZN9rocsparseL18gtsv_LBM_wv_kernelILj256ELj4EdEEviiiPKT1_S3_S3_PS1_S4_S4_Pi
; %bb.0:
	s_load_dword s27, s[4:5], 0x0
	v_lshl_or_b32 v0, s6, 8, v0
	s_waitcnt lgkmcnt(0)
	s_lshr_b32 s26, s27, 2
	v_cmp_gt_i32_e32 vcc, s26, v0
	s_and_saveexec_b64 s[0:1], vcc
	s_cbranch_execz .LBB109_30
; %bb.1:
	s_load_dwordx2 s[16:17], s[4:5], 0x10
	s_load_dwordx8 s[8:15], s[4:5], 0x20
	v_ashrrev_i32_e32 v1, 31, v0
	v_lshlrev_b64 v[4:5], 3, v[0:1]
	s_mul_i32 s28, s26, 3
	s_waitcnt lgkmcnt(0)
	v_mov_b32_e32 v2, s17
	v_add_co_u32_e32 v1, vcc, s16, v4
	v_addc_co_u32_e32 v2, vcc, v2, v5, vcc
	global_load_dwordx2 v[6:7], v[1:2], off
	v_add_u32_e32 v2, s28, v0
	v_mov_b32_e32 v3, 0
	v_lshlrev_b64 v[8:9], 3, v[2:3]
	v_mov_b32_e32 v2, s9
	v_add_co_u32_e32 v1, vcc, s8, v8
	v_addc_co_u32_e32 v2, vcc, v2, v9, vcc
	global_load_dwordx2 v[10:11], v[1:2], off
	s_load_dwordx2 s[6:7], s[4:5], 0x40
	v_mov_b32_e32 v2, s11
	v_add_co_u32_e32 v1, vcc, s10, v4
	v_addc_co_u32_e32 v2, vcc, v2, v5, vcc
	s_cmp_lt_i32 s27, 1
	v_add_u32_e32 v39, s26, v0
	v_mov_b32_e32 v12, s13
	v_add_co_u32_e32 v8, vcc, s12, v8
	v_addc_co_u32_e32 v9, vcc, v12, v9, vcc
	s_waitcnt vmcnt(1)
	global_store_dwordx2 v[1:2], v[6:7], off
	s_waitcnt vmcnt(1)
	global_store_dwordx2 v[8:9], v[10:11], off
	s_cbranch_scc1 .LBB109_23
; %bb.2:
	s_load_dwordx2 s[18:19], s[4:5], 0x18
	s_mov_b32 s22, 0x372fe950
	s_lshl_b32 s29, s26, 1
	v_add_u32_e32 v40, s26, v39
	s_mov_b64 s[20:21], 0
	s_waitcnt lgkmcnt(0)
	v_mov_b32_e32 v6, s19
	v_add_co_u32_e32 v3, vcc, s18, v4
	v_addc_co_u32_e32 v4, vcc, v6, v5, vcc
	global_load_dwordx2 v[5:6], v[3:4], off
	v_mov_b32_e32 v3, 0
	s_mov_b32 s23, 0x3fe3c6ef
	v_mov_b32_e32 v41, 2
	v_mov_b32_e32 v42, 1
	;; [unrolled: 1-line block ×3, first 2 shown]
	s_branch .LBB109_5
.LBB109_3:                              ;   in Loop: Header=BB109_5 Depth=1
	s_or_b64 exec, exec, s[4:5]
	v_fma_f64 v[5:6], -v[4:5], v[21:22], v[9:10]
	v_mov_b32_e32 v4, s26
.LBB109_4:                              ;   in Loop: Header=BB109_5 Depth=1
	s_or_b64 exec, exec, s[2:3]
	v_add_u32_e32 v3, v4, v3
	v_cmp_le_i32_e32 vcc, s27, v3
	s_or_b64 s[20:21], vcc, s[20:21]
	s_andn2_b64 exec, exec, s[20:21]
	s_cbranch_execz .LBB109_22
.LBB109_5:                              ; =>This Inner Loop Header: Depth=1
	v_add_u32_e32 v13, v3, v0
	v_ashrrev_i32_e32 v14, 31, v13
	v_lshlrev_b64 v[11:12], 3, v[13:14]
	v_mov_b32_e32 v9, 0
	v_add_co_u32_e32 v7, vcc, s8, v11
	v_addc_co_u32_e32 v8, vcc, v43, v12, vcc
	global_load_dwordx2 v[15:16], v[7:8], off
	v_mov_b32_e32 v7, 0
	v_mov_b32_e32 v10, 0
	;; [unrolled: 1-line block ×3, first 2 shown]
	v_cmp_gt_u32_e64 s[0:1], s28, v3
	s_and_saveexec_b64 s[2:3], s[0:1]
	s_cbranch_execz .LBB109_7
; %bb.6:                                ;   in Loop: Header=BB109_5 Depth=1
	v_add_u32_e32 v7, v39, v3
	v_ashrrev_i32_e32 v8, 31, v7
	v_lshlrev_b64 v[7:8], 3, v[7:8]
	v_mov_b32_e32 v4, s17
	v_add_co_u32_e32 v7, vcc, s16, v7
	v_addc_co_u32_e32 v8, vcc, v4, v8, vcc
	global_load_dwordx2 v[7:8], v[7:8], off
.LBB109_7:                              ;   in Loop: Header=BB109_5 Depth=1
	s_or_b64 exec, exec, s[2:3]
	s_and_saveexec_b64 s[2:3], s[0:1]
	s_cbranch_execz .LBB109_9
; %bb.8:                                ;   in Loop: Header=BB109_5 Depth=1
	v_add_u32_e32 v9, v39, v3
	v_ashrrev_i32_e32 v10, 31, v9
	v_lshlrev_b64 v[9:10], 3, v[9:10]
	v_mov_b32_e32 v4, s19
	v_add_co_u32_e32 v9, vcc, s18, v9
	v_addc_co_u32_e32 v10, vcc, v4, v10, vcc
	global_load_dwordx2 v[9:10], v[9:10], off
.LBB109_9:                              ;   in Loop: Header=BB109_5 Depth=1
	s_or_b64 exec, exec, s[2:3]
	v_mov_b32_e32 v19, 0
	v_mov_b32_e32 v17, 0
	;; [unrolled: 1-line block ×4, first 2 shown]
	s_and_saveexec_b64 s[2:3], s[0:1]
	s_cbranch_execz .LBB109_11
; %bb.10:                               ;   in Loop: Header=BB109_5 Depth=1
	v_add_u32_e32 v17, v39, v3
	v_ashrrev_i32_e32 v18, 31, v17
	v_lshlrev_b64 v[17:18], 3, v[17:18]
	v_mov_b32_e32 v4, s9
	v_add_co_u32_e32 v17, vcc, s8, v17
	v_addc_co_u32_e32 v18, vcc, v4, v18, vcc
	global_load_dwordx2 v[17:18], v[17:18], off
.LBB109_11:                             ;   in Loop: Header=BB109_5 Depth=1
	s_or_b64 exec, exec, s[2:3]
	v_cmp_gt_u32_e64 s[2:3], s29, v3
	s_and_saveexec_b64 s[4:5], s[2:3]
	s_cbranch_execz .LBB109_13
; %bb.12:                               ;   in Loop: Header=BB109_5 Depth=1
	v_add_u32_e32 v19, v40, v3
	v_ashrrev_i32_e32 v20, 31, v19
	v_lshlrev_b64 v[19:20], 3, v[19:20]
	v_mov_b32_e32 v4, s17
	v_add_co_u32_e32 v19, vcc, s16, v19
	v_addc_co_u32_e32 v20, vcc, v4, v20, vcc
	global_load_dwordx2 v[19:20], v[19:20], off
.LBB109_13:                             ;   in Loop: Header=BB109_5 Depth=1
	s_or_b64 exec, exec, s[4:5]
	s_waitcnt vmcnt(0)
	v_cmp_gt_f64_e32 vcc, 0, v[7:8]
	v_xor_b32_e32 v4, 0x80000000, v8
	v_mov_b32_e32 v21, v7
	v_mov_b32_e32 v23, v19
	;; [unrolled: 1-line block ×3, first 2 shown]
	v_cmp_gt_f64_e64 s[4:5], 0, v[17:18]
	v_cndmask_b32_e32 v22, v8, v4, vcc
	v_cmp_gt_f64_e32 vcc, 0, v[19:20]
	v_xor_b32_e32 v4, 0x80000000, v20
	v_cndmask_b32_e32 v24, v20, v4, vcc
	v_cmp_lt_f64_e32 vcc, v[21:22], v[23:24]
	v_xor_b32_e32 v4, 0x80000000, v10
	v_mov_b32_e32 v23, v9
	v_cndmask_b32_e32 v22, v22, v24, vcc
	v_cndmask_b32_e32 v21, v7, v19, vcc
	v_cmp_gt_f64_e32 vcc, 0, v[9:10]
	v_cndmask_b32_e32 v24, v10, v4, vcc
	v_cmp_lt_f64_e32 vcc, v[23:24], v[21:22]
	v_xor_b32_e32 v4, 0x80000000, v16
	v_cndmask_b32_e32 v24, v24, v22, vcc
	v_cndmask_b32_e32 v23, v9, v21, vcc
	v_cmp_gt_f64_e32 vcc, 0, v[15:16]
	v_mul_f64 v[21:22], v[15:16], v[7:8]
	v_cndmask_b32_e32 v26, v16, v4, vcc
	v_cmp_lt_f64_e32 vcc, v[25:26], v[23:24]
	v_xor_b32_e32 v4, 0x80000000, v18
	v_cndmask_b32_e64 v25, v18, v4, s[4:5]
	v_cmp_gt_f64_e64 s[4:5], 0, v[5:6]
	v_xor_b32_e32 v4, 0x80000000, v6
	v_cndmask_b32_e32 v27, v26, v24, vcc
	v_cndmask_b32_e32 v26, v15, v23, vcc
	v_mov_b32_e32 v24, v17
	v_cmp_lt_f64_e32 vcc, v[24:25], v[26:27]
	v_mov_b32_e32 v23, v5
	v_cndmask_b32_e64 v24, v6, v4, s[4:5]
	v_xor_b32_e32 v4, 0x80000000, v22
	v_cmp_ne_u32_e64 s[4:5], s28, v3
	v_cndmask_b32_e32 v27, v25, v27, vcc
	v_cndmask_b32_e32 v26, v17, v26, vcc
	v_cmp_gt_f64_e32 vcc, 0, v[21:22]
	v_mul_f64 v[23:24], v[23:24], v[26:27]
	v_mov_b32_e32 v25, v21
	v_cndmask_b32_e32 v26, v22, v4, vcc
	v_mul_f64 v[25:26], v[25:26], s[22:23]
	v_cmp_nge_f64_e32 vcc, v[23:24], v[25:26]
	s_and_b64 s[4:5], s[4:5], vcc
	s_and_saveexec_b64 s[24:25], s[4:5]
	s_xor_b64 s[4:5], exec, s[24:25]
	s_cbranch_execz .LBB109_19
; %bb.14:                               ;   in Loop: Header=BB109_5 Depth=1
	v_fma_f64 v[27:28], v[5:6], v[9:10], -v[21:22]
	v_add_u32_e32 v21, v39, v3
	v_ashrrev_i32_e32 v22, 31, v21
	v_lshlrev_b64 v[29:30], 3, v[21:22]
	v_mov_b32_e32 v23, s11
	v_add_co_u32_e32 v31, vcc, s10, v29
	v_addc_co_u32_e32 v32, vcc, v23, v30, vcc
	v_div_scale_f64 v[44:45], s[24:25], v[27:28], v[27:28], 1.0
	v_mov_b32_e32 v24, s13
	v_add_co_u32_e32 v33, vcc, s12, v29
	v_addc_co_u32_e32 v34, vcc, v24, v30, vcc
	global_load_dwordx2 v[23:24], v[31:32], off
	global_load_dwordx2 v[35:36], v[33:34], off
	v_ashrrev_i32_e32 v4, 31, v3
	v_lshlrev_b64 v[25:26], 3, v[3:4]
	v_mov_b32_e32 v37, s13
	v_add_co_u32_e32 v48, vcc, v1, v25
	v_addc_co_u32_e32 v49, vcc, v2, v26, vcc
	v_add_co_u32_e32 v50, vcc, s12, v11
	v_rcp_f64_e32 v[46:47], v[44:45]
	global_load_dwordx2 v[25:26], v[48:49], off
	v_addc_co_u32_e32 v51, vcc, v37, v12, vcc
	global_load_dwordx2 v[37:38], v[50:51], off
	v_mov_b32_e32 v4, s15
	v_lshlrev_b64 v[13:14], 2, v[13:14]
	v_fma_f64 v[52:53], -v[44:45], v[46:47], 1.0
	v_fma_f64 v[46:47], v[46:47], v[52:53], v[46:47]
	v_div_scale_f64 v[52:53], vcc, 1.0, v[27:28], 1.0
	v_fma_f64 v[54:55], -v[44:45], v[46:47], 1.0
	v_fma_f64 v[46:47], v[46:47], v[54:55], v[46:47]
	v_mul_f64 v[54:55], v[52:53], v[46:47]
	v_fma_f64 v[44:45], -v[44:45], v[54:55], v[52:53]
	v_div_fmas_f64 v[44:45], v[44:45], v[46:47], v[54:55]
	v_add_co_u32_e32 v11, vcc, s14, v11
	v_addc_co_u32_e32 v12, vcc, v4, v12, vcc
	s_waitcnt vmcnt(3)
	v_mul_f64 v[46:47], v[15:16], v[23:24]
	s_waitcnt vmcnt(2)
	v_mul_f64 v[52:53], v[15:16], v[35:36]
	v_mul_f64 v[15:16], v[17:18], -v[15:16]
	v_add_co_u32_e32 v13, vcc, s6, v13
	v_div_fixup_f64 v[27:28], v[44:45], v[27:28], 1.0
	s_waitcnt vmcnt(1)
	v_fma_f64 v[46:47], v[9:10], v[25:26], -v[46:47]
	s_waitcnt vmcnt(0)
	v_fma_f64 v[9:10], v[9:10], v[37:38], -v[52:53]
	v_mov_b32_e32 v52, s7
	v_addc_co_u32_e32 v14, vcc, v52, v14, vcc
	v_mul_f64 v[15:16], v[27:28], v[15:16]
	v_mul_f64 v[44:45], v[27:28], v[46:47]
	;; [unrolled: 1-line block ×3, first 2 shown]
	global_store_dwordx2 v[48:49], v[44:45], off
	global_store_dwordx2 v[50:51], v[9:10], off
	;; [unrolled: 1-line block ×3, first 2 shown]
	global_store_dword v[13:14], v41, off
	s_and_saveexec_b64 s[24:25], s[0:1]
	s_cbranch_execz .LBB109_16
; %bb.15:                               ;   in Loop: Header=BB109_5 Depth=1
	v_mul_f64 v[9:10], v[7:8], v[25:26]
	v_mul_f64 v[11:12], v[7:8], v[37:38]
	;; [unrolled: 1-line block ×3, first 2 shown]
	v_mov_b32_e32 v4, s15
	v_lshlrev_b64 v[15:16], 2, v[21:22]
	v_add_co_u32_e32 v21, vcc, s14, v29
	v_addc_co_u32_e32 v22, vcc, v4, v30, vcc
	v_fma_f64 v[9:10], v[5:6], v[23:24], -v[9:10]
	v_fma_f64 v[11:12], v[5:6], v[35:36], -v[11:12]
	v_mul_f64 v[13:14], v[27:28], v[13:14]
	v_mov_b32_e32 v35, s7
	v_add_co_u32_e32 v15, vcc, s6, v15
	v_addc_co_u32_e32 v16, vcc, v35, v16, vcc
	v_mul_f64 v[9:10], v[27:28], v[9:10]
	v_mul_f64 v[11:12], v[27:28], v[11:12]
	global_store_dwordx2 v[21:22], v[13:14], off
	global_store_dwordx2 v[31:32], v[9:10], off
	;; [unrolled: 1-line block ×3, first 2 shown]
	global_store_dword v[15:16], v41, off
.LBB109_16:                             ;   in Loop: Header=BB109_5 Depth=1
	s_or_b64 exec, exec, s[24:25]
	v_mov_b32_e32 v9, 0
	v_mov_b32_e32 v10, 0
	s_and_saveexec_b64 s[24:25], s[2:3]
	s_cbranch_execz .LBB109_18
; %bb.17:                               ;   in Loop: Header=BB109_5 Depth=1
	v_add_u32_e32 v9, v40, v3
	v_ashrrev_i32_e32 v10, 31, v9
	v_lshlrev_b64 v[9:10], 3, v[9:10]
	v_mov_b32_e32 v4, s11
	v_add_co_u32_e32 v11, vcc, s10, v9
	v_addc_co_u32_e32 v12, vcc, v4, v10, vcc
	v_mov_b32_e32 v4, s19
	v_add_co_u32_e32 v9, vcc, s18, v9
	v_addc_co_u32_e32 v10, vcc, v4, v10, vcc
	global_load_dwordx2 v[13:14], v[11:12], off
	v_mul_f64 v[4:5], v[5:6], v[19:20]
	global_load_dwordx2 v[9:10], v[9:10], off
	v_mul_f64 v[6:7], v[19:20], v[7:8]
	v_mul_f64 v[15:16], v[27:28], v[4:5]
	;; [unrolled: 1-line block ×5, first 2 shown]
	v_fma_f64 v[6:7], v[6:7], v[25:26], -v[15:16]
	s_waitcnt vmcnt(1)
	v_add_f64 v[6:7], v[6:7], v[13:14]
	s_waitcnt vmcnt(0)
	v_fma_f64 v[9:10], -v[27:28], v[4:5], v[9:10]
	global_store_dwordx2 v[11:12], v[6:7], off
.LBB109_18:                             ;   in Loop: Header=BB109_5 Depth=1
	s_or_b64 exec, exec, s[24:25]
	v_mov_b32_e32 v5, v9
	v_mov_b32_e32 v6, v10
                                        ; implicit-def: $vgpr21_vgpr22
                                        ; implicit-def: $vgpr9_vgpr10
                                        ; implicit-def: $vgpr15_vgpr16
                                        ; implicit-def: $vgpr11_vgpr12
                                        ; implicit-def: $vgpr13_vgpr14
                                        ; implicit-def: $vgpr7_vgpr8
.LBB109_19:                             ;   in Loop: Header=BB109_5 Depth=1
	s_or_saveexec_b64 s[2:3], s[4:5]
	v_mov_b32_e32 v4, s29
	s_xor_b64 exec, exec, s[2:3]
	s_cbranch_execz .LBB109_4
; %bb.20:                               ;   in Loop: Header=BB109_5 Depth=1
	v_div_scale_f64 v[19:20], s[4:5], v[5:6], v[5:6], 1.0
	v_ashrrev_i32_e32 v4, 31, v3
	v_mov_b32_e32 v26, s13
	v_lshlrev_b64 v[17:18], 3, v[3:4]
	v_add_co_u32_e32 v25, vcc, s12, v11
	v_addc_co_u32_e32 v26, vcc, v26, v12, vcc
	v_add_co_u32_e32 v27, vcc, v1, v17
	v_addc_co_u32_e32 v28, vcc, v2, v18, vcc
	global_load_dwordx2 v[17:18], v[27:28], off
	global_load_dwordx2 v[29:30], v[25:26], off
	v_lshlrev_b64 v[13:14], 2, v[13:14]
	v_rcp_f64_e32 v[23:24], v[19:20]
	v_fma_f64 v[31:32], -v[19:20], v[23:24], 1.0
	v_fma_f64 v[23:24], v[23:24], v[31:32], v[23:24]
	v_div_scale_f64 v[31:32], vcc, 1.0, v[5:6], 1.0
	v_fma_f64 v[33:34], -v[19:20], v[23:24], 1.0
	v_fma_f64 v[23:24], v[23:24], v[33:34], v[23:24]
	v_mul_f64 v[33:34], v[31:32], v[23:24]
	v_fma_f64 v[19:20], -v[19:20], v[33:34], v[31:32]
	v_mov_b32_e32 v31, s7
	v_div_fmas_f64 v[19:20], v[19:20], v[23:24], v[33:34]
	v_add_co_u32_e32 v11, vcc, s14, v11
	v_div_fixup_f64 v[4:5], v[19:20], v[5:6], 1.0
	v_mov_b32_e32 v6, s15
	v_addc_co_u32_e32 v12, vcc, v6, v12, vcc
	v_add_co_u32_e32 v13, vcc, s6, v13
	v_addc_co_u32_e32 v14, vcc, v31, v14, vcc
	s_waitcnt vmcnt(1)
	v_mul_f64 v[19:20], v[4:5], v[17:18]
	s_waitcnt vmcnt(0)
	v_mul_f64 v[23:24], v[4:5], v[29:30]
	v_mul_f64 v[15:16], v[4:5], v[15:16]
	global_store_dwordx2 v[27:28], v[19:20], off
	global_store_dwordx2 v[25:26], v[23:24], off
	;; [unrolled: 1-line block ×3, first 2 shown]
	global_store_dword v[13:14], v42, off
	s_and_saveexec_b64 s[4:5], s[0:1]
	s_cbranch_execz .LBB109_3
; %bb.21:                               ;   in Loop: Header=BB109_5 Depth=1
	v_add_u32_e32 v11, v39, v3
	v_ashrrev_i32_e32 v12, 31, v11
	v_lshlrev_b64 v[11:12], 3, v[11:12]
	v_mov_b32_e32 v6, s11
	v_add_co_u32_e32 v11, vcc, s10, v11
	v_addc_co_u32_e32 v12, vcc, v6, v12, vcc
	global_load_dwordx2 v[13:14], v[11:12], off
	v_mul_f64 v[6:7], v[7:8], v[4:5]
	s_waitcnt vmcnt(0)
	v_fma_f64 v[6:7], -v[6:7], v[17:18], v[13:14]
	global_store_dwordx2 v[11:12], v[6:7], off
	s_branch .LBB109_3
.LBB109_22:
	s_or_b64 exec, exec, s[20:21]
.LBB109_23:
	v_subrev_u32_e32 v5, s26, v3
	v_add_u32_e32 v3, v5, v0
	v_ashrrev_i32_e32 v4, 31, v3
	v_lshlrev_b64 v[3:4], 2, v[3:4]
	s_waitcnt lgkmcnt(0)
	v_mov_b32_e32 v6, s7
	v_add_co_u32_e32 v3, vcc, s6, v3
	v_addc_co_u32_e32 v4, vcc, v6, v4, vcc
	s_waitcnt vmcnt(0)
	buffer_wbinvl1_vol
	global_load_dword v3, v[3:4], off
	s_waitcnt vmcnt(0)
	v_mul_lo_u32 v3, v3, s26
	v_sub_u32_e32 v3, v5, v3
	v_cmp_lt_i32_e32 vcc, -1, v3
	s_and_b64 exec, exec, vcc
	s_cbranch_execz .LBB109_30
; %bb.24:
	v_subrev_u32_e32 v9, s26, v0
	s_lshl_b32 s4, s26, 1
	s_mov_b64 s[0:1], 0
	v_mov_b32_e32 v10, s7
	v_mov_b32_e32 v11, s15
	s_branch .LBB109_26
.LBB109_25:                             ;   in Loop: Header=BB109_26 Depth=1
	s_or_b64 exec, exec, s[2:3]
	v_sub_u32_e32 v3, v3, v4
	v_cmp_gt_i32_e32 vcc, 0, v3
	s_or_b64 s[0:1], vcc, s[0:1]
	s_andn2_b64 exec, exec, s[0:1]
	s_cbranch_execz .LBB109_30
.LBB109_26:                             ; =>This Inner Loop Header: Depth=1
	v_add_u32_e32 v4, v3, v0
	s_waitcnt vmcnt(0)
	v_ashrrev_i32_e32 v5, 31, v4
	v_lshlrev_b64 v[6:7], 2, v[4:5]
	v_add_co_u32_e32 v6, vcc, s6, v6
	v_addc_co_u32_e32 v7, vcc, v10, v7, vcc
	global_load_dword v12, v[6:7], off
	v_lshlrev_b64 v[7:8], 3, v[4:5]
	v_add_co_u32_e32 v4, vcc, s14, v7
	v_addc_co_u32_e32 v5, vcc, v11, v8, vcc
	global_load_dwordx2 v[5:6], v[4:5], off
	s_waitcnt vmcnt(1)
	v_cmp_ne_u32_e32 vcc, 1, v12
	s_and_saveexec_b64 s[2:3], vcc
	s_xor_b64 s[2:3], exec, s[2:3]
	s_cbranch_execz .LBB109_28
; %bb.27:                               ;   in Loop: Header=BB109_26 Depth=1
	v_add_u32_e32 v12, v39, v3
	v_ashrrev_i32_e32 v13, 31, v12
	v_lshlrev_b64 v[12:13], 3, v[12:13]
	v_mov_b32_e32 v4, s11
	v_add_co_u32_e32 v14, vcc, s10, v12
	v_addc_co_u32_e32 v15, vcc, v4, v13, vcc
	v_ashrrev_i32_e32 v4, 31, v3
	v_lshlrev_b64 v[16:17], 3, v[3:4]
	v_mov_b32_e32 v4, s13
	v_add_co_u32_e32 v16, vcc, v1, v16
	v_addc_co_u32_e32 v17, vcc, v2, v17, vcc
	v_add_co_u32_e32 v12, vcc, s12, v12
	v_addc_co_u32_e32 v13, vcc, v4, v13, vcc
	global_load_dwordx2 v[18:19], v[14:15], off
	global_load_dwordx2 v[20:21], v[16:17], off
	v_add_co_u32_e32 v7, vcc, s12, v7
	v_addc_co_u32_e32 v8, vcc, v4, v8, vcc
	global_load_dwordx2 v[22:23], v[12:13], off
	global_load_dwordx2 v[24:25], v[7:8], off
	v_add_u32_e32 v26, v9, v3
	v_ashrrev_i32_e32 v27, 31, v26
	v_lshlrev_b64 v[26:27], 3, v[26:27]
	v_mov_b32_e32 v4, s15
	v_add_co_u32_e32 v28, vcc, s14, v26
	v_addc_co_u32_e32 v29, vcc, v4, v27, vcc
	v_mov_b32_e32 v30, s11
	v_mov_b32_e32 v31, s13
	s_waitcnt vmcnt(2)
	v_fma_f64 v[18:19], -v[5:6], v[18:19], v[20:21]
	v_add_co_u32_e32 v20, vcc, s10, v26
	v_addc_co_u32_e32 v21, vcc, v30, v27, vcc
	s_waitcnt vmcnt(0)
	v_fma_f64 v[4:5], -v[5:6], v[22:23], v[24:25]
	v_add_co_u32_e32 v22, vcc, s12, v26
	global_load_dwordx2 v[24:25], v[28:29], off
	s_nop 0
	global_store_dwordx2 v[16:17], v[18:19], off
	global_store_dwordx2 v[7:8], v[4:5], off
	v_addc_co_u32_e32 v23, vcc, v31, v27, vcc
	global_load_dwordx2 v[4:5], v[14:15], off
	global_load_dwordx2 v[6:7], v[20:21], off
	;; [unrolled: 1-line block ×4, first 2 shown]
	s_waitcnt vmcnt(2)
	v_fma_f64 v[4:5], -v[24:25], v[4:5], v[6:7]
	s_waitcnt vmcnt(0)
	v_fma_f64 v[6:7], -v[24:25], v[16:17], v[18:19]
	global_store_dwordx2 v[20:21], v[4:5], off
	global_store_dwordx2 v[22:23], v[6:7], off
                                        ; implicit-def: $vgpr5_vgpr6
                                        ; implicit-def: $vgpr7_vgpr8
.LBB109_28:                             ;   in Loop: Header=BB109_26 Depth=1
	s_or_saveexec_b64 s[2:3], s[2:3]
	v_mov_b32_e32 v4, s4
	s_xor_b64 exec, exec, s[2:3]
	s_cbranch_execz .LBB109_25
; %bb.29:                               ;   in Loop: Header=BB109_26 Depth=1
	v_add_u32_e32 v12, v39, v3
	v_ashrrev_i32_e32 v13, 31, v12
	v_lshlrev_b64 v[12:13], 3, v[12:13]
	v_mov_b32_e32 v4, s11
	v_add_co_u32_e32 v14, vcc, s10, v12
	v_addc_co_u32_e32 v15, vcc, v4, v13, vcc
	v_ashrrev_i32_e32 v4, 31, v3
	v_lshlrev_b64 v[16:17], 3, v[3:4]
	v_mov_b32_e32 v4, s13
	v_add_co_u32_e32 v16, vcc, v1, v16
	v_addc_co_u32_e32 v17, vcc, v2, v17, vcc
	v_add_co_u32_e32 v12, vcc, s12, v12
	v_addc_co_u32_e32 v13, vcc, v4, v13, vcc
	global_load_dwordx2 v[18:19], v[14:15], off
	global_load_dwordx2 v[20:21], v[16:17], off
	v_add_co_u32_e32 v7, vcc, s12, v7
	v_addc_co_u32_e32 v8, vcc, v4, v8, vcc
	global_load_dwordx2 v[14:15], v[12:13], off
	global_load_dwordx2 v[22:23], v[7:8], off
	s_waitcnt vmcnt(2)
	v_fma_f64 v[12:13], -v[5:6], v[18:19], v[20:21]
	s_waitcnt vmcnt(0)
	v_fma_f64 v[4:5], -v[5:6], v[14:15], v[22:23]
	global_store_dwordx2 v[16:17], v[12:13], off
	global_store_dwordx2 v[7:8], v[4:5], off
	v_mov_b32_e32 v4, s26
	s_branch .LBB109_25
.LBB109_30:
	s_endpgm
	.section	.rodata,"a",@progbits
	.p2align	6, 0x0
	.amdhsa_kernel _ZN9rocsparseL18gtsv_LBM_wv_kernelILj256ELj4EdEEviiiPKT1_S3_S3_PS1_S4_S4_Pi
		.amdhsa_group_segment_fixed_size 0
		.amdhsa_private_segment_fixed_size 0
		.amdhsa_kernarg_size 72
		.amdhsa_user_sgpr_count 6
		.amdhsa_user_sgpr_private_segment_buffer 1
		.amdhsa_user_sgpr_dispatch_ptr 0
		.amdhsa_user_sgpr_queue_ptr 0
		.amdhsa_user_sgpr_kernarg_segment_ptr 1
		.amdhsa_user_sgpr_dispatch_id 0
		.amdhsa_user_sgpr_flat_scratch_init 0
		.amdhsa_user_sgpr_private_segment_size 0
		.amdhsa_uses_dynamic_stack 0
		.amdhsa_system_sgpr_private_segment_wavefront_offset 0
		.amdhsa_system_sgpr_workgroup_id_x 1
		.amdhsa_system_sgpr_workgroup_id_y 0
		.amdhsa_system_sgpr_workgroup_id_z 0
		.amdhsa_system_sgpr_workgroup_info 0
		.amdhsa_system_vgpr_workitem_id 0
		.amdhsa_next_free_vgpr 56
		.amdhsa_next_free_sgpr 30
		.amdhsa_reserve_vcc 1
		.amdhsa_reserve_flat_scratch 0
		.amdhsa_float_round_mode_32 0
		.amdhsa_float_round_mode_16_64 0
		.amdhsa_float_denorm_mode_32 3
		.amdhsa_float_denorm_mode_16_64 3
		.amdhsa_dx10_clamp 1
		.amdhsa_ieee_mode 1
		.amdhsa_fp16_overflow 0
		.amdhsa_exception_fp_ieee_invalid_op 0
		.amdhsa_exception_fp_denorm_src 0
		.amdhsa_exception_fp_ieee_div_zero 0
		.amdhsa_exception_fp_ieee_overflow 0
		.amdhsa_exception_fp_ieee_underflow 0
		.amdhsa_exception_fp_ieee_inexact 0
		.amdhsa_exception_int_div_zero 0
	.end_amdhsa_kernel
	.section	.text._ZN9rocsparseL18gtsv_LBM_wv_kernelILj256ELj4EdEEviiiPKT1_S3_S3_PS1_S4_S4_Pi,"axG",@progbits,_ZN9rocsparseL18gtsv_LBM_wv_kernelILj256ELj4EdEEviiiPKT1_S3_S3_PS1_S4_S4_Pi,comdat
.Lfunc_end109:
	.size	_ZN9rocsparseL18gtsv_LBM_wv_kernelILj256ELj4EdEEviiiPKT1_S3_S3_PS1_S4_S4_Pi, .Lfunc_end109-_ZN9rocsparseL18gtsv_LBM_wv_kernelILj256ELj4EdEEviiiPKT1_S3_S3_PS1_S4_S4_Pi
                                        ; -- End function
	.set _ZN9rocsparseL18gtsv_LBM_wv_kernelILj256ELj4EdEEviiiPKT1_S3_S3_PS1_S4_S4_Pi.num_vgpr, 56
	.set _ZN9rocsparseL18gtsv_LBM_wv_kernelILj256ELj4EdEEviiiPKT1_S3_S3_PS1_S4_S4_Pi.num_agpr, 0
	.set _ZN9rocsparseL18gtsv_LBM_wv_kernelILj256ELj4EdEEviiiPKT1_S3_S3_PS1_S4_S4_Pi.numbered_sgpr, 30
	.set _ZN9rocsparseL18gtsv_LBM_wv_kernelILj256ELj4EdEEviiiPKT1_S3_S3_PS1_S4_S4_Pi.num_named_barrier, 0
	.set _ZN9rocsparseL18gtsv_LBM_wv_kernelILj256ELj4EdEEviiiPKT1_S3_S3_PS1_S4_S4_Pi.private_seg_size, 0
	.set _ZN9rocsparseL18gtsv_LBM_wv_kernelILj256ELj4EdEEviiiPKT1_S3_S3_PS1_S4_S4_Pi.uses_vcc, 1
	.set _ZN9rocsparseL18gtsv_LBM_wv_kernelILj256ELj4EdEEviiiPKT1_S3_S3_PS1_S4_S4_Pi.uses_flat_scratch, 0
	.set _ZN9rocsparseL18gtsv_LBM_wv_kernelILj256ELj4EdEEviiiPKT1_S3_S3_PS1_S4_S4_Pi.has_dyn_sized_stack, 0
	.set _ZN9rocsparseL18gtsv_LBM_wv_kernelILj256ELj4EdEEviiiPKT1_S3_S3_PS1_S4_S4_Pi.has_recursion, 0
	.set _ZN9rocsparseL18gtsv_LBM_wv_kernelILj256ELj4EdEEviiiPKT1_S3_S3_PS1_S4_S4_Pi.has_indirect_call, 0
	.section	.AMDGPU.csdata,"",@progbits
; Kernel info:
; codeLenInByte = 2480
; TotalNumSgprs: 34
; NumVgprs: 56
; ScratchSize: 0
; MemoryBound: 1
; FloatMode: 240
; IeeeMode: 1
; LDSByteSize: 0 bytes/workgroup (compile time only)
; SGPRBlocks: 4
; VGPRBlocks: 13
; NumSGPRsForWavesPerEU: 34
; NumVGPRsForWavesPerEU: 56
; Occupancy: 4
; WaveLimiterHint : 0
; COMPUTE_PGM_RSRC2:SCRATCH_EN: 0
; COMPUTE_PGM_RSRC2:USER_SGPR: 6
; COMPUTE_PGM_RSRC2:TRAP_HANDLER: 0
; COMPUTE_PGM_RSRC2:TGID_X_EN: 1
; COMPUTE_PGM_RSRC2:TGID_Y_EN: 0
; COMPUTE_PGM_RSRC2:TGID_Z_EN: 0
; COMPUTE_PGM_RSRC2:TIDIG_COMP_CNT: 0
	.section	.text._ZN9rocsparseL19gtsv_LBM_rhs_kernelILj256ELj4ELj8EdEEviiiPKT2_S3_S3_PS1_S3_PKi,"axG",@progbits,_ZN9rocsparseL19gtsv_LBM_rhs_kernelILj256ELj4ELj8EdEEviiiPKT2_S3_S3_PS1_S3_PKi,comdat
	.globl	_ZN9rocsparseL19gtsv_LBM_rhs_kernelILj256ELj4ELj8EdEEviiiPKT2_S3_S3_PS1_S3_PKi ; -- Begin function _ZN9rocsparseL19gtsv_LBM_rhs_kernelILj256ELj4ELj8EdEEviiiPKT2_S3_S3_PS1_S3_PKi
	.p2align	8
	.type	_ZN9rocsparseL19gtsv_LBM_rhs_kernelILj256ELj4ELj8EdEEviiiPKT2_S3_S3_PS1_S3_PKi,@function
_ZN9rocsparseL19gtsv_LBM_rhs_kernelILj256ELj4ELj8EdEEviiiPKT2_S3_S3_PS1_S3_PKi: ; @_ZN9rocsparseL19gtsv_LBM_rhs_kernelILj256ELj4ELj8EdEEviiiPKT2_S3_S3_PS1_S3_PKi
; %bb.0:
	s_load_dword s23, s[4:5], 0x0
	v_lshl_or_b32 v0, s6, 8, v0
	s_waitcnt lgkmcnt(0)
	s_lshr_b32 s22, s23, 2
	v_cmp_gt_i32_e32 vcc, s22, v0
	s_and_saveexec_b64 s[0:1], vcc
	s_cbranch_execz .LBB110_29
; %bb.1:
	s_load_dwordx4 s[8:11], s[4:5], 0x28
	s_load_dwordx2 s[16:17], s[4:5], 0x38
	s_cmp_lt_i32 s23, 1
	v_add_u32_e32 v71, s22, v0
	s_mul_i32 s24, s7, s23
	s_cbranch_scc1 .LBB110_21
; %bb.2:
	s_load_dwordx4 s[12:15], s[4:5], 0x10
	s_load_dwordx2 s[6:7], s[4:5], 0x20
	v_ashrrev_i32_e32 v1, 31, v0
	v_lshlrev_b64 v[1:2], 3, v[0:1]
	s_lshl_b32 s27, s24, 3
	s_waitcnt lgkmcnt(0)
	v_mov_b32_e32 v3, s15
	v_add_co_u32_e32 v1, vcc, s14, v1
	v_addc_co_u32_e32 v2, vcc, v3, v2, vcc
	global_load_dwordx2 v[7:8], v[1:2], off
	s_add_i32 s28, s27, s23
	s_add_i32 s29, s28, s23
	;; [unrolled: 1-line block ×6, first 2 shown]
	s_mul_i32 s25, s22, 3
	s_lshl_b32 s26, s22, 1
	v_add_u32_e32 v72, s22, v71
	s_add_i32 s35, s34, s23
	v_mov_b32_e32 v2, 0
	s_mov_b64 s[18:19], 0
	v_mov_b32_e32 v74, s7
	v_mov_b32_e32 v73, 0
	s_branch .LBB110_5
.LBB110_3:                              ;   in Loop: Header=BB110_5 Depth=1
	s_or_b64 exec, exec, s[4:5]
	v_fma_f64 v[7:8], -v[7:8], v[47:48], v[5:6]
	v_mov_b32_e32 v1, s22
.LBB110_4:                              ;   in Loop: Header=BB110_5 Depth=1
	s_or_b64 exec, exec, s[2:3]
	v_add_u32_e32 v73, v1, v73
	v_cmp_le_i32_e32 vcc, s23, v73
	s_or_b64 s[18:19], vcc, s[18:19]
	s_andn2_b64 exec, exec, s[18:19]
	s_cbranch_execz .LBB110_20
.LBB110_5:                              ; =>This Inner Loop Header: Depth=1
	v_add_u32_e32 v29, v73, v0
	v_ashrrev_i32_e32 v30, 31, v29
	v_lshlrev_b64 v[3:4], 3, v[29:30]
	v_mov_b32_e32 v5, 0
	v_add_co_u32_e32 v3, vcc, s6, v3
	v_addc_co_u32_e32 v4, vcc, v74, v4, vcc
	global_load_dwordx2 v[13:14], v[3:4], off
	v_mov_b32_e32 v3, 0
	v_mov_b32_e32 v6, 0
	;; [unrolled: 1-line block ×3, first 2 shown]
	v_cmp_gt_u32_e64 s[0:1], s25, v73
	s_and_saveexec_b64 s[2:3], s[0:1]
	s_cbranch_execz .LBB110_7
; %bb.6:                                ;   in Loop: Header=BB110_5 Depth=1
	v_add_u32_e32 v3, v71, v73
	v_ashrrev_i32_e32 v4, 31, v3
	v_lshlrev_b64 v[3:4], 3, v[3:4]
	v_mov_b32_e32 v1, s13
	v_add_co_u32_e32 v3, vcc, s12, v3
	v_addc_co_u32_e32 v4, vcc, v1, v4, vcc
	global_load_dwordx2 v[3:4], v[3:4], off
.LBB110_7:                              ;   in Loop: Header=BB110_5 Depth=1
	s_or_b64 exec, exec, s[2:3]
	s_and_saveexec_b64 s[2:3], s[0:1]
	s_cbranch_execz .LBB110_9
; %bb.8:                                ;   in Loop: Header=BB110_5 Depth=1
	v_add_u32_e32 v5, v71, v73
	v_ashrrev_i32_e32 v6, 31, v5
	v_lshlrev_b64 v[5:6], 3, v[5:6]
	v_mov_b32_e32 v1, s15
	v_add_co_u32_e32 v5, vcc, s14, v5
	v_addc_co_u32_e32 v6, vcc, v1, v6, vcc
	global_load_dwordx2 v[5:6], v[5:6], off
.LBB110_9:                              ;   in Loop: Header=BB110_5 Depth=1
	s_or_b64 exec, exec, s[2:3]
	v_mov_b32_e32 v11, 0
	v_mov_b32_e32 v9, 0
	;; [unrolled: 1-line block ×4, first 2 shown]
	s_and_saveexec_b64 s[2:3], s[0:1]
	s_cbranch_execz .LBB110_11
; %bb.10:                               ;   in Loop: Header=BB110_5 Depth=1
	v_add_u32_e32 v9, v71, v73
	v_ashrrev_i32_e32 v10, 31, v9
	v_lshlrev_b64 v[9:10], 3, v[9:10]
	v_mov_b32_e32 v1, s7
	v_add_co_u32_e32 v9, vcc, s6, v9
	v_addc_co_u32_e32 v10, vcc, v1, v10, vcc
	global_load_dwordx2 v[9:10], v[9:10], off
.LBB110_11:                             ;   in Loop: Header=BB110_5 Depth=1
	s_or_b64 exec, exec, s[2:3]
	v_cmp_gt_u32_e64 s[2:3], s26, v73
	s_and_saveexec_b64 s[4:5], s[2:3]
	s_cbranch_execz .LBB110_13
; %bb.12:                               ;   in Loop: Header=BB110_5 Depth=1
	v_add_u32_e32 v11, v72, v73
	v_ashrrev_i32_e32 v12, 31, v11
	v_lshlrev_b64 v[11:12], 3, v[11:12]
	v_mov_b32_e32 v1, s13
	v_add_co_u32_e32 v11, vcc, s12, v11
	v_addc_co_u32_e32 v12, vcc, v1, v12, vcc
	global_load_dwordx2 v[11:12], v[11:12], off
.LBB110_13:                             ;   in Loop: Header=BB110_5 Depth=1
	s_or_b64 exec, exec, s[4:5]
	v_lshlrev_b64 v[15:16], 2, v[29:30]
	v_mov_b32_e32 v1, s17
	v_add_co_u32_e32 v15, vcc, s16, v15
	v_addc_co_u32_e32 v16, vcc, v1, v16, vcc
	v_add_u32_e32 v1, s27, v29
	global_load_dword v49, v[15:16], off
	v_lshlrev_b64 v[15:16], 3, v[1:2]
	v_add_u32_e32 v1, s28, v29
	s_waitcnt vmcnt(4)
	v_mov_b32_e32 v39, s9
	v_add_co_u32_e32 v15, vcc, s8, v15
	v_lshlrev_b64 v[17:18], 3, v[1:2]
	v_addc_co_u32_e32 v16, vcc, v39, v16, vcc
	v_add_u32_e32 v1, s29, v29
	v_add_co_u32_e32 v17, vcc, s8, v17
	v_lshlrev_b64 v[19:20], 3, v[1:2]
	v_addc_co_u32_e32 v18, vcc, v39, v18, vcc
	v_add_u32_e32 v1, s30, v29
	;; [unrolled: 4-line block ×6, first 2 shown]
	v_add_co_u32_e32 v27, vcc, s8, v27
	v_lshlrev_b64 v[29:30], 3, v[1:2]
	v_addc_co_u32_e32 v28, vcc, v39, v28, vcc
	v_add_co_u32_e32 v29, vcc, s8, v29
	global_load_dwordx2 v[31:32], v[15:16], off
	global_load_dwordx2 v[33:34], v[17:18], off
	global_load_dwordx2 v[35:36], v[19:20], off
	global_load_dwordx2 v[37:38], v[21:22], off
	v_addc_co_u32_e32 v30, vcc, v39, v30, vcc
	global_load_dwordx2 v[43:44], v[23:24], off
	global_load_dwordx2 v[39:40], v[25:26], off
	;; [unrolled: 1-line block ×4, first 2 shown]
	s_waitcnt vmcnt(9)
	v_mul_f64 v[47:48], v[13:14], v[3:4]
	v_cmp_ne_u32_e64 s[4:5], s25, v73
	s_waitcnt vmcnt(8)
	v_cmp_ne_u32_e32 vcc, 1, v49
	s_and_b64 s[4:5], s[4:5], vcc
	s_and_saveexec_b64 s[20:21], s[4:5]
	s_xor_b64 s[4:5], exec, s[20:21]
	s_cbranch_execz .LBB110_17
; %bb.14:                               ;   in Loop: Header=BB110_5 Depth=1
	v_fma_f64 v[47:48], v[7:8], v[5:6], -v[47:48]
	v_add_u32_e32 v59, v71, v73
	v_add_u32_e32 v1, s27, v59
	v_lshlrev_b64 v[51:52], 3, v[1:2]
	v_add_u32_e32 v1, s28, v59
	v_mov_b32_e32 v65, s9
	v_lshlrev_b64 v[53:54], 3, v[1:2]
	v_add_co_u32_e32 v75, vcc, s8, v51
	v_div_scale_f64 v[49:50], s[20:21], v[47:48], v[47:48], 1.0
	v_add_u32_e32 v1, s29, v59
	v_addc_co_u32_e32 v76, vcc, v65, v52, vcc
	v_lshlrev_b64 v[51:52], 3, v[1:2]
	v_add_co_u32_e32 v77, vcc, s8, v53
	v_add_u32_e32 v1, s30, v59
	v_addc_co_u32_e32 v78, vcc, v65, v54, vcc
	v_lshlrev_b64 v[53:54], 3, v[1:2]
	v_add_co_u32_e32 v79, vcc, s8, v51
	v_add_u32_e32 v1, s31, v59
	v_addc_co_u32_e32 v80, vcc, v65, v52, vcc
	v_rcp_f64_e32 v[55:56], v[49:50]
	v_lshlrev_b64 v[51:52], 3, v[1:2]
	v_add_co_u32_e32 v81, vcc, s8, v53
	v_add_u32_e32 v1, s33, v59
	v_addc_co_u32_e32 v82, vcc, v65, v54, vcc
	v_lshlrev_b64 v[57:58], 3, v[1:2]
	v_add_co_u32_e32 v83, vcc, s8, v51
	v_add_u32_e32 v1, s34, v59
	v_addc_co_u32_e32 v84, vcc, v65, v52, vcc
	v_lshlrev_b64 v[53:54], 3, v[1:2]
	v_add_co_u32_e32 v89, vcc, s8, v57
	v_add_u32_e32 v1, s35, v59
	global_load_dwordx2 v[61:62], v[75:76], off
	global_load_dwordx2 v[63:64], v[77:78], off
	;; [unrolled: 1-line block ×4, first 2 shown]
	v_addc_co_u32_e32 v90, vcc, v65, v58, vcc
	v_lshlrev_b64 v[51:52], 3, v[1:2]
	v_add_co_u32_e32 v91, vcc, s8, v53
	global_load_dwordx2 v[93:94], v[83:84], off
	v_addc_co_u32_e32 v92, vcc, v65, v54, vcc
	v_add_co_u32_e32 v95, vcc, s8, v51
	v_addc_co_u32_e32 v96, vcc, v65, v52, vcc
	global_load_dwordx2 v[97:98], v[89:90], off
	global_load_dwordx2 v[99:100], v[91:92], off
	;; [unrolled: 1-line block ×3, first 2 shown]
	v_fma_f64 v[59:60], -v[49:50], v[55:56], 1.0
	v_div_scale_f64 v[53:54], vcc, 1.0, v[47:48], 1.0
	v_mov_b32_e32 v69, 0
	v_mov_b32_e32 v70, 0
	v_fma_f64 v[51:52], v[55:56], v[59:60], v[55:56]
	v_fma_f64 v[55:56], -v[49:50], v[51:52], 1.0
	v_fma_f64 v[51:52], v[51:52], v[55:56], v[51:52]
	v_mul_f64 v[55:56], v[53:54], v[51:52]
	v_fma_f64 v[49:50], -v[49:50], v[55:56], v[53:54]
	v_div_fmas_f64 v[49:50], v[49:50], v[51:52], v[55:56]
	v_div_fixup_f64 v[47:48], v[49:50], v[47:48], 1.0
	s_waitcnt vmcnt(7)
	v_mul_f64 v[67:68], v[47:48], v[61:62]
	s_waitcnt vmcnt(6)
	v_mul_f64 v[61:62], v[47:48], v[63:64]
	;; [unrolled: 2-line block ×5, first 2 shown]
	v_mul_f64 v[51:52], v[47:48], v[43:44]
	s_waitcnt vmcnt(2)
	v_mul_f64 v[43:44], v[47:48], v[97:98]
	v_mul_f64 v[57:58], v[47:48], v[35:36]
	s_waitcnt vmcnt(1)
	v_mul_f64 v[35:36], v[47:48], v[99:100]
	;; [unrolled: 3-line block ×3, first 2 shown]
	v_mul_f64 v[59:60], v[47:48], v[33:34]
	v_mul_f64 v[49:50], v[47:48], v[37:38]
	;; [unrolled: 1-line block ×21, first 2 shown]
	v_fma_f64 v[41:42], v[5:6], v[65:66], -v[41:42]
	v_fma_f64 v[45:46], v[5:6], v[59:60], -v[45:46]
	;; [unrolled: 1-line block ×16, first 2 shown]
	global_store_dwordx2 v[15:16], v[41:42], off
	global_store_dwordx2 v[17:18], v[45:46], off
	;; [unrolled: 1-line block ×16, first 2 shown]
	s_and_saveexec_b64 s[20:21], s[2:3]
	s_cbranch_execz .LBB110_16
; %bb.15:                               ;   in Loop: Header=BB110_5 Depth=1
	v_add_u32_e32 v5, v72, v73
	v_add_u32_e32 v1, s27, v5
	v_lshlrev_b64 v[13:14], 3, v[1:2]
	v_mov_b32_e32 v23, s9
	v_add_co_u32_e32 v13, vcc, s8, v13
	v_addc_co_u32_e32 v14, vcc, v23, v14, vcc
	global_load_dwordx2 v[15:16], v[13:14], off
	v_mul_f64 v[7:8], v[7:8], v[11:12]
	v_mul_f64 v[3:4], v[3:4], v[11:12]
	v_add_u32_e32 v1, s28, v5
	v_lshlrev_b64 v[17:18], 3, v[1:2]
	v_add_u32_e32 v1, s29, v5
	v_add_co_u32_e32 v17, vcc, s8, v17
	v_addc_co_u32_e32 v18, vcc, v23, v18, vcc
	v_mul_f64 v[11:12], v[7:8], v[67:68]
	global_load_dwordx2 v[19:20], v[17:18], off
	v_mul_f64 v[21:22], v[7:8], v[63:64]
	v_ashrrev_i32_e32 v6, 31, v5
	v_fma_f64 v[11:12], v[3:4], v[65:66], -v[11:12]
	s_waitcnt vmcnt(1)
	v_add_f64 v[11:12], v[11:12], v[15:16]
	v_lshlrev_b64 v[15:16], 3, v[1:2]
	v_add_u32_e32 v1, s30, v5
	v_add_co_u32_e32 v15, vcc, s8, v15
	v_addc_co_u32_e32 v16, vcc, v23, v16, vcc
	global_store_dwordx2 v[13:14], v[11:12], off
	global_load_dwordx2 v[11:12], v[15:16], off
	v_mul_f64 v[13:14], v[7:8], v[61:62]
	v_fma_f64 v[13:14], v[3:4], v[59:60], -v[13:14]
	s_waitcnt vmcnt(2)
	v_add_f64 v[13:14], v[13:14], v[19:20]
	v_fma_f64 v[19:20], v[3:4], v[57:58], -v[21:22]
	v_lshlrev_b64 v[21:22], 3, v[1:2]
	v_add_u32_e32 v1, s31, v5
	v_add_co_u32_e32 v21, vcc, s8, v21
	v_addc_co_u32_e32 v22, vcc, v23, v22, vcc
	global_store_dwordx2 v[17:18], v[13:14], off
	global_load_dwordx2 v[13:14], v[21:22], off
	v_lshlrev_b64 v[17:18], 3, v[1:2]
	v_add_u32_e32 v1, s33, v5
	v_add_co_u32_e32 v17, vcc, s8, v17
	v_addc_co_u32_e32 v18, vcc, v23, v18, vcc
	s_waitcnt vmcnt(2)
	v_add_f64 v[11:12], v[19:20], v[11:12]
	v_mul_f64 v[19:20], v[7:8], v[55:56]
	global_store_dwordx2 v[15:16], v[11:12], off
	global_load_dwordx2 v[11:12], v[17:18], off
	v_mul_f64 v[15:16], v[7:8], v[53:54]
	v_fma_f64 v[19:20], v[3:4], v[51:52], -v[19:20]
	v_fma_f64 v[15:16], v[3:4], v[49:50], -v[15:16]
	s_waitcnt vmcnt(2)
	v_add_f64 v[13:14], v[15:16], v[13:14]
	v_lshlrev_b64 v[15:16], 3, v[1:2]
	v_add_u32_e32 v1, s34, v5
	v_add_co_u32_e32 v15, vcc, s8, v15
	v_addc_co_u32_e32 v16, vcc, v23, v16, vcc
	s_waitcnt vmcnt(0)
	v_add_f64 v[11:12], v[19:20], v[11:12]
	global_store_dwordx2 v[21:22], v[13:14], off
	global_store_dwordx2 v[17:18], v[11:12], off
	global_load_dwordx2 v[11:12], v[15:16], off
	v_mul_f64 v[13:14], v[7:8], v[43:44]
	v_mov_b32_e32 v17, s15
	v_fma_f64 v[13:14], v[3:4], v[39:40], -v[13:14]
	s_waitcnt vmcnt(0)
	v_add_f64 v[11:12], v[13:14], v[11:12]
	v_lshlrev_b64 v[13:14], 3, v[1:2]
	v_add_u32_e32 v1, s35, v5
	v_add_co_u32_e32 v13, vcc, s8, v13
	v_addc_co_u32_e32 v14, vcc, v23, v14, vcc
	global_store_dwordx2 v[15:16], v[11:12], off
	global_load_dwordx2 v[11:12], v[13:14], off
	v_mul_f64 v[15:16], v[7:8], v[35:36]
	v_fma_f64 v[15:16], v[3:4], v[37:38], -v[15:16]
	s_waitcnt vmcnt(0)
	v_add_f64 v[11:12], v[15:16], v[11:12]
	v_lshlrev_b64 v[15:16], 3, v[5:6]
	v_lshlrev_b64 v[5:6], 3, v[1:2]
	v_add_co_u32_e32 v5, vcc, s8, v5
	v_addc_co_u32_e32 v6, vcc, v23, v6, vcc
	global_store_dwordx2 v[13:14], v[11:12], off
	v_add_co_u32_e32 v13, vcc, s14, v15
	v_addc_co_u32_e32 v14, vcc, v17, v16, vcc
	global_load_dwordx2 v[11:12], v[5:6], off
	v_mul_f64 v[15:16], v[7:8], v[31:32]
	global_load_dwordx2 v[13:14], v[13:14], off
	v_mul_f64 v[7:8], v[9:10], v[7:8]
	v_fma_f64 v[3:4], v[3:4], v[33:34], -v[15:16]
	s_waitcnt vmcnt(1)
	v_add_f64 v[3:4], v[3:4], v[11:12]
	s_waitcnt vmcnt(0)
	v_fma_f64 v[69:70], -v[47:48], v[7:8], v[13:14]
	global_store_dwordx2 v[5:6], v[3:4], off
.LBB110_16:                             ;   in Loop: Header=BB110_5 Depth=1
	s_or_b64 exec, exec, s[20:21]
	v_mov_b32_e32 v7, v69
	v_mov_b32_e32 v8, v70
                                        ; implicit-def: $vgpr3_vgpr4
                                        ; implicit-def: $vgpr5_vgpr6
                                        ; implicit-def: $vgpr47_vgpr48
                                        ; implicit-def: $vgpr15_vgpr16
                                        ; implicit-def: $vgpr31_vgpr32
                                        ; implicit-def: $vgpr17_vgpr18
                                        ; implicit-def: $vgpr33_vgpr34
                                        ; implicit-def: $vgpr19_vgpr20
                                        ; implicit-def: $vgpr35_vgpr36
                                        ; implicit-def: $vgpr21_vgpr22
                                        ; implicit-def: $vgpr37_vgpr38
                                        ; implicit-def: $vgpr23_vgpr24
                                        ; implicit-def: $vgpr43_vgpr44
                                        ; implicit-def: $vgpr25_vgpr26
                                        ; implicit-def: $vgpr39_vgpr40
                                        ; implicit-def: $vgpr27_vgpr28
                                        ; implicit-def: $vgpr41_vgpr42
                                        ; implicit-def: $vgpr29_vgpr30
                                        ; implicit-def: $vgpr45_vgpr46
.LBB110_17:                             ;   in Loop: Header=BB110_5 Depth=1
	s_or_saveexec_b64 s[2:3], s[4:5]
	v_mov_b32_e32 v1, s26
	s_xor_b64 exec, exec, s[2:3]
	s_cbranch_execz .LBB110_4
; %bb.18:                               ;   in Loop: Header=BB110_5 Depth=1
	v_div_scale_f64 v[9:10], s[4:5], v[7:8], v[7:8], 1.0
	v_rcp_f64_e32 v[11:12], v[9:10]
	v_fma_f64 v[13:14], -v[9:10], v[11:12], 1.0
	v_fma_f64 v[11:12], v[11:12], v[13:14], v[11:12]
	v_div_scale_f64 v[13:14], vcc, 1.0, v[7:8], 1.0
	v_fma_f64 v[49:50], -v[9:10], v[11:12], 1.0
	v_fma_f64 v[11:12], v[11:12], v[49:50], v[11:12]
	v_mul_f64 v[49:50], v[13:14], v[11:12]
	v_fma_f64 v[9:10], -v[9:10], v[49:50], v[13:14]
	v_div_fmas_f64 v[9:10], v[9:10], v[11:12], v[49:50]
	v_div_fixup_f64 v[7:8], v[9:10], v[7:8], 1.0
	s_waitcnt vmcnt(7)
	v_mul_f64 v[51:52], v[7:8], v[31:32]
	s_waitcnt vmcnt(6)
	v_mul_f64 v[49:50], v[7:8], v[33:34]
	;; [unrolled: 2-line block ×8, first 2 shown]
	global_store_dwordx2 v[15:16], v[51:52], off
	global_store_dwordx2 v[17:18], v[49:50], off
	;; [unrolled: 1-line block ×8, first 2 shown]
	s_and_saveexec_b64 s[4:5], s[0:1]
	s_cbranch_execz .LBB110_3
; %bb.19:                               ;   in Loop: Header=BB110_5 Depth=1
	v_add_u32_e32 v25, v71, v73
	v_add_u32_e32 v1, s27, v25
	v_lshlrev_b64 v[15:16], 3, v[1:2]
	v_mov_b32_e32 v26, s9
	v_add_co_u32_e32 v15, vcc, s8, v15
	v_addc_co_u32_e32 v16, vcc, v26, v16, vcc
	global_load_dwordx2 v[17:18], v[15:16], off
	v_add_u32_e32 v1, s28, v25
	v_lshlrev_b64 v[19:20], 3, v[1:2]
	v_add_u32_e32 v1, s29, v25
	v_add_co_u32_e32 v19, vcc, s8, v19
	v_addc_co_u32_e32 v20, vcc, v26, v20, vcc
	global_load_dwordx2 v[21:22], v[19:20], off
	v_lshlrev_b64 v[23:24], 3, v[1:2]
	v_add_u32_e32 v1, s30, v25
	v_add_co_u32_e32 v23, vcc, s8, v23
	v_addc_co_u32_e32 v24, vcc, v26, v24, vcc
	s_waitcnt vmcnt(1)
	v_fma_f64 v[17:18], -v[3:4], v[51:52], v[17:18]
	global_store_dwordx2 v[15:16], v[17:18], off
	global_load_dwordx2 v[15:16], v[23:24], off
	s_waitcnt vmcnt(2)
	v_fma_f64 v[17:18], -v[3:4], v[49:50], v[21:22]
	v_lshlrev_b64 v[21:22], 3, v[1:2]
	v_add_u32_e32 v1, s31, v25
	v_add_co_u32_e32 v21, vcc, s8, v21
	v_addc_co_u32_e32 v22, vcc, v26, v22, vcc
	global_store_dwordx2 v[19:20], v[17:18], off
	global_load_dwordx2 v[17:18], v[21:22], off
	v_lshlrev_b64 v[19:20], 3, v[1:2]
	v_add_u32_e32 v1, s33, v25
	v_add_co_u32_e32 v19, vcc, s8, v19
	v_addc_co_u32_e32 v20, vcc, v26, v20, vcc
	s_waitcnt vmcnt(2)
	v_fma_f64 v[15:16], -v[3:4], v[35:36], v[15:16]
	global_store_dwordx2 v[23:24], v[15:16], off
	global_load_dwordx2 v[15:16], v[19:20], off
	s_waitcnt vmcnt(2)
	v_fma_f64 v[17:18], -v[3:4], v[31:32], v[17:18]
	v_lshlrev_b64 v[23:24], 3, v[1:2]
	v_add_u32_e32 v1, s34, v25
	v_add_co_u32_e32 v23, vcc, s8, v23
	v_addc_co_u32_e32 v24, vcc, v26, v24, vcc
	s_waitcnt vmcnt(0)
	v_fma_f64 v[15:16], -v[3:4], v[33:34], v[15:16]
	global_store_dwordx2 v[21:22], v[17:18], off
	global_store_dwordx2 v[19:20], v[15:16], off
	global_load_dwordx2 v[15:16], v[23:24], off
	s_waitcnt vmcnt(0)
	v_fma_f64 v[13:14], -v[3:4], v[13:14], v[15:16]
	v_lshlrev_b64 v[15:16], 3, v[1:2]
	v_add_u32_e32 v1, s35, v25
	v_add_co_u32_e32 v15, vcc, s8, v15
	v_addc_co_u32_e32 v16, vcc, v26, v16, vcc
	global_store_dwordx2 v[23:24], v[13:14], off
	global_load_dwordx2 v[13:14], v[15:16], off
	s_waitcnt vmcnt(0)
	v_fma_f64 v[11:12], -v[3:4], v[11:12], v[13:14]
	v_lshlrev_b64 v[13:14], 3, v[1:2]
	global_store_dwordx2 v[15:16], v[11:12], off
	v_add_co_u32_e32 v11, vcc, s8, v13
	v_addc_co_u32_e32 v12, vcc, v26, v14, vcc
	global_load_dwordx2 v[13:14], v[11:12], off
	s_waitcnt vmcnt(0)
	v_fma_f64 v[3:4], -v[3:4], v[9:10], v[13:14]
	global_store_dwordx2 v[11:12], v[3:4], off
	s_branch .LBB110_3
.LBB110_20:
	s_or_b64 exec, exec, s[18:19]
	s_branch .LBB110_22
.LBB110_21:
	v_mov_b32_e32 v73, 0
.LBB110_22:
	v_subrev_u32_e32 v3, s22, v73
	v_add_u32_e32 v1, v3, v0
	v_ashrrev_i32_e32 v2, 31, v1
	v_lshlrev_b64 v[1:2], 2, v[1:2]
	s_waitcnt lgkmcnt(0)
	v_mov_b32_e32 v4, s17
	v_add_co_u32_e32 v1, vcc, s16, v1
	v_addc_co_u32_e32 v2, vcc, v4, v2, vcc
	s_waitcnt vmcnt(0)
	buffer_wbinvl1_vol
	global_load_dword v1, v[1:2], off
	s_waitcnt vmcnt(0)
	v_mul_lo_u32 v1, v1, s22
	v_sub_u32_e32 v7, v3, v1
	v_cmp_lt_i32_e32 vcc, -1, v7
	s_and_b64 exec, exec, vcc
	s_cbranch_execz .LBB110_29
; %bb.23:
	s_lshl_b32 s4, s24, 3
	s_add_i32 s5, s4, s23
	s_add_i32 s6, s5, s23
	;; [unrolled: 1-line block ×7, first 2 shown]
	s_lshl_b32 s18, s22, 1
	s_mov_b64 s[0:1], 0
	v_mov_b32_e32 v8, s17
	v_mov_b32_e32 v9, s11
	;; [unrolled: 1-line block ×3, first 2 shown]
	s_branch .LBB110_25
.LBB110_24:                             ;   in Loop: Header=BB110_25 Depth=1
	s_or_b64 exec, exec, s[2:3]
	v_sub_u32_e32 v7, v7, v1
	v_cmp_gt_i32_e32 vcc, 0, v7
	s_or_b64 s[0:1], vcc, s[0:1]
	s_andn2_b64 exec, exec, s[0:1]
	s_cbranch_execz .LBB110_29
.LBB110_25:                             ; =>This Inner Loop Header: Depth=1
	v_add_u32_e32 v5, v7, v0
	v_ashrrev_i32_e32 v6, 31, v5
	s_waitcnt vmcnt(0)
	v_lshlrev_b64 v[3:4], 2, v[5:6]
	v_add_co_u32_e32 v3, vcc, s16, v3
	v_addc_co_u32_e32 v4, vcc, v8, v4, vcc
	global_load_dword v1, v[3:4], off
	v_lshlrev_b64 v[3:4], 3, v[5:6]
	v_add_co_u32_e32 v3, vcc, s10, v3
	v_addc_co_u32_e32 v4, vcc, v9, v4, vcc
	global_load_dwordx2 v[3:4], v[3:4], off
	s_waitcnt vmcnt(1)
	v_cmp_ne_u32_e32 vcc, 1, v1
	s_and_saveexec_b64 s[2:3], vcc
	s_xor_b64 s[2:3], exec, s[2:3]
	s_cbranch_execz .LBB110_27
; %bb.26:                               ;   in Loop: Header=BB110_25 Depth=1
	v_add_u32_e32 v6, v71, v7
	v_add_u32_e32 v1, s4, v6
	v_lshlrev_b64 v[10:11], 3, v[1:2]
	v_mov_b32_e32 v1, s9
	v_add_co_u32_e32 v10, vcc, s8, v10
	v_addc_co_u32_e32 v11, vcc, v1, v11, vcc
	v_add_u32_e32 v1, s5, v6
	v_lshlrev_b64 v[12:13], 3, v[1:2]
	v_add_u32_e32 v1, s6, v6
	v_lshlrev_b64 v[14:15], 3, v[1:2]
	;; [unrolled: 2-line block ×8, first 2 shown]
	v_mov_b32_e32 v1, s9
	v_add_co_u32_e32 v26, vcc, s8, v26
	v_addc_co_u32_e32 v27, vcc, v1, v27, vcc
	global_load_dwordx2 v[10:11], v[10:11], off
	v_add_co_u32_e32 v12, vcc, s8, v12
	global_load_dwordx2 v[28:29], v[26:27], off
	v_addc_co_u32_e32 v13, vcc, v1, v13, vcc
	v_mov_b32_e32 v6, s9
	v_add_co_u32_e32 v14, vcc, s8, v14
	v_addc_co_u32_e32 v15, vcc, v6, v15, vcc
	v_mov_b32_e32 v30, s9
	v_add_co_u32_e32 v16, vcc, s8, v16
	v_addc_co_u32_e32 v17, vcc, v30, v17, vcc
	v_mov_b32_e32 v36, s9
	global_load_dwordx2 v[30:31], v[12:13], off
	global_load_dwordx2 v[32:33], v[14:15], off
	;; [unrolled: 1-line block ×3, first 2 shown]
	v_add_co_u32_e32 v12, vcc, s8, v18
	v_addc_co_u32_e32 v13, vcc, v36, v19, vcc
	v_mov_b32_e32 v37, s9
	v_add_co_u32_e32 v14, vcc, s8, v20
	v_addc_co_u32_e32 v15, vcc, v37, v21, vcc
	v_mov_b32_e32 v38, s9
	v_add_co_u32_e32 v16, vcc, s8, v22
	v_addc_co_u32_e32 v17, vcc, v38, v23, vcc
	v_add_u32_e32 v1, s5, v5
	v_mov_b32_e32 v39, s9
	v_add_co_u32_e32 v18, vcc, s8, v24
	v_lshlrev_b64 v[20:21], 3, v[1:2]
	v_addc_co_u32_e32 v19, vcc, v39, v25, vcc
	v_mov_b32_e32 v40, s9
	v_add_u32_e32 v1, s6, v5
	s_waitcnt vmcnt(3)
	v_fma_f64 v[22:23], -v[3:4], v[10:11], v[28:29]
	global_load_dwordx2 v[24:25], v[12:13], off
	global_load_dwordx2 v[28:29], v[14:15], off
	;; [unrolled: 1-line block ×4, first 2 shown]
	v_add_co_u32_e32 v12, vcc, s8, v20
	v_addc_co_u32_e32 v13, vcc, v40, v21, vcc
	v_lshlrev_b64 v[16:17], 3, v[1:2]
	v_add_u32_e32 v1, s7, v5
	global_store_dwordx2 v[26:27], v[22:23], off
	global_load_dwordx2 v[14:15], v[12:13], off
	v_add_co_u32_e32 v16, vcc, s8, v16
	v_addc_co_u32_e32 v17, vcc, v6, v17, vcc
	s_waitcnt vmcnt(0)
	v_fma_f64 v[14:15], -v[3:4], v[30:31], v[14:15]
	global_store_dwordx2 v[12:13], v[14:15], off
	global_load_dwordx2 v[12:13], v[16:17], off
	v_lshlrev_b64 v[14:15], 3, v[1:2]
	v_add_u32_e32 v1, s12, v5
	v_add_co_u32_e32 v14, vcc, s8, v14
	v_addc_co_u32_e32 v15, vcc, v6, v15, vcc
	s_waitcnt vmcnt(0)
	v_fma_f64 v[12:13], -v[3:4], v[32:33], v[12:13]
	global_store_dwordx2 v[16:17], v[12:13], off
	global_load_dwordx2 v[12:13], v[14:15], off
	v_lshlrev_b64 v[16:17], 3, v[1:2]
	v_add_u32_e32 v1, s13, v5
	;; [unrolled: 8-line block ×4, first 2 shown]
	v_add_co_u32_e32 v16, vcc, s8, v16
	v_addc_co_u32_e32 v17, vcc, v6, v17, vcc
	v_lshlrev_b64 v[5:6], 3, v[1:2]
	v_subrev_u32_e32 v1, s22, v7
	v_add_co_u32_e32 v5, vcc, s8, v5
	s_waitcnt vmcnt(0)
	v_fma_f64 v[12:13], -v[3:4], v[28:29], v[12:13]
	global_store_dwordx2 v[14:15], v[12:13], off
	global_load_dwordx2 v[12:13], v[16:17], off
	v_mov_b32_e32 v14, s9
	v_addc_co_u32_e32 v6, vcc, v14, v6, vcc
	v_add_u32_e32 v14, v1, v0
	v_ashrrev_i32_e32 v15, 31, v14
	v_add_u32_e32 v1, s4, v14
	s_waitcnt vmcnt(0)
	v_fma_f64 v[12:13], -v[3:4], v[36:37], v[12:13]
	global_store_dwordx2 v[16:17], v[12:13], off
	global_load_dwordx2 v[12:13], v[5:6], off
	v_lshlrev_b64 v[15:16], 3, v[14:15]
	v_mov_b32_e32 v17, s9
	v_add_co_u32_e32 v15, vcc, s10, v15
	v_addc_co_u32_e32 v16, vcc, v9, v16, vcc
	s_waitcnt vmcnt(0)
	v_fma_f64 v[3:4], -v[3:4], v[38:39], v[12:13]
	global_load_dwordx2 v[12:13], v[15:16], off
	v_lshlrev_b64 v[15:16], 3, v[1:2]
	v_add_u32_e32 v1, s5, v14
	v_add_co_u32_e32 v15, vcc, s8, v15
	v_addc_co_u32_e32 v16, vcc, v17, v16, vcc
	global_store_dwordx2 v[5:6], v[3:4], off
	global_load_dwordx2 v[3:4], v[15:16], off
	v_lshlrev_b64 v[5:6], 3, v[1:2]
	v_add_u32_e32 v1, s6, v14
	v_add_co_u32_e32 v5, vcc, s8, v5
	s_waitcnt vmcnt(0)
	v_fma_f64 v[3:4], -v[12:13], v[10:11], v[3:4]
	v_mov_b32_e32 v10, s9
	v_addc_co_u32_e32 v6, vcc, v10, v6, vcc
	v_lshlrev_b64 v[10:11], 3, v[1:2]
	v_add_u32_e32 v1, s7, v14
	v_add_co_u32_e32 v10, vcc, s8, v10
	global_store_dwordx2 v[15:16], v[3:4], off
	global_load_dwordx2 v[3:4], v[5:6], off
	v_mov_b32_e32 v15, s9
	v_addc_co_u32_e32 v11, vcc, v15, v11, vcc
	s_waitcnt vmcnt(0)
	v_fma_f64 v[3:4], -v[12:13], v[30:31], v[3:4]
	global_store_dwordx2 v[5:6], v[3:4], off
	global_load_dwordx2 v[3:4], v[10:11], off
	v_lshlrev_b64 v[5:6], 3, v[1:2]
	v_add_u32_e32 v1, s12, v14
	v_add_co_u32_e32 v5, vcc, s8, v5
	v_addc_co_u32_e32 v6, vcc, v15, v6, vcc
	s_waitcnt vmcnt(0)
	v_fma_f64 v[3:4], -v[12:13], v[32:33], v[3:4]
	global_store_dwordx2 v[10:11], v[3:4], off
	global_load_dwordx2 v[3:4], v[5:6], off
	v_lshlrev_b64 v[10:11], 3, v[1:2]
	v_add_u32_e32 v1, s13, v14
	v_add_co_u32_e32 v10, vcc, s8, v10
	;; [unrolled: 8-line block ×4, first 2 shown]
	v_addc_co_u32_e32 v11, vcc, v15, v11, vcc
	s_waitcnt vmcnt(0)
	v_fma_f64 v[3:4], -v[12:13], v[28:29], v[3:4]
	global_store_dwordx2 v[5:6], v[3:4], off
	global_load_dwordx2 v[3:4], v[10:11], off
	v_lshlrev_b64 v[5:6], 3, v[1:2]
	s_waitcnt vmcnt(0)
	v_fma_f64 v[3:4], -v[12:13], v[36:37], v[3:4]
	global_store_dwordx2 v[10:11], v[3:4], off
	v_add_co_u32_e32 v3, vcc, s8, v5
	v_addc_co_u32_e32 v4, vcc, v15, v6, vcc
	global_load_dwordx2 v[5:6], v[3:4], off
	s_waitcnt vmcnt(0)
	v_fma_f64 v[5:6], -v[12:13], v[38:39], v[5:6]
	global_store_dwordx2 v[3:4], v[5:6], off
                                        ; implicit-def: $vgpr5
                                        ; implicit-def: $vgpr3_vgpr4
.LBB110_27:                             ;   in Loop: Header=BB110_25 Depth=1
	s_or_saveexec_b64 s[2:3], s[2:3]
	v_mov_b32_e32 v1, s18
	s_xor_b64 exec, exec, s[2:3]
	s_cbranch_execz .LBB110_24
; %bb.28:                               ;   in Loop: Header=BB110_25 Depth=1
	v_add_u32_e32 v6, v71, v7
	v_add_u32_e32 v1, s4, v6
	v_lshlrev_b64 v[10:11], 3, v[1:2]
	v_mov_b32_e32 v1, s9
	v_add_co_u32_e32 v10, vcc, s8, v10
	v_addc_co_u32_e32 v11, vcc, v1, v11, vcc
	v_add_u32_e32 v1, s4, v5
	v_lshlrev_b64 v[12:13], 3, v[1:2]
	v_mov_b32_e32 v1, s9
	v_add_co_u32_e32 v12, vcc, s8, v12
	v_addc_co_u32_e32 v13, vcc, v1, v13, vcc
	global_load_dwordx2 v[14:15], v[10:11], off
	global_load_dwordx2 v[16:17], v[12:13], off
	v_add_u32_e32 v1, s5, v6
	v_lshlrev_b64 v[10:11], 3, v[1:2]
	v_add_u32_e32 v1, s5, v5
	v_mov_b32_e32 v20, s9
	v_lshlrev_b64 v[18:19], 3, v[1:2]
	v_add_co_u32_e32 v10, vcc, s8, v10
	v_addc_co_u32_e32 v11, vcc, v20, v11, vcc
	v_mov_b32_e32 v21, s9
	v_add_u32_e32 v1, s6, v6
	s_waitcnt vmcnt(0)
	v_fma_f64 v[14:15], -v[3:4], v[14:15], v[16:17]
	v_add_co_u32_e32 v16, vcc, s8, v18
	v_addc_co_u32_e32 v17, vcc, v21, v19, vcc
	global_store_dwordx2 v[12:13], v[14:15], off
	global_load_dwordx2 v[12:13], v[10:11], off
	s_nop 0
	global_load_dwordx2 v[14:15], v[16:17], off
	v_lshlrev_b64 v[10:11], 3, v[1:2]
	v_add_u32_e32 v1, s6, v5
	v_lshlrev_b64 v[18:19], 3, v[1:2]
	v_add_co_u32_e32 v10, vcc, s8, v10
	v_addc_co_u32_e32 v11, vcc, v20, v11, vcc
	v_add_u32_e32 v1, s7, v6
	s_waitcnt vmcnt(0)
	v_fma_f64 v[12:13], -v[3:4], v[12:13], v[14:15]
	v_add_co_u32_e32 v14, vcc, s8, v18
	v_addc_co_u32_e32 v15, vcc, v21, v19, vcc
	global_store_dwordx2 v[16:17], v[12:13], off
	global_load_dwordx2 v[12:13], v[10:11], off
	s_nop 0
	global_load_dwordx2 v[16:17], v[14:15], off
	v_lshlrev_b64 v[10:11], 3, v[1:2]
	v_add_u32_e32 v1, s7, v5
	v_lshlrev_b64 v[18:19], 3, v[1:2]
	v_add_co_u32_e32 v10, vcc, s8, v10
	v_addc_co_u32_e32 v11, vcc, v20, v11, vcc
	;; [unrolled: 14-line block ×5, first 2 shown]
	v_add_u32_e32 v1, s15, v6
	s_waitcnt vmcnt(0)
	v_fma_f64 v[12:13], -v[3:4], v[12:13], v[14:15]
	v_add_co_u32_e32 v14, vcc, s8, v18
	v_addc_co_u32_e32 v15, vcc, v21, v19, vcc
	v_mov_b32_e32 v18, s9
	v_mov_b32_e32 v19, s9
	global_store_dwordx2 v[16:17], v[12:13], off
	global_load_dwordx2 v[12:13], v[10:11], off
	s_nop 0
	global_load_dwordx2 v[16:17], v[14:15], off
	v_lshlrev_b64 v[10:11], 3, v[1:2]
	v_add_u32_e32 v1, s15, v5
	v_lshlrev_b64 v[5:6], 3, v[1:2]
	v_add_co_u32_e32 v10, vcc, s8, v10
	v_addc_co_u32_e32 v11, vcc, v18, v11, vcc
	v_add_co_u32_e32 v5, vcc, s8, v5
	v_addc_co_u32_e32 v6, vcc, v19, v6, vcc
	v_mov_b32_e32 v1, s22
	s_waitcnt vmcnt(0)
	v_fma_f64 v[12:13], -v[3:4], v[12:13], v[16:17]
	global_store_dwordx2 v[14:15], v[12:13], off
	global_load_dwordx2 v[12:13], v[10:11], off
	s_nop 0
	global_load_dwordx2 v[14:15], v[5:6], off
	s_waitcnt vmcnt(0)
	v_fma_f64 v[3:4], -v[3:4], v[12:13], v[14:15]
	global_store_dwordx2 v[5:6], v[3:4], off
	s_branch .LBB110_24
.LBB110_29:
	s_endpgm
	.section	.rodata,"a",@progbits
	.p2align	6, 0x0
	.amdhsa_kernel _ZN9rocsparseL19gtsv_LBM_rhs_kernelILj256ELj4ELj8EdEEviiiPKT2_S3_S3_PS1_S3_PKi
		.amdhsa_group_segment_fixed_size 0
		.amdhsa_private_segment_fixed_size 0
		.amdhsa_kernarg_size 64
		.amdhsa_user_sgpr_count 6
		.amdhsa_user_sgpr_private_segment_buffer 1
		.amdhsa_user_sgpr_dispatch_ptr 0
		.amdhsa_user_sgpr_queue_ptr 0
		.amdhsa_user_sgpr_kernarg_segment_ptr 1
		.amdhsa_user_sgpr_dispatch_id 0
		.amdhsa_user_sgpr_flat_scratch_init 0
		.amdhsa_user_sgpr_private_segment_size 0
		.amdhsa_uses_dynamic_stack 0
		.amdhsa_system_sgpr_private_segment_wavefront_offset 0
		.amdhsa_system_sgpr_workgroup_id_x 1
		.amdhsa_system_sgpr_workgroup_id_y 1
		.amdhsa_system_sgpr_workgroup_id_z 0
		.amdhsa_system_sgpr_workgroup_info 0
		.amdhsa_system_vgpr_workitem_id 0
		.amdhsa_next_free_vgpr 117
		.amdhsa_next_free_sgpr 36
		.amdhsa_reserve_vcc 1
		.amdhsa_reserve_flat_scratch 0
		.amdhsa_float_round_mode_32 0
		.amdhsa_float_round_mode_16_64 0
		.amdhsa_float_denorm_mode_32 3
		.amdhsa_float_denorm_mode_16_64 3
		.amdhsa_dx10_clamp 1
		.amdhsa_ieee_mode 1
		.amdhsa_fp16_overflow 0
		.amdhsa_exception_fp_ieee_invalid_op 0
		.amdhsa_exception_fp_denorm_src 0
		.amdhsa_exception_fp_ieee_div_zero 0
		.amdhsa_exception_fp_ieee_overflow 0
		.amdhsa_exception_fp_ieee_underflow 0
		.amdhsa_exception_fp_ieee_inexact 0
		.amdhsa_exception_int_div_zero 0
	.end_amdhsa_kernel
	.section	.text._ZN9rocsparseL19gtsv_LBM_rhs_kernelILj256ELj4ELj8EdEEviiiPKT2_S3_S3_PS1_S3_PKi,"axG",@progbits,_ZN9rocsparseL19gtsv_LBM_rhs_kernelILj256ELj4ELj8EdEEviiiPKT2_S3_S3_PS1_S3_PKi,comdat
.Lfunc_end110:
	.size	_ZN9rocsparseL19gtsv_LBM_rhs_kernelILj256ELj4ELj8EdEEviiiPKT2_S3_S3_PS1_S3_PKi, .Lfunc_end110-_ZN9rocsparseL19gtsv_LBM_rhs_kernelILj256ELj4ELj8EdEEviiiPKT2_S3_S3_PS1_S3_PKi
                                        ; -- End function
	.set _ZN9rocsparseL19gtsv_LBM_rhs_kernelILj256ELj4ELj8EdEEviiiPKT2_S3_S3_PS1_S3_PKi.num_vgpr, 117
	.set _ZN9rocsparseL19gtsv_LBM_rhs_kernelILj256ELj4ELj8EdEEviiiPKT2_S3_S3_PS1_S3_PKi.num_agpr, 0
	.set _ZN9rocsparseL19gtsv_LBM_rhs_kernelILj256ELj4ELj8EdEEviiiPKT2_S3_S3_PS1_S3_PKi.numbered_sgpr, 36
	.set _ZN9rocsparseL19gtsv_LBM_rhs_kernelILj256ELj4ELj8EdEEviiiPKT2_S3_S3_PS1_S3_PKi.num_named_barrier, 0
	.set _ZN9rocsparseL19gtsv_LBM_rhs_kernelILj256ELj4ELj8EdEEviiiPKT2_S3_S3_PS1_S3_PKi.private_seg_size, 0
	.set _ZN9rocsparseL19gtsv_LBM_rhs_kernelILj256ELj4ELj8EdEEviiiPKT2_S3_S3_PS1_S3_PKi.uses_vcc, 1
	.set _ZN9rocsparseL19gtsv_LBM_rhs_kernelILj256ELj4ELj8EdEEviiiPKT2_S3_S3_PS1_S3_PKi.uses_flat_scratch, 0
	.set _ZN9rocsparseL19gtsv_LBM_rhs_kernelILj256ELj4ELj8EdEEviiiPKT2_S3_S3_PS1_S3_PKi.has_dyn_sized_stack, 0
	.set _ZN9rocsparseL19gtsv_LBM_rhs_kernelILj256ELj4ELj8EdEEviiiPKT2_S3_S3_PS1_S3_PKi.has_recursion, 0
	.set _ZN9rocsparseL19gtsv_LBM_rhs_kernelILj256ELj4ELj8EdEEviiiPKT2_S3_S3_PS1_S3_PKi.has_indirect_call, 0
	.section	.AMDGPU.csdata,"",@progbits
; Kernel info:
; codeLenInByte = 4980
; TotalNumSgprs: 40
; NumVgprs: 117
; ScratchSize: 0
; MemoryBound: 0
; FloatMode: 240
; IeeeMode: 1
; LDSByteSize: 0 bytes/workgroup (compile time only)
; SGPRBlocks: 4
; VGPRBlocks: 29
; NumSGPRsForWavesPerEU: 40
; NumVGPRsForWavesPerEU: 117
; Occupancy: 2
; WaveLimiterHint : 0
; COMPUTE_PGM_RSRC2:SCRATCH_EN: 0
; COMPUTE_PGM_RSRC2:USER_SGPR: 6
; COMPUTE_PGM_RSRC2:TRAP_HANDLER: 0
; COMPUTE_PGM_RSRC2:TGID_X_EN: 1
; COMPUTE_PGM_RSRC2:TGID_Y_EN: 1
; COMPUTE_PGM_RSRC2:TGID_Z_EN: 0
; COMPUTE_PGM_RSRC2:TIDIG_COMP_CNT: 0
	.section	.text._ZN9rocsparseL19gtsv_LBM_rhs_kernelILj256ELj4ELj4EdEEviiiPKT2_S3_S3_PS1_S3_PKi,"axG",@progbits,_ZN9rocsparseL19gtsv_LBM_rhs_kernelILj256ELj4ELj4EdEEviiiPKT2_S3_S3_PS1_S3_PKi,comdat
	.globl	_ZN9rocsparseL19gtsv_LBM_rhs_kernelILj256ELj4ELj4EdEEviiiPKT2_S3_S3_PS1_S3_PKi ; -- Begin function _ZN9rocsparseL19gtsv_LBM_rhs_kernelILj256ELj4ELj4EdEEviiiPKT2_S3_S3_PS1_S3_PKi
	.p2align	8
	.type	_ZN9rocsparseL19gtsv_LBM_rhs_kernelILj256ELj4ELj4EdEEviiiPKT2_S3_S3_PS1_S3_PKi,@function
_ZN9rocsparseL19gtsv_LBM_rhs_kernelILj256ELj4ELj4EdEEviiiPKT2_S3_S3_PS1_S3_PKi: ; @_ZN9rocsparseL19gtsv_LBM_rhs_kernelILj256ELj4ELj4EdEEviiiPKT2_S3_S3_PS1_S3_PKi
; %bb.0:
	s_load_dword s23, s[4:5], 0x0
	v_lshl_or_b32 v0, s6, 8, v0
	s_waitcnt lgkmcnt(0)
	s_lshr_b32 s22, s23, 2
	v_cmp_gt_i32_e32 vcc, s22, v0
	s_and_saveexec_b64 s[0:1], vcc
	s_cbranch_execz .LBB111_29
; %bb.1:
	s_load_dwordx4 s[8:11], s[4:5], 0x28
	s_load_dwordx2 s[16:17], s[4:5], 0x38
	s_cmp_lt_i32 s23, 1
	v_add_u32_e32 v39, s22, v0
	s_mul_i32 s24, s7, s23
	s_cbranch_scc1 .LBB111_21
; %bb.2:
	s_load_dwordx4 s[12:15], s[4:5], 0x10
	s_load_dwordx2 s[6:7], s[4:5], 0x20
	v_ashrrev_i32_e32 v1, 31, v0
	v_lshlrev_b64 v[1:2], 3, v[0:1]
	s_lshl_b32 s27, s24, 2
	s_waitcnt lgkmcnt(0)
	v_mov_b32_e32 v3, s15
	v_add_co_u32_e32 v1, vcc, s14, v1
	v_addc_co_u32_e32 v2, vcc, v3, v2, vcc
	global_load_dwordx2 v[5:6], v[1:2], off
	s_add_i32 s28, s27, s23
	s_add_i32 s29, s28, s23
	s_mul_i32 s25, s22, 3
	s_lshl_b32 s26, s22, 1
	v_add_u32_e32 v41, s22, v39
	s_add_i32 s30, s29, s23
	v_mov_b32_e32 v2, 0
	s_mov_b64 s[18:19], 0
	v_mov_b32_e32 v42, s7
	v_mov_b32_e32 v40, 0
	s_branch .LBB111_5
.LBB111_3:                              ;   in Loop: Header=BB111_5 Depth=1
	s_or_b64 exec, exec, s[4:5]
	v_fma_f64 v[5:6], -v[5:6], v[29:30], v[7:8]
	v_mov_b32_e32 v1, s22
.LBB111_4:                              ;   in Loop: Header=BB111_5 Depth=1
	s_or_b64 exec, exec, s[2:3]
	v_add_u32_e32 v40, v1, v40
	v_cmp_le_i32_e32 vcc, s23, v40
	s_or_b64 s[18:19], vcc, s[18:19]
	s_andn2_b64 exec, exec, s[18:19]
	s_cbranch_execz .LBB111_20
.LBB111_5:                              ; =>This Inner Loop Header: Depth=1
	v_add_u32_e32 v15, v40, v0
	v_ashrrev_i32_e32 v16, 31, v15
	v_lshlrev_b64 v[3:4], 3, v[15:16]
	v_mov_b32_e32 v7, 0
	v_add_co_u32_e32 v3, vcc, s6, v3
	v_addc_co_u32_e32 v4, vcc, v42, v4, vcc
	global_load_dwordx2 v[13:14], v[3:4], off
	v_mov_b32_e32 v3, 0
	v_mov_b32_e32 v8, 0
	;; [unrolled: 1-line block ×3, first 2 shown]
	v_cmp_gt_u32_e64 s[0:1], s25, v40
	s_and_saveexec_b64 s[2:3], s[0:1]
	s_cbranch_execz .LBB111_7
; %bb.6:                                ;   in Loop: Header=BB111_5 Depth=1
	v_add_u32_e32 v3, v39, v40
	v_ashrrev_i32_e32 v4, 31, v3
	v_lshlrev_b64 v[3:4], 3, v[3:4]
	v_mov_b32_e32 v1, s13
	v_add_co_u32_e32 v3, vcc, s12, v3
	v_addc_co_u32_e32 v4, vcc, v1, v4, vcc
	global_load_dwordx2 v[3:4], v[3:4], off
.LBB111_7:                              ;   in Loop: Header=BB111_5 Depth=1
	s_or_b64 exec, exec, s[2:3]
	s_and_saveexec_b64 s[2:3], s[0:1]
	s_cbranch_execz .LBB111_9
; %bb.8:                                ;   in Loop: Header=BB111_5 Depth=1
	v_add_u32_e32 v7, v39, v40
	v_ashrrev_i32_e32 v8, 31, v7
	v_lshlrev_b64 v[7:8], 3, v[7:8]
	v_mov_b32_e32 v1, s15
	v_add_co_u32_e32 v7, vcc, s14, v7
	v_addc_co_u32_e32 v8, vcc, v1, v8, vcc
	global_load_dwordx2 v[7:8], v[7:8], off
.LBB111_9:                              ;   in Loop: Header=BB111_5 Depth=1
	s_or_b64 exec, exec, s[2:3]
	v_mov_b32_e32 v11, 0
	v_mov_b32_e32 v9, 0
	;; [unrolled: 1-line block ×4, first 2 shown]
	s_and_saveexec_b64 s[2:3], s[0:1]
	s_cbranch_execz .LBB111_11
; %bb.10:                               ;   in Loop: Header=BB111_5 Depth=1
	v_add_u32_e32 v9, v39, v40
	v_ashrrev_i32_e32 v10, 31, v9
	v_lshlrev_b64 v[9:10], 3, v[9:10]
	v_mov_b32_e32 v1, s7
	v_add_co_u32_e32 v9, vcc, s6, v9
	v_addc_co_u32_e32 v10, vcc, v1, v10, vcc
	global_load_dwordx2 v[9:10], v[9:10], off
.LBB111_11:                             ;   in Loop: Header=BB111_5 Depth=1
	s_or_b64 exec, exec, s[2:3]
	v_cmp_gt_u32_e64 s[2:3], s26, v40
	s_and_saveexec_b64 s[4:5], s[2:3]
	s_cbranch_execz .LBB111_13
; %bb.12:                               ;   in Loop: Header=BB111_5 Depth=1
	v_add_u32_e32 v11, v41, v40
	v_ashrrev_i32_e32 v12, 31, v11
	v_lshlrev_b64 v[11:12], 3, v[11:12]
	v_mov_b32_e32 v1, s13
	v_add_co_u32_e32 v11, vcc, s12, v11
	v_addc_co_u32_e32 v12, vcc, v1, v12, vcc
	global_load_dwordx2 v[11:12], v[11:12], off
.LBB111_13:                             ;   in Loop: Header=BB111_5 Depth=1
	s_or_b64 exec, exec, s[4:5]
	v_lshlrev_b64 v[16:17], 2, v[15:16]
	v_mov_b32_e32 v1, s17
	v_add_co_u32_e32 v16, vcc, s16, v16
	v_addc_co_u32_e32 v17, vcc, v1, v17, vcc
	global_load_dword v1, v[16:17], off
	v_cmp_ne_u32_e64 s[4:5], s25, v40
	s_waitcnt vmcnt(2)
	v_mov_b32_e32 v27, s9
	s_waitcnt vmcnt(1)
	v_mul_f64 v[29:30], v[13:14], v[3:4]
	s_waitcnt vmcnt(0)
	v_cmp_ne_u32_e32 vcc, 1, v1
	v_add_u32_e32 v1, s27, v15
	v_lshlrev_b64 v[16:17], 3, v[1:2]
	s_and_b64 s[4:5], s[4:5], vcc
	v_add_co_u32_e32 v21, vcc, s8, v16
	v_add_u32_e32 v1, s28, v15
	v_addc_co_u32_e32 v22, vcc, v27, v17, vcc
	v_lshlrev_b64 v[17:18], 3, v[1:2]
	v_add_u32_e32 v1, s29, v15
	v_add_co_u32_e32 v17, vcc, s8, v17
	v_lshlrev_b64 v[19:20], 3, v[1:2]
	v_addc_co_u32_e32 v18, vcc, v27, v18, vcc
	v_add_u32_e32 v1, s30, v15
	v_add_co_u32_e32 v19, vcc, s8, v19
	v_lshlrev_b64 v[15:16], 3, v[1:2]
	v_addc_co_u32_e32 v20, vcc, v27, v20, vcc
	v_add_co_u32_e32 v15, vcc, s8, v15
	v_addc_co_u32_e32 v16, vcc, v27, v16, vcc
	global_load_dwordx2 v[31:32], v[21:22], off
	global_load_dwordx2 v[23:24], v[17:18], off
	global_load_dwordx2 v[25:26], v[19:20], off
	global_load_dwordx2 v[27:28], v[15:16], off
	s_and_saveexec_b64 s[20:21], s[4:5]
	s_xor_b64 s[4:5], exec, s[20:21]
	s_cbranch_execz .LBB111_17
; %bb.14:                               ;   in Loop: Header=BB111_5 Depth=1
	v_fma_f64 v[29:30], v[5:6], v[7:8], -v[29:30]
	v_div_scale_f64 v[33:34], s[20:21], v[29:30], v[29:30], 1.0
	v_rcp_f64_e32 v[35:36], v[33:34]
	v_fma_f64 v[37:38], -v[33:34], v[35:36], 1.0
	v_fma_f64 v[35:36], v[35:36], v[37:38], v[35:36]
	v_fma_f64 v[37:38], -v[33:34], v[35:36], 1.0
	v_fma_f64 v[35:36], v[35:36], v[37:38], v[35:36]
	v_div_scale_f64 v[37:38], vcc, 1.0, v[29:30], 1.0
	v_mul_f64 v[43:44], v[37:38], v[35:36]
	v_fma_f64 v[33:34], -v[33:34], v[43:44], v[37:38]
	v_add_u32_e32 v37, v39, v40
	v_add_u32_e32 v1, s27, v37
	v_mov_b32_e32 v38, s9
	v_div_fmas_f64 v[33:34], v[33:34], v[35:36], v[43:44]
	v_lshlrev_b64 v[35:36], 3, v[1:2]
	v_add_u32_e32 v1, s28, v37
	v_add_co_u32_e32 v43, vcc, s8, v35
	v_addc_co_u32_e32 v44, vcc, v38, v36, vcc
	v_lshlrev_b64 v[35:36], 3, v[1:2]
	v_add_u32_e32 v1, s29, v37
	v_add_co_u32_e32 v45, vcc, s8, v35
	v_addc_co_u32_e32 v46, vcc, v38, v36, vcc
	v_lshlrev_b64 v[35:36], 3, v[1:2]
	v_add_u32_e32 v1, s30, v37
	v_add_co_u32_e32 v47, vcc, s8, v35
	v_div_fixup_f64 v[29:30], v[33:34], v[29:30], 1.0
	global_load_dwordx2 v[33:34], v[43:44], off
	v_addc_co_u32_e32 v48, vcc, v38, v36, vcc
	v_lshlrev_b64 v[35:36], 3, v[1:2]
	v_add_co_u32_e32 v49, vcc, s8, v35
	v_addc_co_u32_e32 v50, vcc, v38, v36, vcc
	global_load_dwordx2 v[37:38], v[45:46], off
	global_load_dwordx2 v[51:52], v[47:48], off
	;; [unrolled: 1-line block ×3, first 2 shown]
	s_waitcnt vmcnt(7)
	v_mul_f64 v[31:32], v[29:30], v[31:32]
	s_waitcnt vmcnt(3)
	v_mul_f64 v[35:36], v[29:30], v[33:34]
	;; [unrolled: 2-line block ×3, first 2 shown]
	v_mul_f64 v[33:34], v[13:14], v[35:36]
	v_fma_f64 v[33:34], v[7:8], v[31:32], -v[33:34]
	global_store_dwordx2 v[21:22], v[33:34], off
	v_mul_f64 v[33:34], v[29:30], v[23:24]
	v_mul_f64 v[21:22], v[13:14], v[37:38]
	v_fma_f64 v[21:22], v[7:8], v[33:34], -v[21:22]
	global_store_dwordx2 v[17:18], v[21:22], off
	s_waitcnt vmcnt(3)
	v_mul_f64 v[21:22], v[29:30], v[51:52]
	v_mul_f64 v[17:18], v[29:30], v[25:26]
	;; [unrolled: 1-line block ×3, first 2 shown]
	v_fma_f64 v[23:24], v[7:8], v[17:18], -v[23:24]
	global_store_dwordx2 v[19:20], v[23:24], off
	s_waitcnt vmcnt(3)
	v_mul_f64 v[19:20], v[29:30], v[53:54]
	v_mul_f64 v[23:24], v[29:30], v[27:28]
	;; [unrolled: 1-line block ×3, first 2 shown]
	v_fma_f64 v[7:8], v[7:8], v[23:24], -v[13:14]
	v_mul_f64 v[13:14], v[3:4], v[17:18]
	global_store_dwordx2 v[15:16], v[7:8], off
	v_mul_f64 v[7:8], v[3:4], v[31:32]
	v_fma_f64 v[13:14], v[5:6], v[21:22], -v[13:14]
	v_fma_f64 v[7:8], v[5:6], v[35:36], -v[7:8]
	global_store_dwordx2 v[43:44], v[7:8], off
	v_mul_f64 v[7:8], v[3:4], v[33:34]
	v_fma_f64 v[7:8], v[5:6], v[37:38], -v[7:8]
	global_store_dwordx2 v[45:46], v[7:8], off
	v_mul_f64 v[7:8], v[3:4], v[23:24]
	v_fma_f64 v[15:16], v[5:6], v[19:20], -v[7:8]
	v_mov_b32_e32 v7, 0
	v_mov_b32_e32 v8, 0
	global_store_dwordx2 v[47:48], v[13:14], off
	global_store_dwordx2 v[49:50], v[15:16], off
	s_and_saveexec_b64 s[20:21], s[2:3]
	s_cbranch_execz .LBB111_16
; %bb.15:                               ;   in Loop: Header=BB111_5 Depth=1
	v_add_u32_e32 v7, v41, v40
	v_add_u32_e32 v1, s27, v7
	v_lshlrev_b64 v[13:14], 3, v[1:2]
	v_add_u32_e32 v1, s28, v7
	v_mov_b32_e32 v43, s9
	v_add_co_u32_e32 v13, vcc, s8, v13
	v_lshlrev_b64 v[15:16], 3, v[1:2]
	v_addc_co_u32_e32 v14, vcc, v43, v14, vcc
	v_add_co_u32_e32 v15, vcc, s8, v15
	v_addc_co_u32_e32 v16, vcc, v43, v16, vcc
	global_load_dwordx2 v[25:26], v[13:14], off
	global_load_dwordx2 v[27:28], v[15:16], off
	v_mul_f64 v[5:6], v[5:6], v[11:12]
	v_mul_f64 v[3:4], v[3:4], v[11:12]
	v_add_u32_e32 v1, s29, v7
	v_ashrrev_i32_e32 v8, 31, v7
	v_mul_f64 v[11:12], v[5:6], v[35:36]
	v_mul_f64 v[35:36], v[5:6], v[37:38]
	v_mov_b32_e32 v37, s15
	v_mul_f64 v[19:20], v[5:6], v[19:20]
	v_fma_f64 v[11:12], v[3:4], v[31:32], -v[11:12]
	v_fma_f64 v[31:32], v[3:4], v[33:34], -v[35:36]
	v_lshlrev_b64 v[35:36], 3, v[1:2]
	v_add_u32_e32 v1, s30, v7
	v_lshlrev_b64 v[33:34], 3, v[7:8]
	v_lshlrev_b64 v[7:8], 3, v[1:2]
	s_waitcnt vmcnt(1)
	v_add_f64 v[11:12], v[11:12], v[25:26]
	s_waitcnt vmcnt(0)
	v_add_f64 v[25:26], v[31:32], v[27:28]
	v_add_co_u32_e32 v27, vcc, s8, v35
	v_addc_co_u32_e32 v28, vcc, v43, v36, vcc
	v_add_co_u32_e32 v31, vcc, s8, v7
	v_addc_co_u32_e32 v32, vcc, v43, v8, vcc
	global_store_dwordx2 v[13:14], v[11:12], off
	global_store_dwordx2 v[15:16], v[25:26], off
	v_add_co_u32_e32 v13, vcc, s14, v33
	v_addc_co_u32_e32 v14, vcc, v37, v34, vcc
	global_load_dwordx2 v[7:8], v[27:28], off
	global_load_dwordx2 v[11:12], v[31:32], off
	v_mul_f64 v[15:16], v[5:6], v[21:22]
	global_load_dwordx2 v[13:14], v[13:14], off
	v_mul_f64 v[5:6], v[9:10], v[5:6]
	v_fma_f64 v[15:16], v[3:4], v[17:18], -v[15:16]
	v_fma_f64 v[3:4], v[3:4], v[23:24], -v[19:20]
	s_waitcnt vmcnt(2)
	v_add_f64 v[9:10], v[15:16], v[7:8]
	s_waitcnt vmcnt(1)
	v_add_f64 v[3:4], v[3:4], v[11:12]
	global_store_dwordx2 v[27:28], v[9:10], off
	global_store_dwordx2 v[31:32], v[3:4], off
	s_waitcnt vmcnt(2)
	v_fma_f64 v[7:8], -v[29:30], v[5:6], v[13:14]
.LBB111_16:                             ;   in Loop: Header=BB111_5 Depth=1
	s_or_b64 exec, exec, s[20:21]
	v_mov_b32_e32 v5, v7
	v_mov_b32_e32 v6, v8
                                        ; implicit-def: $vgpr3_vgpr4
                                        ; implicit-def: $vgpr7_vgpr8
                                        ; implicit-def: $vgpr29_vgpr30
                                        ; implicit-def: $vgpr21_vgpr22
                                        ; implicit-def: $vgpr31_vgpr32
                                        ; implicit-def: $vgpr17_vgpr18
                                        ; implicit-def: $vgpr23_vgpr24
                                        ; implicit-def: $vgpr19_vgpr20
                                        ; implicit-def: $vgpr25_vgpr26
                                        ; implicit-def: $vgpr15_vgpr16
                                        ; implicit-def: $vgpr27_vgpr28
.LBB111_17:                             ;   in Loop: Header=BB111_5 Depth=1
	s_or_saveexec_b64 s[2:3], s[4:5]
	v_mov_b32_e32 v1, s26
	s_xor_b64 exec, exec, s[2:3]
	s_cbranch_execz .LBB111_4
; %bb.18:                               ;   in Loop: Header=BB111_5 Depth=1
	v_div_scale_f64 v[9:10], s[4:5], v[5:6], v[5:6], 1.0
	v_rcp_f64_e32 v[11:12], v[9:10]
	v_fma_f64 v[13:14], -v[9:10], v[11:12], 1.0
	v_fma_f64 v[11:12], v[11:12], v[13:14], v[11:12]
	v_div_scale_f64 v[13:14], vcc, 1.0, v[5:6], 1.0
	v_fma_f64 v[33:34], -v[9:10], v[11:12], 1.0
	v_fma_f64 v[11:12], v[11:12], v[33:34], v[11:12]
	v_mul_f64 v[33:34], v[13:14], v[11:12]
	v_fma_f64 v[9:10], -v[9:10], v[33:34], v[13:14]
	v_div_fmas_f64 v[9:10], v[9:10], v[11:12], v[33:34]
	v_div_fixup_f64 v[5:6], v[9:10], v[5:6], 1.0
	s_waitcnt vmcnt(3)
	v_mul_f64 v[13:14], v[5:6], v[31:32]
	s_waitcnt vmcnt(2)
	v_mul_f64 v[23:24], v[5:6], v[23:24]
	;; [unrolled: 2-line block ×4, first 2 shown]
	global_store_dwordx2 v[21:22], v[13:14], off
	global_store_dwordx2 v[17:18], v[23:24], off
	;; [unrolled: 1-line block ×4, first 2 shown]
	s_and_saveexec_b64 s[4:5], s[0:1]
	s_cbranch_execz .LBB111_3
; %bb.19:                               ;   in Loop: Header=BB111_5 Depth=1
	v_add_u32_e32 v27, v39, v40
	v_add_u32_e32 v1, s27, v27
	v_lshlrev_b64 v[15:16], 3, v[1:2]
	v_add_u32_e32 v1, s28, v27
	v_mov_b32_e32 v31, s9
	v_add_co_u32_e32 v15, vcc, s8, v15
	v_lshlrev_b64 v[17:18], 3, v[1:2]
	v_addc_co_u32_e32 v16, vcc, v31, v16, vcc
	v_add_co_u32_e32 v17, vcc, s8, v17
	v_addc_co_u32_e32 v18, vcc, v31, v18, vcc
	global_load_dwordx2 v[19:20], v[15:16], off
	global_load_dwordx2 v[21:22], v[17:18], off
	v_add_u32_e32 v1, s29, v27
	v_lshlrev_b64 v[25:26], 3, v[1:2]
	v_add_u32_e32 v1, s30, v27
	v_lshlrev_b64 v[27:28], 3, v[1:2]
	s_waitcnt vmcnt(1)
	v_fma_f64 v[13:14], -v[3:4], v[13:14], v[19:20]
	s_waitcnt vmcnt(0)
	v_fma_f64 v[19:20], -v[3:4], v[23:24], v[21:22]
	v_add_co_u32_e32 v21, vcc, s8, v25
	v_addc_co_u32_e32 v22, vcc, v31, v26, vcc
	v_add_co_u32_e32 v23, vcc, s8, v27
	global_store_dwordx2 v[15:16], v[13:14], off
	global_store_dwordx2 v[17:18], v[19:20], off
	v_addc_co_u32_e32 v24, vcc, v31, v28, vcc
	global_load_dwordx2 v[13:14], v[21:22], off
	global_load_dwordx2 v[15:16], v[23:24], off
	s_waitcnt vmcnt(1)
	v_fma_f64 v[9:10], -v[3:4], v[9:10], v[13:14]
	s_waitcnt vmcnt(0)
	v_fma_f64 v[3:4], -v[3:4], v[11:12], v[15:16]
	global_store_dwordx2 v[21:22], v[9:10], off
	global_store_dwordx2 v[23:24], v[3:4], off
	s_branch .LBB111_3
.LBB111_20:
	s_or_b64 exec, exec, s[18:19]
	s_branch .LBB111_22
.LBB111_21:
	v_mov_b32_e32 v40, 0
.LBB111_22:
	v_subrev_u32_e32 v3, s22, v40
	v_add_u32_e32 v1, v3, v0
	v_ashrrev_i32_e32 v2, 31, v1
	v_lshlrev_b64 v[1:2], 2, v[1:2]
	s_waitcnt lgkmcnt(0)
	v_mov_b32_e32 v4, s17
	v_add_co_u32_e32 v1, vcc, s16, v1
	v_addc_co_u32_e32 v2, vcc, v4, v2, vcc
	s_waitcnt vmcnt(0)
	buffer_wbinvl1_vol
	global_load_dword v1, v[1:2], off
	s_waitcnt vmcnt(0)
	v_mul_lo_u32 v1, v1, s22
	v_sub_u32_e32 v7, v3, v1
	v_cmp_lt_i32_e32 vcc, -1, v7
	s_and_b64 exec, exec, vcc
	s_cbranch_execz .LBB111_29
; %bb.23:
	s_lshl_b32 s4, s24, 2
	s_add_i32 s5, s4, s23
	s_add_i32 s6, s5, s23
	;; [unrolled: 1-line block ×3, first 2 shown]
	s_lshl_b32 s12, s22, 1
	s_mov_b64 s[0:1], 0
	v_mov_b32_e32 v8, s17
	v_mov_b32_e32 v9, s11
	;; [unrolled: 1-line block ×3, first 2 shown]
	s_branch .LBB111_25
.LBB111_24:                             ;   in Loop: Header=BB111_25 Depth=1
	s_or_b64 exec, exec, s[2:3]
	v_sub_u32_e32 v7, v7, v1
	v_cmp_gt_i32_e32 vcc, 0, v7
	s_or_b64 s[0:1], vcc, s[0:1]
	s_andn2_b64 exec, exec, s[0:1]
	s_cbranch_execz .LBB111_29
.LBB111_25:                             ; =>This Inner Loop Header: Depth=1
	v_add_u32_e32 v5, v7, v0
	v_ashrrev_i32_e32 v6, 31, v5
	s_waitcnt vmcnt(0)
	v_lshlrev_b64 v[3:4], 2, v[5:6]
	v_add_co_u32_e32 v3, vcc, s16, v3
	v_addc_co_u32_e32 v4, vcc, v8, v4, vcc
	global_load_dword v1, v[3:4], off
	v_lshlrev_b64 v[3:4], 3, v[5:6]
	v_add_co_u32_e32 v3, vcc, s10, v3
	v_addc_co_u32_e32 v4, vcc, v9, v4, vcc
	global_load_dwordx2 v[3:4], v[3:4], off
	s_waitcnt vmcnt(1)
	v_cmp_ne_u32_e32 vcc, 1, v1
	s_and_saveexec_b64 s[2:3], vcc
	s_xor_b64 s[2:3], exec, s[2:3]
	s_cbranch_execz .LBB111_27
; %bb.26:                               ;   in Loop: Header=BB111_25 Depth=1
	v_add_u32_e32 v6, v39, v7
	v_add_u32_e32 v1, s4, v6
	v_lshlrev_b64 v[10:11], 3, v[1:2]
	v_mov_b32_e32 v1, s9
	v_add_co_u32_e32 v10, vcc, s8, v10
	v_addc_co_u32_e32 v11, vcc, v1, v11, vcc
	v_add_u32_e32 v1, s5, v6
	v_lshlrev_b64 v[12:13], 3, v[1:2]
	v_add_u32_e32 v1, s6, v6
	v_lshlrev_b64 v[14:15], 3, v[1:2]
	;; [unrolled: 2-line block ×4, first 2 shown]
	v_mov_b32_e32 v1, s9
	v_add_co_u32_e32 v18, vcc, s8, v18
	v_addc_co_u32_e32 v19, vcc, v1, v19, vcc
	global_load_dwordx2 v[10:11], v[10:11], off
	v_add_co_u32_e32 v12, vcc, s8, v12
	global_load_dwordx2 v[20:21], v[18:19], off
	v_addc_co_u32_e32 v13, vcc, v1, v13, vcc
	v_mov_b32_e32 v6, s9
	v_add_co_u32_e32 v14, vcc, s8, v14
	v_addc_co_u32_e32 v15, vcc, v6, v15, vcc
	v_mov_b32_e32 v22, s9
	v_add_co_u32_e32 v16, vcc, s8, v16
	v_addc_co_u32_e32 v17, vcc, v22, v17, vcc
	global_load_dwordx2 v[22:23], v[12:13], off
	global_load_dwordx2 v[24:25], v[14:15], off
	;; [unrolled: 1-line block ×3, first 2 shown]
	v_add_u32_e32 v1, s5, v5
	v_lshlrev_b64 v[14:15], 3, v[1:2]
	v_add_u32_e32 v1, s6, v5
	v_add_co_u32_e32 v14, vcc, s8, v14
	v_addc_co_u32_e32 v15, vcc, v6, v15, vcc
	v_lshlrev_b64 v[16:17], 3, v[1:2]
	v_add_u32_e32 v1, s7, v5
	v_add_co_u32_e32 v16, vcc, s8, v16
	v_addc_co_u32_e32 v17, vcc, v6, v17, vcc
	v_lshlrev_b64 v[5:6], 3, v[1:2]
	v_subrev_u32_e32 v1, s22, v7
	v_add_co_u32_e32 v5, vcc, s8, v5
	s_waitcnt vmcnt(3)
	v_fma_f64 v[12:13], -v[3:4], v[10:11], v[20:21]
	global_store_dwordx2 v[18:19], v[12:13], off
	global_load_dwordx2 v[12:13], v[14:15], off
	s_waitcnt vmcnt(0)
	v_fma_f64 v[12:13], -v[3:4], v[22:23], v[12:13]
	global_store_dwordx2 v[14:15], v[12:13], off
	global_load_dwordx2 v[12:13], v[16:17], off
	v_mov_b32_e32 v14, s9
	v_addc_co_u32_e32 v6, vcc, v14, v6, vcc
	v_add_u32_e32 v14, v1, v0
	v_ashrrev_i32_e32 v15, 31, v14
	v_add_u32_e32 v1, s4, v14
	s_waitcnt vmcnt(0)
	v_fma_f64 v[12:13], -v[3:4], v[24:25], v[12:13]
	global_store_dwordx2 v[16:17], v[12:13], off
	global_load_dwordx2 v[12:13], v[5:6], off
	v_lshlrev_b64 v[15:16], 3, v[14:15]
	v_mov_b32_e32 v17, s9
	v_add_co_u32_e32 v15, vcc, s10, v15
	v_addc_co_u32_e32 v16, vcc, v9, v16, vcc
	s_waitcnt vmcnt(0)
	v_fma_f64 v[3:4], -v[3:4], v[26:27], v[12:13]
	global_load_dwordx2 v[12:13], v[15:16], off
	v_lshlrev_b64 v[15:16], 3, v[1:2]
	v_add_u32_e32 v1, s5, v14
	v_add_co_u32_e32 v15, vcc, s8, v15
	v_addc_co_u32_e32 v16, vcc, v17, v16, vcc
	global_store_dwordx2 v[5:6], v[3:4], off
	global_load_dwordx2 v[3:4], v[15:16], off
	v_lshlrev_b64 v[5:6], 3, v[1:2]
	v_add_u32_e32 v1, s6, v14
	v_add_co_u32_e32 v5, vcc, s8, v5
	s_waitcnt vmcnt(0)
	v_fma_f64 v[3:4], -v[12:13], v[10:11], v[3:4]
	v_mov_b32_e32 v10, s9
	v_addc_co_u32_e32 v6, vcc, v10, v6, vcc
	v_lshlrev_b64 v[10:11], 3, v[1:2]
	v_add_u32_e32 v1, s7, v14
	v_add_co_u32_e32 v10, vcc, s8, v10
	global_store_dwordx2 v[15:16], v[3:4], off
	global_load_dwordx2 v[3:4], v[5:6], off
	v_mov_b32_e32 v15, s9
	v_addc_co_u32_e32 v11, vcc, v15, v11, vcc
	s_waitcnt vmcnt(0)
	v_fma_f64 v[3:4], -v[12:13], v[22:23], v[3:4]
	global_store_dwordx2 v[5:6], v[3:4], off
	global_load_dwordx2 v[3:4], v[10:11], off
	v_lshlrev_b64 v[5:6], 3, v[1:2]
	s_waitcnt vmcnt(0)
	v_fma_f64 v[3:4], -v[12:13], v[24:25], v[3:4]
	global_store_dwordx2 v[10:11], v[3:4], off
	v_add_co_u32_e32 v3, vcc, s8, v5
	v_addc_co_u32_e32 v4, vcc, v15, v6, vcc
	global_load_dwordx2 v[5:6], v[3:4], off
	s_waitcnt vmcnt(0)
	v_fma_f64 v[5:6], -v[12:13], v[26:27], v[5:6]
	global_store_dwordx2 v[3:4], v[5:6], off
                                        ; implicit-def: $vgpr5
                                        ; implicit-def: $vgpr3_vgpr4
.LBB111_27:                             ;   in Loop: Header=BB111_25 Depth=1
	s_or_saveexec_b64 s[2:3], s[2:3]
	v_mov_b32_e32 v1, s12
	s_xor_b64 exec, exec, s[2:3]
	s_cbranch_execz .LBB111_24
; %bb.28:                               ;   in Loop: Header=BB111_25 Depth=1
	v_add_u32_e32 v6, v39, v7
	v_add_u32_e32 v1, s4, v6
	v_lshlrev_b64 v[10:11], 3, v[1:2]
	v_mov_b32_e32 v1, s9
	v_add_co_u32_e32 v10, vcc, s8, v10
	v_addc_co_u32_e32 v11, vcc, v1, v11, vcc
	v_add_u32_e32 v1, s4, v5
	v_lshlrev_b64 v[12:13], 3, v[1:2]
	v_mov_b32_e32 v1, s9
	v_add_co_u32_e32 v12, vcc, s8, v12
	v_addc_co_u32_e32 v13, vcc, v1, v13, vcc
	global_load_dwordx2 v[14:15], v[10:11], off
	global_load_dwordx2 v[16:17], v[12:13], off
	v_add_u32_e32 v1, s5, v6
	v_lshlrev_b64 v[10:11], 3, v[1:2]
	v_add_u32_e32 v1, s5, v5
	v_mov_b32_e32 v20, s9
	v_lshlrev_b64 v[18:19], 3, v[1:2]
	v_add_co_u32_e32 v10, vcc, s8, v10
	v_addc_co_u32_e32 v11, vcc, v20, v11, vcc
	v_mov_b32_e32 v21, s9
	v_add_u32_e32 v1, s6, v6
	s_waitcnt vmcnt(0)
	v_fma_f64 v[14:15], -v[3:4], v[14:15], v[16:17]
	v_add_co_u32_e32 v16, vcc, s8, v18
	v_addc_co_u32_e32 v17, vcc, v21, v19, vcc
	global_store_dwordx2 v[12:13], v[14:15], off
	global_load_dwordx2 v[12:13], v[10:11], off
	s_nop 0
	global_load_dwordx2 v[14:15], v[16:17], off
	v_lshlrev_b64 v[10:11], 3, v[1:2]
	v_add_u32_e32 v1, s6, v5
	v_lshlrev_b64 v[18:19], 3, v[1:2]
	v_add_co_u32_e32 v10, vcc, s8, v10
	v_addc_co_u32_e32 v11, vcc, v20, v11, vcc
	v_add_u32_e32 v1, s7, v6
	s_waitcnt vmcnt(0)
	v_fma_f64 v[12:13], -v[3:4], v[12:13], v[14:15]
	v_add_co_u32_e32 v14, vcc, s8, v18
	v_addc_co_u32_e32 v15, vcc, v21, v19, vcc
	v_mov_b32_e32 v18, s9
	v_mov_b32_e32 v19, s9
	global_store_dwordx2 v[16:17], v[12:13], off
	global_load_dwordx2 v[12:13], v[10:11], off
	s_nop 0
	global_load_dwordx2 v[16:17], v[14:15], off
	v_lshlrev_b64 v[10:11], 3, v[1:2]
	v_add_u32_e32 v1, s7, v5
	v_lshlrev_b64 v[5:6], 3, v[1:2]
	v_add_co_u32_e32 v10, vcc, s8, v10
	v_addc_co_u32_e32 v11, vcc, v18, v11, vcc
	v_add_co_u32_e32 v5, vcc, s8, v5
	v_addc_co_u32_e32 v6, vcc, v19, v6, vcc
	v_mov_b32_e32 v1, s22
	s_waitcnt vmcnt(0)
	v_fma_f64 v[12:13], -v[3:4], v[12:13], v[16:17]
	global_store_dwordx2 v[14:15], v[12:13], off
	global_load_dwordx2 v[12:13], v[10:11], off
	s_nop 0
	global_load_dwordx2 v[14:15], v[5:6], off
	s_waitcnt vmcnt(0)
	v_fma_f64 v[3:4], -v[3:4], v[12:13], v[14:15]
	global_store_dwordx2 v[5:6], v[3:4], off
	s_branch .LBB111_24
.LBB111_29:
	s_endpgm
	.section	.rodata,"a",@progbits
	.p2align	6, 0x0
	.amdhsa_kernel _ZN9rocsparseL19gtsv_LBM_rhs_kernelILj256ELj4ELj4EdEEviiiPKT2_S3_S3_PS1_S3_PKi
		.amdhsa_group_segment_fixed_size 0
		.amdhsa_private_segment_fixed_size 0
		.amdhsa_kernarg_size 64
		.amdhsa_user_sgpr_count 6
		.amdhsa_user_sgpr_private_segment_buffer 1
		.amdhsa_user_sgpr_dispatch_ptr 0
		.amdhsa_user_sgpr_queue_ptr 0
		.amdhsa_user_sgpr_kernarg_segment_ptr 1
		.amdhsa_user_sgpr_dispatch_id 0
		.amdhsa_user_sgpr_flat_scratch_init 0
		.amdhsa_user_sgpr_private_segment_size 0
		.amdhsa_uses_dynamic_stack 0
		.amdhsa_system_sgpr_private_segment_wavefront_offset 0
		.amdhsa_system_sgpr_workgroup_id_x 1
		.amdhsa_system_sgpr_workgroup_id_y 1
		.amdhsa_system_sgpr_workgroup_id_z 0
		.amdhsa_system_sgpr_workgroup_info 0
		.amdhsa_system_vgpr_workitem_id 0
		.amdhsa_next_free_vgpr 55
		.amdhsa_next_free_sgpr 31
		.amdhsa_reserve_vcc 1
		.amdhsa_reserve_flat_scratch 0
		.amdhsa_float_round_mode_32 0
		.amdhsa_float_round_mode_16_64 0
		.amdhsa_float_denorm_mode_32 3
		.amdhsa_float_denorm_mode_16_64 3
		.amdhsa_dx10_clamp 1
		.amdhsa_ieee_mode 1
		.amdhsa_fp16_overflow 0
		.amdhsa_exception_fp_ieee_invalid_op 0
		.amdhsa_exception_fp_denorm_src 0
		.amdhsa_exception_fp_ieee_div_zero 0
		.amdhsa_exception_fp_ieee_overflow 0
		.amdhsa_exception_fp_ieee_underflow 0
		.amdhsa_exception_fp_ieee_inexact 0
		.amdhsa_exception_int_div_zero 0
	.end_amdhsa_kernel
	.section	.text._ZN9rocsparseL19gtsv_LBM_rhs_kernelILj256ELj4ELj4EdEEviiiPKT2_S3_S3_PS1_S3_PKi,"axG",@progbits,_ZN9rocsparseL19gtsv_LBM_rhs_kernelILj256ELj4ELj4EdEEviiiPKT2_S3_S3_PS1_S3_PKi,comdat
.Lfunc_end111:
	.size	_ZN9rocsparseL19gtsv_LBM_rhs_kernelILj256ELj4ELj4EdEEviiiPKT2_S3_S3_PS1_S3_PKi, .Lfunc_end111-_ZN9rocsparseL19gtsv_LBM_rhs_kernelILj256ELj4ELj4EdEEviiiPKT2_S3_S3_PS1_S3_PKi
                                        ; -- End function
	.set _ZN9rocsparseL19gtsv_LBM_rhs_kernelILj256ELj4ELj4EdEEviiiPKT2_S3_S3_PS1_S3_PKi.num_vgpr, 55
	.set _ZN9rocsparseL19gtsv_LBM_rhs_kernelILj256ELj4ELj4EdEEviiiPKT2_S3_S3_PS1_S3_PKi.num_agpr, 0
	.set _ZN9rocsparseL19gtsv_LBM_rhs_kernelILj256ELj4ELj4EdEEviiiPKT2_S3_S3_PS1_S3_PKi.numbered_sgpr, 31
	.set _ZN9rocsparseL19gtsv_LBM_rhs_kernelILj256ELj4ELj4EdEEviiiPKT2_S3_S3_PS1_S3_PKi.num_named_barrier, 0
	.set _ZN9rocsparseL19gtsv_LBM_rhs_kernelILj256ELj4ELj4EdEEviiiPKT2_S3_S3_PS1_S3_PKi.private_seg_size, 0
	.set _ZN9rocsparseL19gtsv_LBM_rhs_kernelILj256ELj4ELj4EdEEviiiPKT2_S3_S3_PS1_S3_PKi.uses_vcc, 1
	.set _ZN9rocsparseL19gtsv_LBM_rhs_kernelILj256ELj4ELj4EdEEviiiPKT2_S3_S3_PS1_S3_PKi.uses_flat_scratch, 0
	.set _ZN9rocsparseL19gtsv_LBM_rhs_kernelILj256ELj4ELj4EdEEviiiPKT2_S3_S3_PS1_S3_PKi.has_dyn_sized_stack, 0
	.set _ZN9rocsparseL19gtsv_LBM_rhs_kernelILj256ELj4ELj4EdEEviiiPKT2_S3_S3_PS1_S3_PKi.has_recursion, 0
	.set _ZN9rocsparseL19gtsv_LBM_rhs_kernelILj256ELj4ELj4EdEEviiiPKT2_S3_S3_PS1_S3_PKi.has_indirect_call, 0
	.section	.AMDGPU.csdata,"",@progbits
; Kernel info:
; codeLenInByte = 3092
; TotalNumSgprs: 35
; NumVgprs: 55
; ScratchSize: 0
; MemoryBound: 0
; FloatMode: 240
; IeeeMode: 1
; LDSByteSize: 0 bytes/workgroup (compile time only)
; SGPRBlocks: 4
; VGPRBlocks: 13
; NumSGPRsForWavesPerEU: 35
; NumVGPRsForWavesPerEU: 55
; Occupancy: 4
; WaveLimiterHint : 0
; COMPUTE_PGM_RSRC2:SCRATCH_EN: 0
; COMPUTE_PGM_RSRC2:USER_SGPR: 6
; COMPUTE_PGM_RSRC2:TRAP_HANDLER: 0
; COMPUTE_PGM_RSRC2:TGID_X_EN: 1
; COMPUTE_PGM_RSRC2:TGID_Y_EN: 1
; COMPUTE_PGM_RSRC2:TGID_Z_EN: 0
; COMPUTE_PGM_RSRC2:TIDIG_COMP_CNT: 0
	.section	.text._ZN9rocsparseL19gtsv_LBM_rhs_kernelILj256ELj4ELj2EdEEviiiPKT2_S3_S3_PS1_S3_PKi,"axG",@progbits,_ZN9rocsparseL19gtsv_LBM_rhs_kernelILj256ELj4ELj2EdEEviiiPKT2_S3_S3_PS1_S3_PKi,comdat
	.globl	_ZN9rocsparseL19gtsv_LBM_rhs_kernelILj256ELj4ELj2EdEEviiiPKT2_S3_S3_PS1_S3_PKi ; -- Begin function _ZN9rocsparseL19gtsv_LBM_rhs_kernelILj256ELj4ELj2EdEEviiiPKT2_S3_S3_PS1_S3_PKi
	.p2align	8
	.type	_ZN9rocsparseL19gtsv_LBM_rhs_kernelILj256ELj4ELj2EdEEviiiPKT2_S3_S3_PS1_S3_PKi,@function
_ZN9rocsparseL19gtsv_LBM_rhs_kernelILj256ELj4ELj2EdEEviiiPKT2_S3_S3_PS1_S3_PKi: ; @_ZN9rocsparseL19gtsv_LBM_rhs_kernelILj256ELj4ELj2EdEEviiiPKT2_S3_S3_PS1_S3_PKi
; %bb.0:
	s_load_dword s23, s[4:5], 0x0
	v_lshl_or_b32 v0, s6, 8, v0
	s_waitcnt lgkmcnt(0)
	s_lshr_b32 s22, s23, 2
	v_cmp_gt_i32_e32 vcc, s22, v0
	s_and_saveexec_b64 s[0:1], vcc
	s_cbranch_execz .LBB112_29
; %bb.1:
	s_load_dwordx4 s[8:11], s[4:5], 0x28
	s_load_dwordx2 s[16:17], s[4:5], 0x38
	s_cmp_lt_i32 s23, 1
	v_add_u32_e32 v29, s22, v0
	s_mul_i32 s24, s7, s23
	s_cbranch_scc1 .LBB112_21
; %bb.2:
	s_load_dwordx4 s[12:15], s[4:5], 0x10
	s_load_dwordx2 s[6:7], s[4:5], 0x20
	v_ashrrev_i32_e32 v1, 31, v0
	v_lshlrev_b64 v[1:2], 3, v[0:1]
	s_lshl_b32 s27, s24, 1
	s_waitcnt lgkmcnt(0)
	v_mov_b32_e32 v3, s15
	v_add_co_u32_e32 v1, vcc, s14, v1
	v_addc_co_u32_e32 v2, vcc, v3, v2, vcc
	global_load_dwordx2 v[3:4], v[1:2], off
	s_mul_i32 s25, s22, 3
	s_lshl_b32 s26, s22, 1
	v_add_u32_e32 v31, s22, v29
	s_add_i32 s28, s27, s23
	v_mov_b32_e32 v2, 0
	s_mov_b64 s[18:19], 0
	v_mov_b32_e32 v32, s7
	v_mov_b32_e32 v30, 0
	s_branch .LBB112_5
.LBB112_3:                              ;   in Loop: Header=BB112_5 Depth=1
	s_or_b64 exec, exec, s[4:5]
	v_fma_f64 v[3:4], -v[3:4], v[21:22], v[7:8]
	v_mov_b32_e32 v1, s22
.LBB112_4:                              ;   in Loop: Header=BB112_5 Depth=1
	s_or_b64 exec, exec, s[2:3]
	v_add_u32_e32 v30, v1, v30
	v_cmp_le_i32_e32 vcc, s23, v30
	s_or_b64 s[18:19], vcc, s[18:19]
	s_andn2_b64 exec, exec, s[18:19]
	s_cbranch_execz .LBB112_20
.LBB112_5:                              ; =>This Inner Loop Header: Depth=1
	v_add_u32_e32 v17, v30, v0
	v_ashrrev_i32_e32 v18, 31, v17
	v_lshlrev_b64 v[5:6], 3, v[17:18]
	v_mov_b32_e32 v7, 0
	v_add_co_u32_e32 v5, vcc, s6, v5
	v_addc_co_u32_e32 v6, vcc, v32, v6, vcc
	global_load_dwordx2 v[13:14], v[5:6], off
	v_mov_b32_e32 v5, 0
	v_mov_b32_e32 v8, 0
	;; [unrolled: 1-line block ×3, first 2 shown]
	v_cmp_gt_u32_e64 s[0:1], s25, v30
	s_and_saveexec_b64 s[2:3], s[0:1]
	s_cbranch_execz .LBB112_7
; %bb.6:                                ;   in Loop: Header=BB112_5 Depth=1
	v_add_u32_e32 v5, v29, v30
	v_ashrrev_i32_e32 v6, 31, v5
	v_lshlrev_b64 v[5:6], 3, v[5:6]
	v_mov_b32_e32 v1, s13
	v_add_co_u32_e32 v5, vcc, s12, v5
	v_addc_co_u32_e32 v6, vcc, v1, v6, vcc
	global_load_dwordx2 v[5:6], v[5:6], off
.LBB112_7:                              ;   in Loop: Header=BB112_5 Depth=1
	s_or_b64 exec, exec, s[2:3]
	s_and_saveexec_b64 s[2:3], s[0:1]
	s_cbranch_execz .LBB112_9
; %bb.8:                                ;   in Loop: Header=BB112_5 Depth=1
	v_add_u32_e32 v7, v29, v30
	v_ashrrev_i32_e32 v8, 31, v7
	v_lshlrev_b64 v[7:8], 3, v[7:8]
	v_mov_b32_e32 v1, s15
	v_add_co_u32_e32 v7, vcc, s14, v7
	v_addc_co_u32_e32 v8, vcc, v1, v8, vcc
	global_load_dwordx2 v[7:8], v[7:8], off
.LBB112_9:                              ;   in Loop: Header=BB112_5 Depth=1
	s_or_b64 exec, exec, s[2:3]
	v_mov_b32_e32 v11, 0
	v_mov_b32_e32 v9, 0
	;; [unrolled: 1-line block ×4, first 2 shown]
	s_and_saveexec_b64 s[2:3], s[0:1]
	s_cbranch_execz .LBB112_11
; %bb.10:                               ;   in Loop: Header=BB112_5 Depth=1
	v_add_u32_e32 v9, v29, v30
	v_ashrrev_i32_e32 v10, 31, v9
	v_lshlrev_b64 v[9:10], 3, v[9:10]
	v_mov_b32_e32 v1, s7
	v_add_co_u32_e32 v9, vcc, s6, v9
	v_addc_co_u32_e32 v10, vcc, v1, v10, vcc
	global_load_dwordx2 v[9:10], v[9:10], off
.LBB112_11:                             ;   in Loop: Header=BB112_5 Depth=1
	s_or_b64 exec, exec, s[2:3]
	v_cmp_gt_u32_e64 s[2:3], s26, v30
	s_and_saveexec_b64 s[4:5], s[2:3]
	s_cbranch_execz .LBB112_13
; %bb.12:                               ;   in Loop: Header=BB112_5 Depth=1
	v_add_u32_e32 v11, v31, v30
	v_ashrrev_i32_e32 v12, 31, v11
	v_lshlrev_b64 v[11:12], 3, v[11:12]
	v_mov_b32_e32 v1, s13
	v_add_co_u32_e32 v11, vcc, s12, v11
	v_addc_co_u32_e32 v12, vcc, v1, v12, vcc
	global_load_dwordx2 v[11:12], v[11:12], off
.LBB112_13:                             ;   in Loop: Header=BB112_5 Depth=1
	s_or_b64 exec, exec, s[4:5]
	v_lshlrev_b64 v[15:16], 2, v[17:18]
	v_mov_b32_e32 v1, s17
	v_add_co_u32_e32 v15, vcc, s16, v15
	v_addc_co_u32_e32 v16, vcc, v1, v16, vcc
	global_load_dword v1, v[15:16], off
	v_cmp_ne_u32_e64 s[4:5], s25, v30
	s_waitcnt vmcnt(2)
	v_mov_b32_e32 v19, s9
	s_waitcnt vmcnt(1)
	v_mul_f64 v[21:22], v[13:14], v[5:6]
	s_waitcnt vmcnt(0)
	v_cmp_ne_u32_e32 vcc, 1, v1
	v_add_u32_e32 v1, s27, v17
	v_lshlrev_b64 v[15:16], 3, v[1:2]
	v_add_u32_e32 v1, s28, v17
	s_and_b64 s[4:5], s[4:5], vcc
	v_add_co_u32_e32 v15, vcc, s8, v15
	v_lshlrev_b64 v[17:18], 3, v[1:2]
	v_addc_co_u32_e32 v16, vcc, v19, v16, vcc
	v_add_co_u32_e32 v17, vcc, s8, v17
	v_addc_co_u32_e32 v18, vcc, v19, v18, vcc
	global_load_dwordx2 v[23:24], v[15:16], off
	global_load_dwordx2 v[19:20], v[17:18], off
	s_and_saveexec_b64 s[20:21], s[4:5]
	s_xor_b64 s[4:5], exec, s[20:21]
	s_cbranch_execz .LBB112_17
; %bb.14:                               ;   in Loop: Header=BB112_5 Depth=1
	v_fma_f64 v[21:22], v[3:4], v[7:8], -v[21:22]
	v_div_scale_f64 v[25:26], s[20:21], v[21:22], v[21:22], 1.0
	v_rcp_f64_e32 v[27:28], v[25:26]
	v_fma_f64 v[33:34], -v[25:26], v[27:28], 1.0
	v_fma_f64 v[27:28], v[27:28], v[33:34], v[27:28]
	v_fma_f64 v[33:34], -v[25:26], v[27:28], 1.0
	v_fma_f64 v[27:28], v[27:28], v[33:34], v[27:28]
	v_div_scale_f64 v[33:34], vcc, 1.0, v[21:22], 1.0
	v_mul_f64 v[35:36], v[33:34], v[27:28]
	v_fma_f64 v[25:26], -v[25:26], v[35:36], v[33:34]
	s_nop 1
	v_div_fmas_f64 v[25:26], v[25:26], v[27:28], v[35:36]
	v_add_u32_e32 v35, v29, v30
	v_add_u32_e32 v1, s27, v35
	v_lshlrev_b64 v[27:28], 3, v[1:2]
	v_mov_b32_e32 v36, s9
	v_add_co_u32_e32 v33, vcc, s8, v27
	v_addc_co_u32_e32 v34, vcc, v36, v28, vcc
	v_add_u32_e32 v1, s28, v35
	v_lshlrev_b64 v[27:28], 3, v[1:2]
	v_add_co_u32_e32 v35, vcc, s8, v27
	v_addc_co_u32_e32 v36, vcc, v36, v28, vcc
	v_div_fixup_f64 v[21:22], v[25:26], v[21:22], 1.0
	global_load_dwordx2 v[25:26], v[33:34], off
	global_load_dwordx2 v[37:38], v[35:36], off
	s_waitcnt vmcnt(3)
	v_mul_f64 v[23:24], v[21:22], v[23:24]
	s_waitcnt vmcnt(1)
	v_mul_f64 v[25:26], v[21:22], v[25:26]
	v_mul_f64 v[27:28], v[13:14], v[25:26]
	v_fma_f64 v[27:28], v[7:8], v[23:24], -v[27:28]
	global_store_dwordx2 v[15:16], v[27:28], off
	s_waitcnt vmcnt(1)
	v_mul_f64 v[27:28], v[21:22], v[37:38]
	v_mul_f64 v[15:16], v[21:22], v[19:20]
	;; [unrolled: 1-line block ×3, first 2 shown]
	v_fma_f64 v[7:8], v[7:8], v[15:16], -v[13:14]
	global_store_dwordx2 v[17:18], v[7:8], off
	v_mul_f64 v[7:8], v[5:6], v[23:24]
	v_fma_f64 v[7:8], v[3:4], v[25:26], -v[7:8]
	global_store_dwordx2 v[33:34], v[7:8], off
	v_mul_f64 v[7:8], v[5:6], v[15:16]
	v_fma_f64 v[13:14], v[3:4], v[27:28], -v[7:8]
	v_mov_b32_e32 v7, 0
	v_mov_b32_e32 v8, 0
	global_store_dwordx2 v[35:36], v[13:14], off
	s_and_saveexec_b64 s[20:21], s[2:3]
	s_cbranch_execz .LBB112_16
; %bb.15:                               ;   in Loop: Header=BB112_5 Depth=1
	v_add_u32_e32 v7, v31, v30
	v_add_u32_e32 v1, s27, v7
	v_lshlrev_b64 v[13:14], 3, v[1:2]
	v_add_u32_e32 v1, s28, v7
	v_mov_b32_e32 v8, s9
	v_add_co_u32_e32 v13, vcc, s8, v13
	v_lshlrev_b64 v[17:18], 3, v[1:2]
	v_addc_co_u32_e32 v14, vcc, v8, v14, vcc
	v_add_co_u32_e32 v17, vcc, s8, v17
	v_addc_co_u32_e32 v18, vcc, v8, v18, vcc
	v_ashrrev_i32_e32 v8, 31, v7
	v_lshlrev_b64 v[7:8], 3, v[7:8]
	v_mov_b32_e32 v1, s15
	v_add_co_u32_e32 v7, vcc, s14, v7
	v_addc_co_u32_e32 v8, vcc, v1, v8, vcc
	global_load_dwordx2 v[19:20], v[13:14], off
	global_load_dwordx2 v[33:34], v[17:18], off
	v_mul_f64 v[3:4], v[3:4], v[11:12]
	global_load_dwordx2 v[7:8], v[7:8], off
	v_mul_f64 v[5:6], v[5:6], v[11:12]
	v_mul_f64 v[11:12], v[3:4], v[25:26]
	v_mul_f64 v[25:26], v[3:4], v[27:28]
	v_mul_f64 v[3:4], v[9:10], v[3:4]
	v_fma_f64 v[11:12], v[5:6], v[23:24], -v[11:12]
	v_fma_f64 v[5:6], v[5:6], v[15:16], -v[25:26]
	s_waitcnt vmcnt(2)
	v_add_f64 v[9:10], v[11:12], v[19:20]
	s_waitcnt vmcnt(1)
	v_add_f64 v[5:6], v[5:6], v[33:34]
	global_store_dwordx2 v[13:14], v[9:10], off
	global_store_dwordx2 v[17:18], v[5:6], off
	s_waitcnt vmcnt(2)
	v_fma_f64 v[7:8], -v[21:22], v[3:4], v[7:8]
.LBB112_16:                             ;   in Loop: Header=BB112_5 Depth=1
	s_or_b64 exec, exec, s[20:21]
	v_mov_b32_e32 v3, v7
	v_mov_b32_e32 v4, v8
                                        ; implicit-def: $vgpr21_vgpr22
                                        ; implicit-def: $vgpr7_vgpr8
                                        ; implicit-def: $vgpr23_vgpr24
                                        ; implicit-def: $vgpr19_vgpr20
                                        ; implicit-def: $vgpr15_vgpr16
                                        ; implicit-def: $vgpr17_vgpr18
                                        ; implicit-def: $vgpr5_vgpr6
.LBB112_17:                             ;   in Loop: Header=BB112_5 Depth=1
	s_or_saveexec_b64 s[2:3], s[4:5]
	v_mov_b32_e32 v1, s26
	s_xor_b64 exec, exec, s[2:3]
	s_cbranch_execz .LBB112_4
; %bb.18:                               ;   in Loop: Header=BB112_5 Depth=1
	v_div_scale_f64 v[9:10], s[4:5], v[3:4], v[3:4], 1.0
	v_rcp_f64_e32 v[11:12], v[9:10]
	v_fma_f64 v[13:14], -v[9:10], v[11:12], 1.0
	v_fma_f64 v[11:12], v[11:12], v[13:14], v[11:12]
	v_div_scale_f64 v[13:14], vcc, 1.0, v[3:4], 1.0
	v_fma_f64 v[25:26], -v[9:10], v[11:12], 1.0
	v_fma_f64 v[11:12], v[11:12], v[25:26], v[11:12]
	v_mul_f64 v[25:26], v[13:14], v[11:12]
	v_fma_f64 v[9:10], -v[9:10], v[25:26], v[13:14]
	v_div_fmas_f64 v[9:10], v[9:10], v[11:12], v[25:26]
	v_div_fixup_f64 v[3:4], v[9:10], v[3:4], 1.0
	s_waitcnt vmcnt(1)
	v_mul_f64 v[9:10], v[3:4], v[23:24]
	s_waitcnt vmcnt(0)
	v_mul_f64 v[11:12], v[3:4], v[19:20]
	global_store_dwordx2 v[15:16], v[9:10], off
	global_store_dwordx2 v[17:18], v[11:12], off
	s_and_saveexec_b64 s[4:5], s[0:1]
	s_cbranch_execz .LBB112_3
; %bb.19:                               ;   in Loop: Header=BB112_5 Depth=1
	v_add_u32_e32 v15, v29, v30
	v_add_u32_e32 v1, s27, v15
	v_lshlrev_b64 v[13:14], 3, v[1:2]
	v_add_u32_e32 v1, s28, v15
	v_mov_b32_e32 v17, s9
	v_add_co_u32_e32 v13, vcc, s8, v13
	v_lshlrev_b64 v[15:16], 3, v[1:2]
	v_addc_co_u32_e32 v14, vcc, v17, v14, vcc
	v_add_co_u32_e32 v15, vcc, s8, v15
	v_addc_co_u32_e32 v16, vcc, v17, v16, vcc
	global_load_dwordx2 v[17:18], v[13:14], off
	global_load_dwordx2 v[19:20], v[15:16], off
	s_waitcnt vmcnt(1)
	v_fma_f64 v[9:10], -v[5:6], v[9:10], v[17:18]
	s_waitcnt vmcnt(0)
	v_fma_f64 v[5:6], -v[5:6], v[11:12], v[19:20]
	global_store_dwordx2 v[13:14], v[9:10], off
	global_store_dwordx2 v[15:16], v[5:6], off
	s_branch .LBB112_3
.LBB112_20:
	s_or_b64 exec, exec, s[18:19]
	s_branch .LBB112_22
.LBB112_21:
	v_mov_b32_e32 v30, 0
.LBB112_22:
	v_subrev_u32_e32 v3, s22, v30
	v_add_u32_e32 v1, v3, v0
	v_ashrrev_i32_e32 v2, 31, v1
	v_lshlrev_b64 v[1:2], 2, v[1:2]
	s_waitcnt lgkmcnt(0)
	v_mov_b32_e32 v4, s17
	v_add_co_u32_e32 v1, vcc, s16, v1
	v_addc_co_u32_e32 v2, vcc, v4, v2, vcc
	s_waitcnt vmcnt(0)
	buffer_wbinvl1_vol
	global_load_dword v1, v[1:2], off
	s_waitcnt vmcnt(0)
	v_mul_lo_u32 v1, v1, s22
	v_sub_u32_e32 v7, v3, v1
	v_cmp_lt_i32_e32 vcc, -1, v7
	s_and_b64 exec, exec, vcc
	s_cbranch_execz .LBB112_29
; %bb.23:
	s_lshl_b32 s4, s24, 1
	s_add_i32 s5, s4, s23
	s_lshl_b32 s6, s22, 1
	s_mov_b64 s[0:1], 0
	v_mov_b32_e32 v8, s17
	v_mov_b32_e32 v9, s11
	v_mov_b32_e32 v2, 0
	s_branch .LBB112_25
.LBB112_24:                             ;   in Loop: Header=BB112_25 Depth=1
	s_or_b64 exec, exec, s[2:3]
	v_sub_u32_e32 v7, v7, v1
	v_cmp_gt_i32_e32 vcc, 0, v7
	s_or_b64 s[0:1], vcc, s[0:1]
	s_andn2_b64 exec, exec, s[0:1]
	s_cbranch_execz .LBB112_29
.LBB112_25:                             ; =>This Inner Loop Header: Depth=1
	v_add_u32_e32 v5, v7, v0
	v_ashrrev_i32_e32 v6, 31, v5
	s_waitcnt vmcnt(0)
	v_lshlrev_b64 v[3:4], 2, v[5:6]
	v_add_co_u32_e32 v3, vcc, s16, v3
	v_addc_co_u32_e32 v4, vcc, v8, v4, vcc
	global_load_dword v1, v[3:4], off
	v_lshlrev_b64 v[3:4], 3, v[5:6]
	v_add_co_u32_e32 v3, vcc, s10, v3
	v_addc_co_u32_e32 v4, vcc, v9, v4, vcc
	global_load_dwordx2 v[3:4], v[3:4], off
	s_waitcnt vmcnt(1)
	v_cmp_ne_u32_e32 vcc, 1, v1
	s_and_saveexec_b64 s[2:3], vcc
	s_xor_b64 s[2:3], exec, s[2:3]
	s_cbranch_execz .LBB112_27
; %bb.26:                               ;   in Loop: Header=BB112_25 Depth=1
	v_add_u32_e32 v6, v29, v7
	v_add_u32_e32 v1, s4, v6
	v_lshlrev_b64 v[10:11], 3, v[1:2]
	v_mov_b32_e32 v1, s9
	v_add_co_u32_e32 v10, vcc, s8, v10
	v_addc_co_u32_e32 v11, vcc, v1, v11, vcc
	v_add_u32_e32 v1, s5, v6
	v_lshlrev_b64 v[12:13], 3, v[1:2]
	v_add_u32_e32 v1, s4, v5
	v_lshlrev_b64 v[14:15], 3, v[1:2]
	v_mov_b32_e32 v1, s9
	v_add_co_u32_e32 v14, vcc, s8, v14
	v_addc_co_u32_e32 v15, vcc, v1, v15, vcc
	global_load_dwordx2 v[16:17], v[10:11], off
	global_load_dwordx2 v[18:19], v[14:15], off
	v_add_co_u32_e32 v10, vcc, s8, v12
	v_addc_co_u32_e32 v11, vcc, v1, v13, vcc
	v_add_u32_e32 v1, s5, v5
	v_lshlrev_b64 v[5:6], 3, v[1:2]
	global_load_dwordx2 v[10:11], v[10:11], off
	v_add_co_u32_e32 v5, vcc, s8, v5
	v_subrev_u32_e32 v1, s22, v7
	v_mov_b32_e32 v20, s9
	s_waitcnt vmcnt(1)
	v_fma_f64 v[12:13], -v[3:4], v[16:17], v[18:19]
	v_mov_b32_e32 v18, s9
	v_addc_co_u32_e32 v6, vcc, v18, v6, vcc
	global_store_dwordx2 v[14:15], v[12:13], off
	global_load_dwordx2 v[12:13], v[5:6], off
	v_add_u32_e32 v14, v1, v0
	v_ashrrev_i32_e32 v15, 31, v14
	v_lshlrev_b64 v[18:19], 3, v[14:15]
	v_add_u32_e32 v1, s4, v14
	v_add_co_u32_e32 v18, vcc, s10, v18
	v_addc_co_u32_e32 v19, vcc, v9, v19, vcc
	v_mov_b32_e32 v15, s9
	s_waitcnt vmcnt(0)
	v_fma_f64 v[3:4], -v[3:4], v[10:11], v[12:13]
	global_load_dwordx2 v[12:13], v[18:19], off
	v_lshlrev_b64 v[18:19], 3, v[1:2]
	v_add_u32_e32 v1, s5, v14
	v_add_co_u32_e32 v18, vcc, s8, v18
	v_addc_co_u32_e32 v19, vcc, v20, v19, vcc
	global_store_dwordx2 v[5:6], v[3:4], off
	global_load_dwordx2 v[3:4], v[18:19], off
	v_lshlrev_b64 v[5:6], 3, v[1:2]
	s_waitcnt vmcnt(0)
	v_fma_f64 v[3:4], -v[12:13], v[16:17], v[3:4]
	global_store_dwordx2 v[18:19], v[3:4], off
	v_add_co_u32_e32 v3, vcc, s8, v5
	v_addc_co_u32_e32 v4, vcc, v15, v6, vcc
	global_load_dwordx2 v[5:6], v[3:4], off
	s_waitcnt vmcnt(0)
	v_fma_f64 v[5:6], -v[12:13], v[10:11], v[5:6]
	global_store_dwordx2 v[3:4], v[5:6], off
                                        ; implicit-def: $vgpr5
                                        ; implicit-def: $vgpr3_vgpr4
.LBB112_27:                             ;   in Loop: Header=BB112_25 Depth=1
	s_or_saveexec_b64 s[2:3], s[2:3]
	v_mov_b32_e32 v1, s6
	s_xor_b64 exec, exec, s[2:3]
	s_cbranch_execz .LBB112_24
; %bb.28:                               ;   in Loop: Header=BB112_25 Depth=1
	v_add_u32_e32 v6, v29, v7
	v_add_u32_e32 v1, s4, v6
	v_lshlrev_b64 v[10:11], 3, v[1:2]
	v_mov_b32_e32 v1, s9
	v_add_co_u32_e32 v10, vcc, s8, v10
	v_addc_co_u32_e32 v11, vcc, v1, v11, vcc
	v_add_u32_e32 v1, s4, v5
	v_lshlrev_b64 v[12:13], 3, v[1:2]
	v_mov_b32_e32 v1, s9
	v_add_co_u32_e32 v12, vcc, s8, v12
	v_addc_co_u32_e32 v13, vcc, v1, v13, vcc
	global_load_dwordx2 v[14:15], v[10:11], off
	global_load_dwordx2 v[16:17], v[12:13], off
	v_add_u32_e32 v1, s5, v6
	v_lshlrev_b64 v[10:11], 3, v[1:2]
	v_add_u32_e32 v1, s5, v5
	v_mov_b32_e32 v18, s9
	v_lshlrev_b64 v[5:6], 3, v[1:2]
	v_add_co_u32_e32 v10, vcc, s8, v10
	v_addc_co_u32_e32 v11, vcc, v18, v11, vcc
	v_mov_b32_e32 v19, s9
	v_add_co_u32_e32 v5, vcc, s8, v5
	v_addc_co_u32_e32 v6, vcc, v19, v6, vcc
	v_mov_b32_e32 v1, s22
	s_waitcnt vmcnt(0)
	v_fma_f64 v[14:15], -v[3:4], v[14:15], v[16:17]
	global_store_dwordx2 v[12:13], v[14:15], off
	global_load_dwordx2 v[12:13], v[10:11], off
	s_nop 0
	global_load_dwordx2 v[14:15], v[5:6], off
	s_waitcnt vmcnt(0)
	v_fma_f64 v[3:4], -v[3:4], v[12:13], v[14:15]
	global_store_dwordx2 v[5:6], v[3:4], off
	s_branch .LBB112_24
.LBB112_29:
	s_endpgm
	.section	.rodata,"a",@progbits
	.p2align	6, 0x0
	.amdhsa_kernel _ZN9rocsparseL19gtsv_LBM_rhs_kernelILj256ELj4ELj2EdEEviiiPKT2_S3_S3_PS1_S3_PKi
		.amdhsa_group_segment_fixed_size 0
		.amdhsa_private_segment_fixed_size 0
		.amdhsa_kernarg_size 64
		.amdhsa_user_sgpr_count 6
		.amdhsa_user_sgpr_private_segment_buffer 1
		.amdhsa_user_sgpr_dispatch_ptr 0
		.amdhsa_user_sgpr_queue_ptr 0
		.amdhsa_user_sgpr_kernarg_segment_ptr 1
		.amdhsa_user_sgpr_dispatch_id 0
		.amdhsa_user_sgpr_flat_scratch_init 0
		.amdhsa_user_sgpr_private_segment_size 0
		.amdhsa_uses_dynamic_stack 0
		.amdhsa_system_sgpr_private_segment_wavefront_offset 0
		.amdhsa_system_sgpr_workgroup_id_x 1
		.amdhsa_system_sgpr_workgroup_id_y 1
		.amdhsa_system_sgpr_workgroup_id_z 0
		.amdhsa_system_sgpr_workgroup_info 0
		.amdhsa_system_vgpr_workitem_id 0
		.amdhsa_next_free_vgpr 39
		.amdhsa_next_free_sgpr 29
		.amdhsa_reserve_vcc 1
		.amdhsa_reserve_flat_scratch 0
		.amdhsa_float_round_mode_32 0
		.amdhsa_float_round_mode_16_64 0
		.amdhsa_float_denorm_mode_32 3
		.amdhsa_float_denorm_mode_16_64 3
		.amdhsa_dx10_clamp 1
		.amdhsa_ieee_mode 1
		.amdhsa_fp16_overflow 0
		.amdhsa_exception_fp_ieee_invalid_op 0
		.amdhsa_exception_fp_denorm_src 0
		.amdhsa_exception_fp_ieee_div_zero 0
		.amdhsa_exception_fp_ieee_overflow 0
		.amdhsa_exception_fp_ieee_underflow 0
		.amdhsa_exception_fp_ieee_inexact 0
		.amdhsa_exception_int_div_zero 0
	.end_amdhsa_kernel
	.section	.text._ZN9rocsparseL19gtsv_LBM_rhs_kernelILj256ELj4ELj2EdEEviiiPKT2_S3_S3_PS1_S3_PKi,"axG",@progbits,_ZN9rocsparseL19gtsv_LBM_rhs_kernelILj256ELj4ELj2EdEEviiiPKT2_S3_S3_PS1_S3_PKi,comdat
.Lfunc_end112:
	.size	_ZN9rocsparseL19gtsv_LBM_rhs_kernelILj256ELj4ELj2EdEEviiiPKT2_S3_S3_PS1_S3_PKi, .Lfunc_end112-_ZN9rocsparseL19gtsv_LBM_rhs_kernelILj256ELj4ELj2EdEEviiiPKT2_S3_S3_PS1_S3_PKi
                                        ; -- End function
	.set _ZN9rocsparseL19gtsv_LBM_rhs_kernelILj256ELj4ELj2EdEEviiiPKT2_S3_S3_PS1_S3_PKi.num_vgpr, 39
	.set _ZN9rocsparseL19gtsv_LBM_rhs_kernelILj256ELj4ELj2EdEEviiiPKT2_S3_S3_PS1_S3_PKi.num_agpr, 0
	.set _ZN9rocsparseL19gtsv_LBM_rhs_kernelILj256ELj4ELj2EdEEviiiPKT2_S3_S3_PS1_S3_PKi.numbered_sgpr, 29
	.set _ZN9rocsparseL19gtsv_LBM_rhs_kernelILj256ELj4ELj2EdEEviiiPKT2_S3_S3_PS1_S3_PKi.num_named_barrier, 0
	.set _ZN9rocsparseL19gtsv_LBM_rhs_kernelILj256ELj4ELj2EdEEviiiPKT2_S3_S3_PS1_S3_PKi.private_seg_size, 0
	.set _ZN9rocsparseL19gtsv_LBM_rhs_kernelILj256ELj4ELj2EdEEviiiPKT2_S3_S3_PS1_S3_PKi.uses_vcc, 1
	.set _ZN9rocsparseL19gtsv_LBM_rhs_kernelILj256ELj4ELj2EdEEviiiPKT2_S3_S3_PS1_S3_PKi.uses_flat_scratch, 0
	.set _ZN9rocsparseL19gtsv_LBM_rhs_kernelILj256ELj4ELj2EdEEviiiPKT2_S3_S3_PS1_S3_PKi.has_dyn_sized_stack, 0
	.set _ZN9rocsparseL19gtsv_LBM_rhs_kernelILj256ELj4ELj2EdEEviiiPKT2_S3_S3_PS1_S3_PKi.has_recursion, 0
	.set _ZN9rocsparseL19gtsv_LBM_rhs_kernelILj256ELj4ELj2EdEEviiiPKT2_S3_S3_PS1_S3_PKi.has_indirect_call, 0
	.section	.AMDGPU.csdata,"",@progbits
; Kernel info:
; codeLenInByte = 2140
; TotalNumSgprs: 33
; NumVgprs: 39
; ScratchSize: 0
; MemoryBound: 0
; FloatMode: 240
; IeeeMode: 1
; LDSByteSize: 0 bytes/workgroup (compile time only)
; SGPRBlocks: 4
; VGPRBlocks: 9
; NumSGPRsForWavesPerEU: 33
; NumVGPRsForWavesPerEU: 39
; Occupancy: 6
; WaveLimiterHint : 0
; COMPUTE_PGM_RSRC2:SCRATCH_EN: 0
; COMPUTE_PGM_RSRC2:USER_SGPR: 6
; COMPUTE_PGM_RSRC2:TRAP_HANDLER: 0
; COMPUTE_PGM_RSRC2:TGID_X_EN: 1
; COMPUTE_PGM_RSRC2:TGID_Y_EN: 1
; COMPUTE_PGM_RSRC2:TGID_Z_EN: 0
; COMPUTE_PGM_RSRC2:TIDIG_COMP_CNT: 0
	.section	.text._ZN9rocsparseL19gtsv_LBM_rhs_kernelILj256ELj4ELj1EdEEviiiPKT2_S3_S3_PS1_S3_PKi,"axG",@progbits,_ZN9rocsparseL19gtsv_LBM_rhs_kernelILj256ELj4ELj1EdEEviiiPKT2_S3_S3_PS1_S3_PKi,comdat
	.globl	_ZN9rocsparseL19gtsv_LBM_rhs_kernelILj256ELj4ELj1EdEEviiiPKT2_S3_S3_PS1_S3_PKi ; -- Begin function _ZN9rocsparseL19gtsv_LBM_rhs_kernelILj256ELj4ELj1EdEEviiiPKT2_S3_S3_PS1_S3_PKi
	.p2align	8
	.type	_ZN9rocsparseL19gtsv_LBM_rhs_kernelILj256ELj4ELj1EdEEviiiPKT2_S3_S3_PS1_S3_PKi,@function
_ZN9rocsparseL19gtsv_LBM_rhs_kernelILj256ELj4ELj1EdEEviiiPKT2_S3_S3_PS1_S3_PKi: ; @_ZN9rocsparseL19gtsv_LBM_rhs_kernelILj256ELj4ELj1EdEEviiiPKT2_S3_S3_PS1_S3_PKi
; %bb.0:
	s_load_dword s24, s[4:5], 0x0
	v_lshl_or_b32 v0, s6, 8, v0
	s_waitcnt lgkmcnt(0)
	s_lshr_b32 s22, s24, 2
	v_cmp_gt_i32_e32 vcc, s22, v0
	s_and_saveexec_b64 s[0:1], vcc
	s_cbranch_execz .LBB113_29
; %bb.1:
	s_load_dwordx4 s[8:11], s[4:5], 0x28
	s_load_dwordx2 s[16:17], s[4:5], 0x38
	s_cmp_lt_i32 s24, 1
	s_mul_i32 s23, s24, s7
	s_cbranch_scc1 .LBB113_21
; %bb.2:
	s_load_dwordx4 s[12:15], s[4:5], 0x10
	s_load_dwordx2 s[6:7], s[4:5], 0x20
	v_ashrrev_i32_e32 v1, 31, v0
	v_lshlrev_b64 v[1:2], 3, v[0:1]
	v_add_u32_e32 v24, s22, v0
	s_waitcnt lgkmcnt(0)
	v_mov_b32_e32 v3, s15
	v_add_co_u32_e32 v1, vcc, s14, v1
	v_addc_co_u32_e32 v2, vcc, v3, v2, vcc
	global_load_dwordx2 v[3:4], v[1:2], off
	s_mul_i32 s25, s22, 3
	s_lshl_b32 s26, s22, 1
	v_add_u32_e32 v25, s22, v24
	v_add_u32_e32 v26, s23, v24
	v_mov_b32_e32 v2, 0
	s_mov_b64 s[18:19], 0
	v_mov_b32_e32 v27, s7
	v_mov_b32_e32 v23, 0
	s_branch .LBB113_5
.LBB113_3:                              ;   in Loop: Header=BB113_5 Depth=1
	s_or_b64 exec, exec, s[4:5]
	v_fma_f64 v[3:4], -v[3:4], v[19:20], v[7:8]
	v_mov_b32_e32 v1, s22
.LBB113_4:                              ;   in Loop: Header=BB113_5 Depth=1
	s_or_b64 exec, exec, s[2:3]
	v_add_u32_e32 v23, v1, v23
	v_cmp_le_i32_e32 vcc, s24, v23
	s_or_b64 s[18:19], vcc, s[18:19]
	s_andn2_b64 exec, exec, s[18:19]
	s_cbranch_execz .LBB113_20
.LBB113_5:                              ; =>This Inner Loop Header: Depth=1
	v_add_u32_e32 v15, v23, v0
	v_ashrrev_i32_e32 v16, 31, v15
	v_lshlrev_b64 v[5:6], 3, v[15:16]
	v_mov_b32_e32 v7, 0
	v_add_co_u32_e32 v5, vcc, s6, v5
	v_addc_co_u32_e32 v6, vcc, v27, v6, vcc
	global_load_dwordx2 v[9:10], v[5:6], off
	v_mov_b32_e32 v5, 0
	v_cmp_gt_u32_e64 s[0:1], s25, v23
	v_mov_b32_e32 v8, 0
	v_mov_b32_e32 v6, 0
	s_waitcnt vmcnt(1)
	v_add_u32_e32 v17, v24, v23
	s_and_saveexec_b64 s[2:3], s[0:1]
	s_cbranch_execz .LBB113_7
; %bb.6:                                ;   in Loop: Header=BB113_5 Depth=1
	v_ashrrev_i32_e32 v18, 31, v17
	v_lshlrev_b64 v[5:6], 3, v[17:18]
	v_mov_b32_e32 v1, s13
	v_add_co_u32_e32 v5, vcc, s12, v5
	v_addc_co_u32_e32 v6, vcc, v1, v6, vcc
	global_load_dwordx2 v[5:6], v[5:6], off
.LBB113_7:                              ;   in Loop: Header=BB113_5 Depth=1
	s_or_b64 exec, exec, s[2:3]
	s_and_saveexec_b64 s[2:3], s[0:1]
	s_cbranch_execz .LBB113_9
; %bb.8:                                ;   in Loop: Header=BB113_5 Depth=1
	v_ashrrev_i32_e32 v18, 31, v17
	v_lshlrev_b64 v[7:8], 3, v[17:18]
	v_mov_b32_e32 v1, s15
	v_add_co_u32_e32 v7, vcc, s14, v7
	v_addc_co_u32_e32 v8, vcc, v1, v8, vcc
	global_load_dwordx2 v[7:8], v[7:8], off
.LBB113_9:                              ;   in Loop: Header=BB113_5 Depth=1
	s_or_b64 exec, exec, s[2:3]
	v_mov_b32_e32 v13, 0
	v_mov_b32_e32 v11, 0
	;; [unrolled: 1-line block ×4, first 2 shown]
	s_and_saveexec_b64 s[2:3], s[0:1]
	s_cbranch_execz .LBB113_11
; %bb.10:                               ;   in Loop: Header=BB113_5 Depth=1
	v_ashrrev_i32_e32 v18, 31, v17
	v_lshlrev_b64 v[11:12], 3, v[17:18]
	v_mov_b32_e32 v1, s7
	v_add_co_u32_e32 v11, vcc, s6, v11
	v_addc_co_u32_e32 v12, vcc, v1, v12, vcc
	global_load_dwordx2 v[11:12], v[11:12], off
.LBB113_11:                             ;   in Loop: Header=BB113_5 Depth=1
	s_or_b64 exec, exec, s[2:3]
	v_cmp_gt_u32_e64 s[2:3], s26, v23
	s_and_saveexec_b64 s[4:5], s[2:3]
	s_cbranch_execz .LBB113_13
; %bb.12:                               ;   in Loop: Header=BB113_5 Depth=1
	v_add_u32_e32 v13, v25, v23
	v_ashrrev_i32_e32 v14, 31, v13
	v_lshlrev_b64 v[13:14], 3, v[13:14]
	v_mov_b32_e32 v1, s13
	v_add_co_u32_e32 v13, vcc, s12, v13
	v_addc_co_u32_e32 v14, vcc, v1, v14, vcc
	global_load_dwordx2 v[13:14], v[13:14], off
.LBB113_13:                             ;   in Loop: Header=BB113_5 Depth=1
	s_or_b64 exec, exec, s[4:5]
	v_lshlrev_b64 v[16:17], 2, v[15:16]
	v_mov_b32_e32 v1, s17
	v_add_co_u32_e32 v16, vcc, s16, v16
	v_addc_co_u32_e32 v17, vcc, v1, v17, vcc
	v_add_u32_e32 v1, s23, v15
	global_load_dword v21, v[16:17], off
	v_lshlrev_b64 v[15:16], 3, v[1:2]
	v_mov_b32_e32 v1, s9
	v_add_co_u32_e32 v15, vcc, s8, v15
	v_addc_co_u32_e32 v16, vcc, v1, v16, vcc
	global_load_dwordx2 v[17:18], v[15:16], off
	s_waitcnt vmcnt(2)
	v_mul_f64 v[19:20], v[9:10], v[5:6]
	v_cmp_ne_u32_e64 s[4:5], s25, v23
	s_waitcnt vmcnt(1)
	v_cmp_ne_u32_e32 vcc, 1, v21
	s_and_b64 s[4:5], s[4:5], vcc
	s_and_saveexec_b64 s[20:21], s[4:5]
	s_xor_b64 s[4:5], exec, s[20:21]
	s_cbranch_execz .LBB113_17
; %bb.14:                               ;   in Loop: Header=BB113_5 Depth=1
	v_fma_f64 v[19:20], v[3:4], v[7:8], -v[19:20]
	v_add_u32_e32 v1, v26, v23
	v_div_scale_f64 v[21:22], s[20:21], v[19:20], v[19:20], 1.0
	v_rcp_f64_e32 v[28:29], v[21:22]
	v_fma_f64 v[30:31], -v[21:22], v[28:29], 1.0
	v_fma_f64 v[28:29], v[28:29], v[30:31], v[28:29]
	v_fma_f64 v[30:31], -v[21:22], v[28:29], 1.0
	v_fma_f64 v[28:29], v[28:29], v[30:31], v[28:29]
	v_div_scale_f64 v[30:31], vcc, 1.0, v[19:20], 1.0
	v_mul_f64 v[32:33], v[30:31], v[28:29]
	v_fma_f64 v[21:22], -v[21:22], v[32:33], v[30:31]
	v_mov_b32_e32 v30, s9
	s_nop 0
	v_div_fmas_f64 v[21:22], v[21:22], v[28:29], v[32:33]
	v_lshlrev_b64 v[28:29], 3, v[1:2]
	v_add_co_u32_e32 v28, vcc, s8, v28
	v_addc_co_u32_e32 v29, vcc, v30, v29, vcc
	v_div_fixup_f64 v[19:20], v[21:22], v[19:20], 1.0
	global_load_dwordx2 v[21:22], v[28:29], off
	s_waitcnt vmcnt(1)
	v_mul_f64 v[17:18], v[19:20], v[17:18]
	s_waitcnt vmcnt(0)
	v_mul_f64 v[21:22], v[19:20], v[21:22]
	v_mul_f64 v[9:10], v[9:10], v[21:22]
	v_fma_f64 v[7:8], v[7:8], v[17:18], -v[9:10]
	global_store_dwordx2 v[15:16], v[7:8], off
	v_mul_f64 v[7:8], v[5:6], v[17:18]
	v_fma_f64 v[9:10], v[3:4], v[21:22], -v[7:8]
	v_mov_b32_e32 v7, 0
	v_mov_b32_e32 v8, 0
	global_store_dwordx2 v[28:29], v[9:10], off
	s_and_saveexec_b64 s[20:21], s[2:3]
	s_cbranch_execz .LBB113_16
; %bb.15:                               ;   in Loop: Header=BB113_5 Depth=1
	v_add_u32_e32 v7, v25, v23
	v_add_u32_e32 v1, s23, v7
	v_lshlrev_b64 v[8:9], 3, v[1:2]
	v_mov_b32_e32 v1, s9
	v_add_co_u32_e32 v15, vcc, s8, v8
	v_ashrrev_i32_e32 v8, 31, v7
	v_lshlrev_b64 v[7:8], 3, v[7:8]
	v_addc_co_u32_e32 v16, vcc, v1, v9, vcc
	v_mov_b32_e32 v1, s15
	v_add_co_u32_e32 v7, vcc, s14, v7
	v_addc_co_u32_e32 v8, vcc, v1, v8, vcc
	global_load_dwordx2 v[9:10], v[15:16], off
	v_mul_f64 v[3:4], v[3:4], v[13:14]
	global_load_dwordx2 v[7:8], v[7:8], off
	v_mul_f64 v[5:6], v[5:6], v[13:14]
	v_mul_f64 v[13:14], v[3:4], v[21:22]
	;; [unrolled: 1-line block ×3, first 2 shown]
	v_fma_f64 v[5:6], v[5:6], v[17:18], -v[13:14]
	s_waitcnt vmcnt(1)
	v_add_f64 v[5:6], v[5:6], v[9:10]
	s_waitcnt vmcnt(0)
	v_fma_f64 v[7:8], -v[19:20], v[3:4], v[7:8]
	global_store_dwordx2 v[15:16], v[5:6], off
.LBB113_16:                             ;   in Loop: Header=BB113_5 Depth=1
	s_or_b64 exec, exec, s[20:21]
	v_mov_b32_e32 v3, v7
	v_mov_b32_e32 v4, v8
                                        ; implicit-def: $vgpr19_vgpr20
                                        ; implicit-def: $vgpr7_vgpr8
                                        ; implicit-def: $vgpr17_vgpr18
                                        ; implicit-def: $vgpr15_vgpr16
                                        ; implicit-def: $vgpr5_vgpr6
.LBB113_17:                             ;   in Loop: Header=BB113_5 Depth=1
	s_or_saveexec_b64 s[2:3], s[4:5]
	v_mov_b32_e32 v1, s26
	s_xor_b64 exec, exec, s[2:3]
	s_cbranch_execz .LBB113_4
; %bb.18:                               ;   in Loop: Header=BB113_5 Depth=1
	v_div_scale_f64 v[9:10], s[4:5], v[3:4], v[3:4], 1.0
	v_div_scale_f64 v[21:22], vcc, 1.0, v[3:4], 1.0
	v_rcp_f64_e32 v[11:12], v[9:10]
	v_fma_f64 v[13:14], -v[9:10], v[11:12], 1.0
	v_fma_f64 v[11:12], v[11:12], v[13:14], v[11:12]
	v_fma_f64 v[13:14], -v[9:10], v[11:12], 1.0
	v_fma_f64 v[11:12], v[11:12], v[13:14], v[11:12]
	v_mul_f64 v[13:14], v[21:22], v[11:12]
	v_fma_f64 v[9:10], -v[9:10], v[13:14], v[21:22]
	v_div_fmas_f64 v[9:10], v[9:10], v[11:12], v[13:14]
	v_div_fixup_f64 v[3:4], v[9:10], v[3:4], 1.0
	s_waitcnt vmcnt(0)
	v_mul_f64 v[9:10], v[3:4], v[17:18]
	global_store_dwordx2 v[15:16], v[9:10], off
	s_and_saveexec_b64 s[4:5], s[0:1]
	s_cbranch_execz .LBB113_3
; %bb.19:                               ;   in Loop: Header=BB113_5 Depth=1
	v_add_u32_e32 v1, v26, v23
	v_lshlrev_b64 v[11:12], 3, v[1:2]
	v_mov_b32_e32 v1, s9
	v_add_co_u32_e32 v11, vcc, s8, v11
	v_addc_co_u32_e32 v12, vcc, v1, v12, vcc
	global_load_dwordx2 v[13:14], v[11:12], off
	s_waitcnt vmcnt(0)
	v_fma_f64 v[5:6], -v[5:6], v[9:10], v[13:14]
	global_store_dwordx2 v[11:12], v[5:6], off
	s_branch .LBB113_3
.LBB113_20:
	s_or_b64 exec, exec, s[18:19]
	s_branch .LBB113_22
.LBB113_21:
	v_mov_b32_e32 v23, 0
.LBB113_22:
	v_subrev_u32_e32 v3, s22, v23
	v_add_u32_e32 v1, v3, v0
	v_ashrrev_i32_e32 v2, 31, v1
	v_lshlrev_b64 v[1:2], 2, v[1:2]
	s_waitcnt lgkmcnt(0)
	v_mov_b32_e32 v4, s17
	v_add_co_u32_e32 v1, vcc, s16, v1
	v_addc_co_u32_e32 v2, vcc, v4, v2, vcc
	s_waitcnt vmcnt(0)
	buffer_wbinvl1_vol
	global_load_dword v1, v[1:2], off
	s_waitcnt vmcnt(0)
	v_mul_lo_u32 v1, v1, s22
	v_sub_u32_e32 v7, v3, v1
	v_cmp_lt_i32_e32 vcc, -1, v7
	s_and_b64 exec, exec, vcc
	s_cbranch_execz .LBB113_29
; %bb.23:
	s_add_i32 s0, s23, s22
	v_add_u32_e32 v8, s0, v0
	s_lshl_b32 s4, s22, 1
	s_mov_b64 s[0:1], 0
	v_mov_b32_e32 v9, s17
	v_mov_b32_e32 v10, s11
	;; [unrolled: 1-line block ×3, first 2 shown]
	s_branch .LBB113_25
.LBB113_24:                             ;   in Loop: Header=BB113_25 Depth=1
	s_or_b64 exec, exec, s[2:3]
	v_sub_u32_e32 v7, v7, v1
	v_cmp_gt_i32_e32 vcc, 0, v7
	s_or_b64 s[0:1], vcc, s[0:1]
	s_andn2_b64 exec, exec, s[0:1]
	s_cbranch_execz .LBB113_29
.LBB113_25:                             ; =>This Inner Loop Header: Depth=1
	v_add_u32_e32 v5, v7, v0
	v_ashrrev_i32_e32 v6, 31, v5
	s_waitcnt vmcnt(0)
	v_lshlrev_b64 v[3:4], 2, v[5:6]
	v_add_co_u32_e32 v3, vcc, s16, v3
	v_addc_co_u32_e32 v4, vcc, v9, v4, vcc
	global_load_dword v1, v[3:4], off
	v_lshlrev_b64 v[3:4], 3, v[5:6]
	v_add_co_u32_e32 v3, vcc, s10, v3
	v_addc_co_u32_e32 v4, vcc, v10, v4, vcc
	global_load_dwordx2 v[3:4], v[3:4], off
	s_waitcnt vmcnt(1)
	v_cmp_ne_u32_e32 vcc, 1, v1
	s_and_saveexec_b64 s[2:3], vcc
	s_xor_b64 s[2:3], exec, s[2:3]
	s_cbranch_execz .LBB113_27
; %bb.26:                               ;   in Loop: Header=BB113_25 Depth=1
	v_add_u32_e32 v1, v8, v7
	v_lshlrev_b64 v[11:12], 3, v[1:2]
	v_mov_b32_e32 v1, s9
	v_add_co_u32_e32 v11, vcc, s8, v11
	v_addc_co_u32_e32 v12, vcc, v1, v12, vcc
	v_add_u32_e32 v1, s23, v5
	v_lshlrev_b64 v[5:6], 3, v[1:2]
	v_mov_b32_e32 v1, s9
	v_add_co_u32_e32 v5, vcc, s8, v5
	v_addc_co_u32_e32 v6, vcc, v1, v6, vcc
	global_load_dwordx2 v[13:14], v[11:12], off
	global_load_dwordx2 v[15:16], v[5:6], off
	v_subrev_u32_e32 v1, s22, v7
	v_add_u32_e32 v11, v1, v0
	v_ashrrev_i32_e32 v12, 31, v11
	v_add_u32_e32 v1, s23, v11
	v_lshlrev_b64 v[11:12], 3, v[11:12]
	v_mov_b32_e32 v17, s9
	v_add_co_u32_e32 v11, vcc, s10, v11
	v_addc_co_u32_e32 v12, vcc, v10, v12, vcc
	global_load_dwordx2 v[11:12], v[11:12], off
	s_waitcnt vmcnt(1)
	v_fma_f64 v[3:4], -v[3:4], v[13:14], v[15:16]
	v_lshlrev_b64 v[15:16], 3, v[1:2]
	global_store_dwordx2 v[5:6], v[3:4], off
	v_add_co_u32_e32 v3, vcc, s8, v15
	v_addc_co_u32_e32 v4, vcc, v17, v16, vcc
	global_load_dwordx2 v[5:6], v[3:4], off
	s_waitcnt vmcnt(0)
	v_fma_f64 v[5:6], -v[11:12], v[13:14], v[5:6]
	global_store_dwordx2 v[3:4], v[5:6], off
                                        ; implicit-def: $vgpr5
                                        ; implicit-def: $vgpr3_vgpr4
.LBB113_27:                             ;   in Loop: Header=BB113_25 Depth=1
	s_or_saveexec_b64 s[2:3], s[2:3]
	v_mov_b32_e32 v1, s4
	s_xor_b64 exec, exec, s[2:3]
	s_cbranch_execz .LBB113_24
; %bb.28:                               ;   in Loop: Header=BB113_25 Depth=1
	v_add_u32_e32 v1, v8, v7
	v_lshlrev_b64 v[11:12], 3, v[1:2]
	v_mov_b32_e32 v1, s9
	v_add_co_u32_e32 v11, vcc, s8, v11
	v_addc_co_u32_e32 v12, vcc, v1, v12, vcc
	v_add_u32_e32 v1, s23, v5
	v_lshlrev_b64 v[5:6], 3, v[1:2]
	v_mov_b32_e32 v1, s9
	v_add_co_u32_e32 v5, vcc, s8, v5
	v_addc_co_u32_e32 v6, vcc, v1, v6, vcc
	global_load_dwordx2 v[13:14], v[11:12], off
	global_load_dwordx2 v[15:16], v[5:6], off
	v_mov_b32_e32 v1, s22
	s_waitcnt vmcnt(0)
	v_fma_f64 v[3:4], -v[3:4], v[13:14], v[15:16]
	global_store_dwordx2 v[5:6], v[3:4], off
	s_branch .LBB113_24
.LBB113_29:
	s_endpgm
	.section	.rodata,"a",@progbits
	.p2align	6, 0x0
	.amdhsa_kernel _ZN9rocsparseL19gtsv_LBM_rhs_kernelILj256ELj4ELj1EdEEviiiPKT2_S3_S3_PS1_S3_PKi
		.amdhsa_group_segment_fixed_size 0
		.amdhsa_private_segment_fixed_size 0
		.amdhsa_kernarg_size 64
		.amdhsa_user_sgpr_count 6
		.amdhsa_user_sgpr_private_segment_buffer 1
		.amdhsa_user_sgpr_dispatch_ptr 0
		.amdhsa_user_sgpr_queue_ptr 0
		.amdhsa_user_sgpr_kernarg_segment_ptr 1
		.amdhsa_user_sgpr_dispatch_id 0
		.amdhsa_user_sgpr_flat_scratch_init 0
		.amdhsa_user_sgpr_private_segment_size 0
		.amdhsa_uses_dynamic_stack 0
		.amdhsa_system_sgpr_private_segment_wavefront_offset 0
		.amdhsa_system_sgpr_workgroup_id_x 1
		.amdhsa_system_sgpr_workgroup_id_y 1
		.amdhsa_system_sgpr_workgroup_id_z 0
		.amdhsa_system_sgpr_workgroup_info 0
		.amdhsa_system_vgpr_workitem_id 0
		.amdhsa_next_free_vgpr 34
		.amdhsa_next_free_sgpr 27
		.amdhsa_reserve_vcc 1
		.amdhsa_reserve_flat_scratch 0
		.amdhsa_float_round_mode_32 0
		.amdhsa_float_round_mode_16_64 0
		.amdhsa_float_denorm_mode_32 3
		.amdhsa_float_denorm_mode_16_64 3
		.amdhsa_dx10_clamp 1
		.amdhsa_ieee_mode 1
		.amdhsa_fp16_overflow 0
		.amdhsa_exception_fp_ieee_invalid_op 0
		.amdhsa_exception_fp_denorm_src 0
		.amdhsa_exception_fp_ieee_div_zero 0
		.amdhsa_exception_fp_ieee_overflow 0
		.amdhsa_exception_fp_ieee_underflow 0
		.amdhsa_exception_fp_ieee_inexact 0
		.amdhsa_exception_int_div_zero 0
	.end_amdhsa_kernel
	.section	.text._ZN9rocsparseL19gtsv_LBM_rhs_kernelILj256ELj4ELj1EdEEviiiPKT2_S3_S3_PS1_S3_PKi,"axG",@progbits,_ZN9rocsparseL19gtsv_LBM_rhs_kernelILj256ELj4ELj1EdEEviiiPKT2_S3_S3_PS1_S3_PKi,comdat
.Lfunc_end113:
	.size	_ZN9rocsparseL19gtsv_LBM_rhs_kernelILj256ELj4ELj1EdEEviiiPKT2_S3_S3_PS1_S3_PKi, .Lfunc_end113-_ZN9rocsparseL19gtsv_LBM_rhs_kernelILj256ELj4ELj1EdEEviiiPKT2_S3_S3_PS1_S3_PKi
                                        ; -- End function
	.set _ZN9rocsparseL19gtsv_LBM_rhs_kernelILj256ELj4ELj1EdEEviiiPKT2_S3_S3_PS1_S3_PKi.num_vgpr, 34
	.set _ZN9rocsparseL19gtsv_LBM_rhs_kernelILj256ELj4ELj1EdEEviiiPKT2_S3_S3_PS1_S3_PKi.num_agpr, 0
	.set _ZN9rocsparseL19gtsv_LBM_rhs_kernelILj256ELj4ELj1EdEEviiiPKT2_S3_S3_PS1_S3_PKi.numbered_sgpr, 27
	.set _ZN9rocsparseL19gtsv_LBM_rhs_kernelILj256ELj4ELj1EdEEviiiPKT2_S3_S3_PS1_S3_PKi.num_named_barrier, 0
	.set _ZN9rocsparseL19gtsv_LBM_rhs_kernelILj256ELj4ELj1EdEEviiiPKT2_S3_S3_PS1_S3_PKi.private_seg_size, 0
	.set _ZN9rocsparseL19gtsv_LBM_rhs_kernelILj256ELj4ELj1EdEEviiiPKT2_S3_S3_PS1_S3_PKi.uses_vcc, 1
	.set _ZN9rocsparseL19gtsv_LBM_rhs_kernelILj256ELj4ELj1EdEEviiiPKT2_S3_S3_PS1_S3_PKi.uses_flat_scratch, 0
	.set _ZN9rocsparseL19gtsv_LBM_rhs_kernelILj256ELj4ELj1EdEEviiiPKT2_S3_S3_PS1_S3_PKi.has_dyn_sized_stack, 0
	.set _ZN9rocsparseL19gtsv_LBM_rhs_kernelILj256ELj4ELj1EdEEviiiPKT2_S3_S3_PS1_S3_PKi.has_recursion, 0
	.set _ZN9rocsparseL19gtsv_LBM_rhs_kernelILj256ELj4ELj1EdEEviiiPKT2_S3_S3_PS1_S3_PKi.has_indirect_call, 0
	.section	.AMDGPU.csdata,"",@progbits
; Kernel info:
; codeLenInByte = 1636
; TotalNumSgprs: 31
; NumVgprs: 34
; ScratchSize: 0
; MemoryBound: 0
; FloatMode: 240
; IeeeMode: 1
; LDSByteSize: 0 bytes/workgroup (compile time only)
; SGPRBlocks: 3
; VGPRBlocks: 8
; NumSGPRsForWavesPerEU: 31
; NumVGPRsForWavesPerEU: 34
; Occupancy: 7
; WaveLimiterHint : 0
; COMPUTE_PGM_RSRC2:SCRATCH_EN: 0
; COMPUTE_PGM_RSRC2:USER_SGPR: 6
; COMPUTE_PGM_RSRC2:TRAP_HANDLER: 0
; COMPUTE_PGM_RSRC2:TGID_X_EN: 1
; COMPUTE_PGM_RSRC2:TGID_Y_EN: 1
; COMPUTE_PGM_RSRC2:TGID_Z_EN: 0
; COMPUTE_PGM_RSRC2:TIDIG_COMP_CNT: 0
	.section	.text._ZN9rocsparseL29gtsv_spike_block_level_kernelILj256ELj4EdEEviiiPT1_PKS1_S4_S2_S2_S2_S2_S2_,"axG",@progbits,_ZN9rocsparseL29gtsv_spike_block_level_kernelILj256ELj4EdEEviiiPT1_PKS1_S4_S2_S2_S2_S2_S2_,comdat
	.globl	_ZN9rocsparseL29gtsv_spike_block_level_kernelILj256ELj4EdEEviiiPT1_PKS1_S4_S2_S2_S2_S2_S2_ ; -- Begin function _ZN9rocsparseL29gtsv_spike_block_level_kernelILj256ELj4EdEEviiiPT1_PKS1_S4_S2_S2_S2_S2_S2_
	.p2align	8
	.type	_ZN9rocsparseL29gtsv_spike_block_level_kernelILj256ELj4EdEEviiiPT1_PKS1_S4_S2_S2_S2_S2_S2_,@function
_ZN9rocsparseL29gtsv_spike_block_level_kernelILj256ELj4EdEEviiiPT1_PKS1_S4_S2_S2_S2_S2_S2_: ; @_ZN9rocsparseL29gtsv_spike_block_level_kernelILj256ELj4EdEEviiiPT1_PKS1_S4_S2_S2_S2_S2_S2_
; %bb.0:
	s_load_dword s14, s[4:5], 0x0
	s_load_dwordx2 s[8:9], s[4:5], 0x18
	v_lshl_or_b32 v1, s6, 8, v0
	v_mov_b32_e32 v3, 0
	v_mov_b32_e32 v5, 0
	s_waitcnt lgkmcnt(0)
	s_lshr_b32 s18, s14, 2
	v_mov_b32_e32 v4, 0
	v_mov_b32_e32 v6, 0
	v_cmp_gt_i32_e64 s[0:1], s18, v1
	s_and_saveexec_b64 s[2:3], s[0:1]
	s_cbranch_execz .LBB114_2
; %bb.1:
	v_ashrrev_i32_e32 v2, 31, v1
	v_lshlrev_b64 v[5:6], 3, v[1:2]
	v_mov_b32_e32 v2, s9
	v_add_co_u32_e32 v5, vcc, s8, v5
	v_addc_co_u32_e32 v6, vcc, v2, v6, vcc
	global_load_dwordx2 v[5:6], v[5:6], off
.LBB114_2:
	s_or_b64 exec, exec, s[2:3]
	s_load_dwordx2 s[2:3], s[4:5], 0x20
	v_lshlrev_b32_e32 v9, 3, v0
	v_or_b32_e32 v10, 0x1000, v9
	s_waitcnt vmcnt(0)
	ds_write_b64 v9, v[5:6] offset:4096
	s_and_saveexec_b64 s[10:11], s[0:1]
	s_cbranch_execz .LBB114_4
; %bb.3:
	v_mad_u64_u32 v[2:3], s[12:13], s18, 3, v[1:2]
	v_mov_b32_e32 v3, 0
	v_mov_b32_e32 v4, s9
	v_lshlrev_b64 v[2:3], 3, v[2:3]
	v_add_co_u32_e32 v2, vcc, s8, v2
	v_addc_co_u32_e32 v3, vcc, v4, v3, vcc
	global_load_dwordx2 v[3:4], v[2:3], off
.LBB114_4:
	s_or_b64 exec, exec, s[10:11]
	v_mov_b32_e32 v5, 0
	v_mov_b32_e32 v7, 0
	;; [unrolled: 1-line block ×4, first 2 shown]
	s_waitcnt vmcnt(0)
	ds_write_b64 v10, v[3:4] offset:2048
	s_and_saveexec_b64 s[8:9], s[0:1]
	s_cbranch_execz .LBB114_6
; %bb.5:
	v_ashrrev_i32_e32 v2, 31, v1
	v_lshlrev_b64 v[2:3], 3, v[1:2]
	s_waitcnt lgkmcnt(0)
	v_mov_b32_e32 v4, s3
	v_add_co_u32_e32 v2, vcc, s2, v2
	v_addc_co_u32_e32 v3, vcc, v4, v3, vcc
	global_load_dwordx2 v[7:8], v[2:3], off
.LBB114_6:
	s_or_b64 exec, exec, s[8:9]
	s_load_dwordx2 s[12:13], s[4:5], 0x10
	s_waitcnt vmcnt(0)
	ds_write_b64 v9, v[7:8]
	s_and_saveexec_b64 s[8:9], s[0:1]
	s_cbranch_execz .LBB114_8
; %bb.7:
	v_mad_u64_u32 v[2:3], s[10:11], s18, 3, v[1:2]
	v_mov_b32_e32 v3, 0
	s_waitcnt lgkmcnt(0)
	v_mov_b32_e32 v4, s3
	v_lshlrev_b64 v[2:3], 3, v[2:3]
	v_add_co_u32_e32 v2, vcc, s2, v2
	v_addc_co_u32_e32 v3, vcc, v4, v3, vcc
	global_load_dwordx2 v[5:6], v[2:3], off
.LBB114_8:
	s_or_b64 exec, exec, s[8:9]
	s_waitcnt vmcnt(0)
	ds_write_b64 v9, v[5:6] offset:2048
	v_mov_b32_e32 v5, 0
	s_mul_i32 s14, s14, s7
	v_mov_b32_e32 v7, 0
	v_mov_b32_e32 v6, 0
	;; [unrolled: 1-line block ×3, first 2 shown]
	v_add_u32_e32 v3, s14, v1
	s_waitcnt lgkmcnt(0)
	s_and_saveexec_b64 s[2:3], s[0:1]
	s_cbranch_execz .LBB114_10
; %bb.9:
	v_ashrrev_i32_e32 v4, 31, v3
	v_lshlrev_b64 v[7:8], 3, v[3:4]
	v_mov_b32_e32 v2, s13
	v_add_co_u32_e32 v7, vcc, s12, v7
	v_addc_co_u32_e32 v8, vcc, v2, v8, vcc
	global_load_dwordx2 v[7:8], v[7:8], off
.LBB114_10:
	s_or_b64 exec, exec, s[2:3]
	v_or_b32_e32 v4, 0x2000, v9
	s_mul_i32 s19, s18, 3
	s_waitcnt vmcnt(0)
	ds_write_b64 v9, v[7:8] offset:8192
	s_and_saveexec_b64 s[2:3], s[0:1]
	s_cbranch_execz .LBB114_12
; %bb.11:
	s_mul_i32 s8, s18, 3
	s_add_i32 s8, s8, s14
	v_add_u32_e32 v5, s8, v1
	v_mov_b32_e32 v6, 0
	v_lshlrev_b64 v[5:6], 3, v[5:6]
	v_mov_b32_e32 v2, s13
	v_add_co_u32_e32 v5, vcc, s12, v5
	v_addc_co_u32_e32 v6, vcc, v2, v6, vcc
	global_load_dwordx2 v[5:6], v[5:6], off
.LBB114_12:
	s_or_b64 exec, exec, s[2:3]
	s_movk_i32 s2, 0x80
	v_cmp_gt_u32_e32 vcc, s2, v0
	s_waitcnt vmcnt(0)
	ds_write_b64 v4, v[5:6] offset:2048
	s_waitcnt lgkmcnt(0)
	s_barrier
	s_and_saveexec_b64 s[2:3], vcc
	s_cbranch_execz .LBB114_14
; %bb.13:
	v_add_u32_e32 v2, v10, v9
	ds_read_b128 v[5:8], v2
	v_add_u32_e32 v37, v9, v9
	ds_read_b128 v[11:14], v37 offset:2048
	ds_read_b128 v[15:18], v37
	ds_read_b128 v[19:22], v2 offset:2048
	v_add_u32_e32 v38, v4, v9
	s_waitcnt lgkmcnt(2)
	v_fma_f64 v[31:32], -v[7:8], v[11:12], 1.0
	v_div_scale_f64 v[23:24], s[8:9], v[31:32], v[31:32], 1.0
	v_rcp_f64_e32 v[25:26], v[23:24]
	v_fma_f64 v[27:28], -v[23:24], v[25:26], 1.0
	v_fma_f64 v[25:26], v[25:26], v[27:28], v[25:26]
	v_div_scale_f64 v[27:28], vcc, 1.0, v[31:32], 1.0
	v_fma_f64 v[29:30], -v[23:24], v[25:26], 1.0
	v_fma_f64 v[25:26], v[25:26], v[29:30], v[25:26]
	v_mul_f64 v[29:30], v[27:28], v[25:26]
	v_fma_f64 v[23:24], -v[23:24], v[29:30], v[27:28]
	v_div_fmas_f64 v[33:34], v[23:24], v[25:26], v[29:30]
	ds_read_b128 v[23:26], v38 offset:2048
	ds_read_b128 v[27:30], v38
	s_waitcnt lgkmcnt(0)
	v_fma_f64 v[35:36], -v[7:8], v[23:24], v[29:30]
	v_fma_f64 v[23:24], -v[11:12], v[29:30], v[23:24]
	v_mul_f64 v[7:8], v[7:8], v[19:20]
	v_mul_f64 v[11:12], v[11:12], v[17:18]
	v_div_fixup_f64 v[31:32], v[33:34], v[31:32], 1.0
	v_mul_f64 v[29:30], v[35:36], v[31:32]
	v_mul_f64 v[23:24], v[31:32], v[23:24]
	v_mul_f64 v[7:8], v[7:8], -v[31:32]
	v_mul_f64 v[17:18], v[31:32], v[17:18]
	v_mul_f64 v[11:12], v[11:12], -v[31:32]
	v_mul_f64 v[19:20], v[31:32], v[19:20]
	v_fma_f64 v[27:28], -v[29:30], v[15:16], v[27:28]
	v_fma_f64 v[25:26], -v[21:22], v[23:24], v[25:26]
	;; [unrolled: 1-line block ×3, first 2 shown]
	v_mul_f64 v[15:16], v[17:18], -v[15:16]
	v_fma_f64 v[13:14], -v[11:12], v[21:22], v[13:14]
	v_mul_f64 v[21:22], v[19:20], -v[21:22]
	ds_write_b128 v38, v[27:30]
	ds_write_b128 v38, v[23:26] offset:2048
	ds_write_b128 v2, v[5:8]
	ds_write_b128 v37, v[15:18]
	ds_write_b128 v37, v[11:14] offset:2048
	ds_write_b128 v2, v[19:22] offset:2048
.LBB114_14:
	s_or_b64 exec, exec, s[2:3]
	v_cmp_gt_u32_e32 vcc, 64, v0
	s_waitcnt lgkmcnt(0)
	s_barrier
	s_and_saveexec_b64 s[2:3], vcc
	s_cbranch_execz .LBB114_16
; %bb.15:
	v_lshlrev_b32_e32 v2, 5, v0
	v_add_u32_e32 v37, 0x1000, v2
	v_add_u32_e32 v38, 0x800, v2
	ds_read2_b64 v[5:8], v37 offset1:2
	ds_read2_b64 v[11:14], v38 offset0:1 offset1:3
	v_mad_u32_u24 v39, v0, 24, v4
	v_add_u32_e32 v40, 0x800, v39
	v_add_u32_e32 v41, 0x1800, v2
	s_waitcnt lgkmcnt(0)
	v_fma_f64 v[31:32], -v[7:8], v[11:12], 1.0
	v_div_scale_f64 v[15:16], s[8:9], v[31:32], v[31:32], 1.0
	v_rcp_f64_e32 v[17:18], v[15:16]
	v_fma_f64 v[19:20], -v[15:16], v[17:18], 1.0
	v_fma_f64 v[17:18], v[17:18], v[19:20], v[17:18]
	v_div_scale_f64 v[19:20], vcc, 1.0, v[31:32], 1.0
	v_fma_f64 v[21:22], -v[15:16], v[17:18], 1.0
	v_fma_f64 v[17:18], v[17:18], v[21:22], v[17:18]
	v_mul_f64 v[21:22], v[19:20], v[17:18]
	v_fma_f64 v[15:16], -v[15:16], v[21:22], v[19:20]
	v_div_fmas_f64 v[33:34], v[15:16], v[17:18], v[21:22]
	ds_read2_b64 v[15:18], v39 offset1:2
	ds_read2_b64 v[19:22], v40 offset0:1 offset1:3
	ds_read2_b64 v[23:26], v41 offset0:1 offset1:3
	ds_read2_b64 v[27:30], v2 offset1:2
	s_waitcnt lgkmcnt(2)
	v_fma_f64 v[35:36], -v[7:8], v[19:20], v[17:18]
	v_fma_f64 v[17:18], -v[11:12], v[17:18], v[19:20]
	s_waitcnt lgkmcnt(1)
	v_mul_f64 v[7:8], v[7:8], v[23:24]
	s_waitcnt lgkmcnt(0)
	v_mul_f64 v[11:12], v[11:12], v[29:30]
	v_div_fixup_f64 v[31:32], v[33:34], v[31:32], 1.0
	v_mul_f64 v[19:20], v[35:36], v[31:32]
	v_mul_f64 v[17:18], v[31:32], v[17:18]
	v_mul_f64 v[7:8], v[7:8], -v[31:32]
	v_mul_f64 v[29:30], v[31:32], v[29:30]
	v_mul_f64 v[11:12], v[11:12], -v[31:32]
	v_mul_f64 v[23:24], v[31:32], v[23:24]
	v_fma_f64 v[15:16], -v[19:20], v[27:28], v[15:16]
	v_fma_f64 v[21:22], -v[25:26], v[17:18], v[21:22]
	;; [unrolled: 1-line block ×3, first 2 shown]
	v_mul_f64 v[27:28], v[29:30], -v[27:28]
	v_fma_f64 v[13:14], -v[11:12], v[25:26], v[13:14]
	v_mul_f64 v[25:26], v[23:24], -v[25:26]
	ds_write2_b64 v39, v[15:16], v[19:20] offset1:2
	ds_write2_b64 v40, v[17:18], v[21:22] offset0:1 offset1:3
	ds_write2_b64 v37, v[5:6], v[7:8] offset1:2
	ds_write2_b64 v2, v[27:28], v[29:30] offset1:2
	ds_write2_b64 v38, v[11:12], v[13:14] offset0:1 offset1:3
	ds_write2_b64 v41, v[23:24], v[25:26] offset0:1 offset1:3
.LBB114_16:
	s_or_b64 exec, exec, s[2:3]
	v_cmp_gt_u32_e32 vcc, 32, v0
	s_waitcnt lgkmcnt(0)
	s_barrier
	s_and_saveexec_b64 s[2:3], vcc
	s_cbranch_execz .LBB114_18
; %bb.17:
	v_lshlrev_b32_e32 v2, 6, v0
	v_add_u32_e32 v37, 0x1000, v2
	v_add_u32_e32 v38, 0x800, v2
	ds_read2_b64 v[5:8], v37 offset1:4
	ds_read2_b64 v[11:14], v38 offset0:3 offset1:7
	v_add_u32_e32 v39, 0x2800, v2
	v_add_u32_e32 v40, 0x2000, v2
	v_add_u32_e32 v41, 0x1800, v2
	s_waitcnt lgkmcnt(0)
	v_fma_f64 v[31:32], -v[7:8], v[11:12], 1.0
	v_div_scale_f64 v[15:16], s[8:9], v[31:32], v[31:32], 1.0
	v_rcp_f64_e32 v[17:18], v[15:16]
	v_fma_f64 v[19:20], -v[15:16], v[17:18], 1.0
	v_fma_f64 v[17:18], v[17:18], v[19:20], v[17:18]
	v_div_scale_f64 v[19:20], vcc, 1.0, v[31:32], 1.0
	v_fma_f64 v[21:22], -v[15:16], v[17:18], 1.0
	v_fma_f64 v[17:18], v[17:18], v[21:22], v[17:18]
	v_mul_f64 v[21:22], v[19:20], v[17:18]
	v_fma_f64 v[15:16], -v[15:16], v[21:22], v[19:20]
	v_div_fmas_f64 v[33:34], v[15:16], v[17:18], v[21:22]
	ds_read2_b64 v[15:18], v39 offset0:3 offset1:7
	ds_read2_b64 v[19:22], v40 offset1:4
	ds_read2_b64 v[23:26], v41 offset0:3 offset1:7
	ds_read2_b64 v[27:30], v2 offset1:4
	s_waitcnt lgkmcnt(2)
	v_fma_f64 v[35:36], -v[7:8], v[15:16], v[21:22]
	v_fma_f64 v[15:16], -v[11:12], v[21:22], v[15:16]
	s_waitcnt lgkmcnt(1)
	v_mul_f64 v[7:8], v[7:8], v[23:24]
	s_waitcnt lgkmcnt(0)
	v_mul_f64 v[11:12], v[11:12], v[29:30]
	v_div_fixup_f64 v[31:32], v[33:34], v[31:32], 1.0
	v_mul_f64 v[21:22], v[35:36], v[31:32]
	v_mul_f64 v[15:16], v[31:32], v[15:16]
	v_mul_f64 v[7:8], v[7:8], -v[31:32]
	v_mul_f64 v[29:30], v[31:32], v[29:30]
	v_mul_f64 v[11:12], v[11:12], -v[31:32]
	v_mul_f64 v[23:24], v[31:32], v[23:24]
	v_fma_f64 v[19:20], -v[21:22], v[27:28], v[19:20]
	v_fma_f64 v[17:18], -v[25:26], v[15:16], v[17:18]
	v_fma_f64 v[5:6], -v[7:8], v[27:28], v[5:6]
	v_mul_f64 v[27:28], v[29:30], -v[27:28]
	v_fma_f64 v[13:14], -v[11:12], v[25:26], v[13:14]
	v_mul_f64 v[25:26], v[23:24], -v[25:26]
	ds_write2_b64 v40, v[19:20], v[21:22] offset1:4
	ds_write2_b64 v39, v[15:16], v[17:18] offset0:3 offset1:7
	ds_write2_b64 v37, v[5:6], v[7:8] offset1:4
	ds_write2_b64 v2, v[27:28], v[29:30] offset1:4
	ds_write2_b64 v38, v[11:12], v[13:14] offset0:3 offset1:7
	ds_write2_b64 v41, v[23:24], v[25:26] offset0:3 offset1:7
.LBB114_18:
	s_or_b64 exec, exec, s[2:3]
	v_cmp_gt_u32_e32 vcc, 16, v0
	s_waitcnt lgkmcnt(0)
	s_barrier
	s_and_saveexec_b64 s[2:3], vcc
	s_cbranch_execz .LBB114_20
; %bb.19:
	v_lshlrev_b32_e32 v2, 7, v0
	v_add_u32_e32 v37, 0x1000, v2
	v_add_u32_e32 v38, 0x800, v2
	ds_read2_b64 v[5:8], v37 offset1:8
	ds_read2_b64 v[11:14], v38 offset0:7 offset1:15
	v_add_u32_e32 v39, 0x2800, v2
	v_add_u32_e32 v40, 0x2000, v2
	v_add_u32_e32 v41, 0x1800, v2
	s_waitcnt lgkmcnt(0)
	v_fma_f64 v[31:32], -v[7:8], v[11:12], 1.0
	v_div_scale_f64 v[15:16], s[8:9], v[31:32], v[31:32], 1.0
	v_rcp_f64_e32 v[17:18], v[15:16]
	v_fma_f64 v[19:20], -v[15:16], v[17:18], 1.0
	v_fma_f64 v[17:18], v[17:18], v[19:20], v[17:18]
	v_div_scale_f64 v[19:20], vcc, 1.0, v[31:32], 1.0
	v_fma_f64 v[21:22], -v[15:16], v[17:18], 1.0
	v_fma_f64 v[17:18], v[17:18], v[21:22], v[17:18]
	v_mul_f64 v[21:22], v[19:20], v[17:18]
	v_fma_f64 v[15:16], -v[15:16], v[21:22], v[19:20]
	v_div_fmas_f64 v[33:34], v[15:16], v[17:18], v[21:22]
	ds_read2_b64 v[15:18], v39 offset0:7 offset1:15
	ds_read2_b64 v[19:22], v40 offset1:8
	ds_read2_b64 v[23:26], v41 offset0:7 offset1:15
	ds_read2_b64 v[27:30], v2 offset1:8
	s_waitcnt lgkmcnt(2)
	v_fma_f64 v[35:36], -v[7:8], v[15:16], v[21:22]
	v_fma_f64 v[15:16], -v[11:12], v[21:22], v[15:16]
	s_waitcnt lgkmcnt(1)
	v_mul_f64 v[7:8], v[7:8], v[23:24]
	s_waitcnt lgkmcnt(0)
	v_mul_f64 v[11:12], v[11:12], v[29:30]
	v_div_fixup_f64 v[31:32], v[33:34], v[31:32], 1.0
	v_mul_f64 v[21:22], v[35:36], v[31:32]
	v_mul_f64 v[15:16], v[31:32], v[15:16]
	v_mul_f64 v[7:8], v[7:8], -v[31:32]
	v_mul_f64 v[29:30], v[31:32], v[29:30]
	v_mul_f64 v[11:12], v[11:12], -v[31:32]
	v_mul_f64 v[23:24], v[31:32], v[23:24]
	v_fma_f64 v[19:20], -v[21:22], v[27:28], v[19:20]
	v_fma_f64 v[17:18], -v[25:26], v[15:16], v[17:18]
	v_fma_f64 v[5:6], -v[7:8], v[27:28], v[5:6]
	v_mul_f64 v[27:28], v[29:30], -v[27:28]
	v_fma_f64 v[13:14], -v[11:12], v[25:26], v[13:14]
	v_mul_f64 v[25:26], v[23:24], -v[25:26]
	ds_write2_b64 v40, v[19:20], v[21:22] offset1:8
	ds_write2_b64 v39, v[15:16], v[17:18] offset0:7 offset1:15
	ds_write2_b64 v37, v[5:6], v[7:8] offset1:8
	ds_write2_b64 v2, v[27:28], v[29:30] offset1:8
	ds_write2_b64 v38, v[11:12], v[13:14] offset0:7 offset1:15
	ds_write2_b64 v41, v[23:24], v[25:26] offset0:7 offset1:15
.LBB114_20:
	;; [unrolled: 58-line block ×4, first 2 shown]
	s_or_b64 exec, exec, s[2:3]
	v_cmp_gt_u32_e32 vcc, 2, v0
	s_waitcnt lgkmcnt(0)
	s_barrier
	s_and_saveexec_b64 s[2:3], vcc
	s_cbranch_execz .LBB114_26
; %bb.25:
	v_lshlrev_b32_e32 v2, 10, v0
	v_add_u32_e32 v37, 0x1f8, v2
	ds_read2st64_b64 v[5:8], v37 offset0:4 offset1:5
	ds_read2st64_b64 v[11:14], v2 offset0:8 offset1:9
	ds_read2st64_b64 v[15:18], v2 offset1:1
	ds_read2st64_b64 v[19:22], v37 offset0:12 offset1:13
	s_waitcnt lgkmcnt(2)
	v_fma_f64 v[31:32], -v[13:14], v[5:6], 1.0
	v_div_scale_f64 v[23:24], s[8:9], v[31:32], v[31:32], 1.0
	v_rcp_f64_e32 v[25:26], v[23:24]
	v_fma_f64 v[27:28], -v[23:24], v[25:26], 1.0
	v_fma_f64 v[25:26], v[25:26], v[27:28], v[25:26]
	v_div_scale_f64 v[27:28], vcc, 1.0, v[31:32], 1.0
	v_fma_f64 v[29:30], -v[23:24], v[25:26], 1.0
	v_fma_f64 v[25:26], v[25:26], v[29:30], v[25:26]
	v_mul_f64 v[29:30], v[27:28], v[25:26]
	v_fma_f64 v[23:24], -v[23:24], v[29:30], v[27:28]
	v_div_fmas_f64 v[33:34], v[23:24], v[25:26], v[29:30]
	ds_read2st64_b64 v[23:26], v2 offset0:16 offset1:17
	ds_read2st64_b64 v[27:30], v37 offset0:20 offset1:21
	s_waitcnt lgkmcnt(0)
	v_fma_f64 v[35:36], -v[13:14], v[27:28], v[25:26]
	v_fma_f64 v[25:26], -v[5:6], v[25:26], v[27:28]
	v_mul_f64 v[13:14], v[13:14], v[19:20]
	v_mul_f64 v[5:6], v[5:6], v[17:18]
	v_div_fixup_f64 v[31:32], v[33:34], v[31:32], 1.0
	v_mul_f64 v[27:28], v[35:36], v[31:32]
	v_mul_f64 v[25:26], v[31:32], v[25:26]
	v_mul_f64 v[13:14], v[13:14], -v[31:32]
	v_mul_f64 v[17:18], v[31:32], v[17:18]
	v_mul_f64 v[5:6], v[5:6], -v[31:32]
	v_mul_f64 v[19:20], v[31:32], v[19:20]
	v_fma_f64 v[23:24], -v[27:28], v[15:16], v[23:24]
	v_fma_f64 v[29:30], -v[21:22], v[25:26], v[29:30]
	;; [unrolled: 1-line block ×3, first 2 shown]
	v_mul_f64 v[15:16], v[17:18], -v[15:16]
	v_fma_f64 v[7:8], -v[5:6], v[21:22], v[7:8]
	v_mul_f64 v[21:22], v[19:20], -v[21:22]
	ds_write2st64_b64 v2, v[23:24], v[27:28] offset0:16 offset1:17
	ds_write2st64_b64 v37, v[25:26], v[29:30] offset0:20 offset1:21
	;; [unrolled: 1-line block ×3, first 2 shown]
	ds_write2st64_b64 v2, v[15:16], v[17:18] offset1:1
	ds_write2st64_b64 v37, v[5:6], v[7:8] offset0:4 offset1:5
	ds_write2st64_b64 v37, v[19:20], v[21:22] offset0:12 offset1:13
.LBB114_26:
	s_or_b64 exec, exec, s[2:3]
	v_cmp_eq_u32_e64 s[2:3], 0, v0
	s_waitcnt lgkmcnt(0)
	s_barrier
	s_and_saveexec_b64 s[8:9], s[2:3]
	s_cbranch_execz .LBB114_28
; %bb.27:
	s_movk_i32 s10, 0x1400
	v_add_u32_e64 v2, s10, 0
	v_mov_b32_e32 v0, 0
	ds_read2_b64 v[5:8], v2 offset1:255
	ds_read_b64 v[19:20], v0 offset:3064
	ds_read_b64 v[21:22], v0 offset:12280
	v_mov_b32_e32 v32, 0x1ff8
	v_mov_b32_e32 v33, 0xff8
	s_waitcnt lgkmcnt(1)
	v_fma_f64 v[23:24], -v[5:6], v[19:20], 1.0
	v_div_scale_f64 v[11:12], s[10:11], v[23:24], v[23:24], 1.0
	s_movk_i32 s10, 0x2400
	v_add_u32_e64 v31, s10, 0
	v_rcp_f64_e32 v[13:14], v[11:12]
	v_fma_f64 v[15:16], -v[11:12], v[13:14], 1.0
	v_fma_f64 v[13:14], v[13:14], v[15:16], v[13:14]
	v_div_scale_f64 v[15:16], vcc, 1.0, v[23:24], 1.0
	v_fma_f64 v[17:18], -v[11:12], v[13:14], 1.0
	v_fma_f64 v[13:14], v[13:14], v[17:18], v[13:14]
	v_mul_f64 v[17:18], v[15:16], v[13:14]
	v_fma_f64 v[11:12], -v[11:12], v[17:18], v[15:16]
	v_div_fmas_f64 v[25:26], v[11:12], v[13:14], v[17:18]
	ds_read2_b64 v[11:14], v31 offset1:255
	ds_read2st64_b64 v[15:18], v0 offset1:2
	s_waitcnt lgkmcnt(1)
	v_fma_f64 v[27:28], -v[19:20], v[11:12], v[13:14]
	s_waitcnt lgkmcnt(0)
	v_mul_f64 v[19:20], v[19:20], v[17:18]
	v_div_fixup_f64 v[23:24], v[25:26], v[23:24], 1.0
	v_fma_f64 v[25:26], -v[5:6], v[13:14], v[11:12]
	v_mul_f64 v[5:6], v[5:6], v[7:8]
	ds_read2_b64 v[11:14], v32 offset1:1
	v_mul_f64 v[27:28], v[23:24], v[27:28]
	v_mul_f64 v[25:26], v[25:26], v[23:24]
	v_mul_f64 v[29:30], v[5:6], -v[23:24]
	v_mul_f64 v[17:18], v[23:24], v[17:18]
	v_mul_f64 v[19:20], v[19:20], -v[23:24]
	v_mul_f64 v[23:24], v[23:24], v[7:8]
	ds_read2_b64 v[5:8], v33 offset1:1
	s_waitcnt lgkmcnt(1)
	v_fma_f64 v[21:22], -v[11:12], v[27:28], v[21:22]
	v_fma_f64 v[13:14], -v[25:26], v[15:16], v[13:14]
	s_waitcnt lgkmcnt(0)
	v_fma_f64 v[7:8], -v[29:30], v[15:16], v[7:8]
	v_mul_f64 v[15:16], v[17:18], -v[15:16]
	v_fma_f64 v[5:6], -v[19:20], v[11:12], v[5:6]
	v_mul_f64 v[11:12], v[23:24], -v[11:12]
	ds_write2_b64 v31, v[25:26], v[27:28] offset1:255
	ds_write_b64 v0, v[19:20] offset:3064
	ds_write2_b64 v2, v[29:30], v[23:24] offset1:255
	ds_write_b64 v0, v[21:22] offset:12280
	ds_write2st64_b64 v0, v[15:16], v[17:18] offset1:2
	ds_write2_b64 v33, v[5:6], v[7:8] offset1:1
	ds_write2_b64 v32, v[11:12], v[13:14] offset1:1
.LBB114_28:
	s_or_b64 exec, exec, s[8:9]
	s_load_dwordx2 s[14:15], s[4:5], 0x48
	s_load_dwordx4 s[8:11], s[4:5], 0x38
	s_waitcnt lgkmcnt(0)
	s_barrier
	s_and_saveexec_b64 s[16:17], s[0:1]
	s_cbranch_execnz .LBB114_31
; %bb.29:
	s_or_b64 exec, exec, s[16:17]
	s_and_saveexec_b64 s[0:1], s[2:3]
	s_cbranch_execnz .LBB114_35
.LBB114_30:
	s_endpgm
.LBB114_31:
	s_cmp_eq_u32 s7, 0
	s_cbranch_scc1 .LBB114_39
; %bb.32:
	s_mul_i32 s18, s18, 3
	s_cbranch_execnz .LBB114_34
.LBB114_33:
	s_load_dwordx4 s[20:23], s[4:5], 0x28
	v_ashrrev_i32_e32 v2, 31, v1
	ds_read2st64_b64 v[5:8], v10 offset1:4
	v_lshlrev_b64 v[10:11], 3, v[1:2]
	s_mov_b32 s18, s19
	s_waitcnt lgkmcnt(0)
	v_mov_b32_e32 v0, s21
	v_add_co_u32_e32 v12, vcc, s20, v10
	v_addc_co_u32_e32 v13, vcc, v0, v11, vcc
	v_add_u32_e32 v0, s19, v1
	v_mov_b32_e32 v1, 0
	v_lshlrev_b64 v[0:1], 3, v[0:1]
	global_store_dwordx2 v[12:13], v[5:6], off
	v_mov_b32_e32 v2, s21
	v_add_co_u32_e32 v5, vcc, s20, v0
	v_addc_co_u32_e32 v6, vcc, v2, v1, vcc
	global_store_dwordx2 v[5:6], v[7:8], off
	ds_read2st64_b64 v[5:8], v9 offset1:4
	v_mov_b32_e32 v2, s23
	v_add_co_u32_e32 v9, vcc, s22, v10
	v_addc_co_u32_e32 v10, vcc, v2, v11, vcc
	v_add_co_u32_e32 v0, vcc, s22, v0
	v_addc_co_u32_e32 v1, vcc, v2, v1, vcc
	s_waitcnt lgkmcnt(0)
	global_store_dwordx2 v[9:10], v[5:6], off
	global_store_dwordx2 v[0:1], v[7:8], off
.LBB114_34:
	ds_read2st64_b64 v[5:8], v4 offset1:4
	v_ashrrev_i32_e32 v4, 31, v3
	v_lshlrev_b64 v[0:1], 3, v[3:4]
	v_mov_b32_e32 v2, s13
	v_add_co_u32_e32 v0, vcc, s12, v0
	v_addc_co_u32_e32 v1, vcc, v2, v1, vcc
	s_waitcnt lgkmcnt(0)
	global_store_dwordx2 v[0:1], v[5:6], off
	v_add_u32_e32 v0, s18, v3
	v_mov_b32_e32 v1, 0
	v_lshlrev_b64 v[0:1], 3, v[0:1]
	v_add_co_u32_e32 v0, vcc, s12, v0
	v_addc_co_u32_e32 v1, vcc, v2, v1, vcc
	global_store_dwordx2 v[0:1], v[7:8], off
	s_or_b64 exec, exec, s[16:17]
	s_and_saveexec_b64 s[0:1], s[2:3]
	s_cbranch_execz .LBB114_30
.LBB114_35:
	s_cmp_eq_u32 s7, 0
	s_cbranch_scc1 .LBB114_40
; %bb.36:
	s_load_dword s2, s[4:5], 0x50
	s_cbranch_execnz .LBB114_38
.LBB114_37:
	v_mov_b32_e32 v0, 0xff8
	ds_read2_b64 v[0:3], v0 offset1:1
	s_mov_b32 s0, s7
	s_ashr_i32 s7, s6, 31
	s_waitcnt lgkmcnt(0)
	s_load_dword s2, s[4:5], 0x50
	s_lshl_b64 s[12:13], s[6:7], 3
	s_mov_b32 s7, s0
	s_add_u32 s0, s10, s12
	s_addc_u32 s1, s11, s13
	v_mov_b32_e32 v6, 0
	ds_read_b64 v[4:5], v6
	global_store_dwordx2 v6, v[2:3], s[0:1]
	ds_read_b64 v[2:3], v6 offset:8184
	s_waitcnt lgkmcnt(0)
	s_add_i32 s0, s2, s6
	s_mov_b32 s1, 0
	s_lshl_b64 s[0:1], s[0:1], 3
	s_add_u32 s4, s10, s0
	s_addc_u32 s5, s11, s1
	global_store_dwordx2 v6, v[2:3], s[4:5]
	s_add_u32 s4, s14, s12
	s_addc_u32 s5, s15, s13
	s_add_u32 s0, s14, s0
	s_addc_u32 s1, s15, s1
	global_store_dwordx2 v6, v[4:5], s[4:5]
	global_store_dwordx2 v6, v[0:1], s[0:1]
.LBB114_38:
	s_waitcnt lgkmcnt(0)
	s_mul_i32 s0, s2, s7
	s_lshl_b32 s0, s0, 1
	s_add_i32 s0, s0, s6
	s_mov_b32 s1, 0
	v_mov_b32_e32 v4, 0
	s_lshl_b64 s[4:5], s[0:1], 3
	ds_read_b64 v[0:1], v4 offset:8192
	ds_read_b64 v[2:3], v4 offset:12280
	s_add_u32 s4, s8, s4
	s_addc_u32 s5, s9, s5
	s_add_i32 s0, s0, s2
	s_lshl_b64 s[0:1], s[0:1], 3
	s_add_u32 s0, s8, s0
	s_addc_u32 s1, s9, s1
	s_waitcnt lgkmcnt(1)
	global_store_dwordx2 v4, v[0:1], s[4:5]
	s_waitcnt lgkmcnt(0)
	global_store_dwordx2 v4, v[2:3], s[0:1]
	s_endpgm
.LBB114_39:
                                        ; implicit-def: $sgpr18
	s_branch .LBB114_33
.LBB114_40:
                                        ; implicit-def: $sgpr2
	s_branch .LBB114_37
	.section	.rodata,"a",@progbits
	.p2align	6, 0x0
	.amdhsa_kernel _ZN9rocsparseL29gtsv_spike_block_level_kernelILj256ELj4EdEEviiiPT1_PKS1_S4_S2_S2_S2_S2_S2_
		.amdhsa_group_segment_fixed_size 12288
		.amdhsa_private_segment_fixed_size 0
		.amdhsa_kernarg_size 336
		.amdhsa_user_sgpr_count 6
		.amdhsa_user_sgpr_private_segment_buffer 1
		.amdhsa_user_sgpr_dispatch_ptr 0
		.amdhsa_user_sgpr_queue_ptr 0
		.amdhsa_user_sgpr_kernarg_segment_ptr 1
		.amdhsa_user_sgpr_dispatch_id 0
		.amdhsa_user_sgpr_flat_scratch_init 0
		.amdhsa_user_sgpr_private_segment_size 0
		.amdhsa_uses_dynamic_stack 0
		.amdhsa_system_sgpr_private_segment_wavefront_offset 0
		.amdhsa_system_sgpr_workgroup_id_x 1
		.amdhsa_system_sgpr_workgroup_id_y 1
		.amdhsa_system_sgpr_workgroup_id_z 0
		.amdhsa_system_sgpr_workgroup_info 0
		.amdhsa_system_vgpr_workitem_id 0
		.amdhsa_next_free_vgpr 42
		.amdhsa_next_free_sgpr 98
		.amdhsa_reserve_vcc 1
		.amdhsa_reserve_flat_scratch 0
		.amdhsa_float_round_mode_32 0
		.amdhsa_float_round_mode_16_64 0
		.amdhsa_float_denorm_mode_32 3
		.amdhsa_float_denorm_mode_16_64 3
		.amdhsa_dx10_clamp 1
		.amdhsa_ieee_mode 1
		.amdhsa_fp16_overflow 0
		.amdhsa_exception_fp_ieee_invalid_op 0
		.amdhsa_exception_fp_denorm_src 0
		.amdhsa_exception_fp_ieee_div_zero 0
		.amdhsa_exception_fp_ieee_overflow 0
		.amdhsa_exception_fp_ieee_underflow 0
		.amdhsa_exception_fp_ieee_inexact 0
		.amdhsa_exception_int_div_zero 0
	.end_amdhsa_kernel
	.section	.text._ZN9rocsparseL29gtsv_spike_block_level_kernelILj256ELj4EdEEviiiPT1_PKS1_S4_S2_S2_S2_S2_S2_,"axG",@progbits,_ZN9rocsparseL29gtsv_spike_block_level_kernelILj256ELj4EdEEviiiPT1_PKS1_S4_S2_S2_S2_S2_S2_,comdat
.Lfunc_end114:
	.size	_ZN9rocsparseL29gtsv_spike_block_level_kernelILj256ELj4EdEEviiiPT1_PKS1_S4_S2_S2_S2_S2_S2_, .Lfunc_end114-_ZN9rocsparseL29gtsv_spike_block_level_kernelILj256ELj4EdEEviiiPT1_PKS1_S4_S2_S2_S2_S2_S2_
                                        ; -- End function
	.set _ZN9rocsparseL29gtsv_spike_block_level_kernelILj256ELj4EdEEviiiPT1_PKS1_S4_S2_S2_S2_S2_S2_.num_vgpr, 42
	.set _ZN9rocsparseL29gtsv_spike_block_level_kernelILj256ELj4EdEEviiiPT1_PKS1_S4_S2_S2_S2_S2_S2_.num_agpr, 0
	.set _ZN9rocsparseL29gtsv_spike_block_level_kernelILj256ELj4EdEEviiiPT1_PKS1_S4_S2_S2_S2_S2_S2_.numbered_sgpr, 24
	.set _ZN9rocsparseL29gtsv_spike_block_level_kernelILj256ELj4EdEEviiiPT1_PKS1_S4_S2_S2_S2_S2_S2_.num_named_barrier, 0
	.set _ZN9rocsparseL29gtsv_spike_block_level_kernelILj256ELj4EdEEviiiPT1_PKS1_S4_S2_S2_S2_S2_S2_.private_seg_size, 0
	.set _ZN9rocsparseL29gtsv_spike_block_level_kernelILj256ELj4EdEEviiiPT1_PKS1_S4_S2_S2_S2_S2_S2_.uses_vcc, 1
	.set _ZN9rocsparseL29gtsv_spike_block_level_kernelILj256ELj4EdEEviiiPT1_PKS1_S4_S2_S2_S2_S2_S2_.uses_flat_scratch, 0
	.set _ZN9rocsparseL29gtsv_spike_block_level_kernelILj256ELj4EdEEviiiPT1_PKS1_S4_S2_S2_S2_S2_S2_.has_dyn_sized_stack, 0
	.set _ZN9rocsparseL29gtsv_spike_block_level_kernelILj256ELj4EdEEviiiPT1_PKS1_S4_S2_S2_S2_S2_S2_.has_recursion, 0
	.set _ZN9rocsparseL29gtsv_spike_block_level_kernelILj256ELj4EdEEviiiPT1_PKS1_S4_S2_S2_S2_S2_S2_.has_indirect_call, 0
	.section	.AMDGPU.csdata,"",@progbits
; Kernel info:
; codeLenInByte = 4220
; TotalNumSgprs: 28
; NumVgprs: 42
; ScratchSize: 0
; MemoryBound: 0
; FloatMode: 240
; IeeeMode: 1
; LDSByteSize: 12288 bytes/workgroup (compile time only)
; SGPRBlocks: 12
; VGPRBlocks: 10
; NumSGPRsForWavesPerEU: 102
; NumVGPRsForWavesPerEU: 42
; Occupancy: 5
; WaveLimiterHint : 0
; COMPUTE_PGM_RSRC2:SCRATCH_EN: 0
; COMPUTE_PGM_RSRC2:USER_SGPR: 6
; COMPUTE_PGM_RSRC2:TRAP_HANDLER: 0
; COMPUTE_PGM_RSRC2:TGID_X_EN: 1
; COMPUTE_PGM_RSRC2:TGID_Y_EN: 1
; COMPUTE_PGM_RSRC2:TGID_Z_EN: 0
; COMPUTE_PGM_RSRC2:TIDIG_COMP_CNT: 0
	.section	.text._ZN9rocsparseL33gtsv_solve_spike_propagate_kernelILj256ELj4EdEEviiiPT1_PKS1_S4_S4_,"axG",@progbits,_ZN9rocsparseL33gtsv_solve_spike_propagate_kernelILj256ELj4EdEEviiiPT1_PKS1_S4_S4_,comdat
	.globl	_ZN9rocsparseL33gtsv_solve_spike_propagate_kernelILj256ELj4EdEEviiiPT1_PKS1_S4_S4_ ; -- Begin function _ZN9rocsparseL33gtsv_solve_spike_propagate_kernelILj256ELj4EdEEviiiPT1_PKS1_S4_S4_
	.p2align	8
	.type	_ZN9rocsparseL33gtsv_solve_spike_propagate_kernelILj256ELj4EdEEviiiPT1_PKS1_S4_S4_,@function
_ZN9rocsparseL33gtsv_solve_spike_propagate_kernelILj256ELj4EdEEviiiPT1_PKS1_S4_S4_: ; @_ZN9rocsparseL33gtsv_solve_spike_propagate_kernelILj256ELj4EdEEviiiPT1_PKS1_S4_S4_
; %bb.0:
	s_load_dword s10, s[4:5], 0x0
	v_lshl_or_b32 v1, s6, 8, v0
	v_mov_b32_e32 v3, 0
	v_mov_b32_e32 v5, 0
	;; [unrolled: 1-line block ×3, first 2 shown]
	s_waitcnt lgkmcnt(0)
	s_lshr_b32 s14, s10, 2
	v_cmp_le_i32_e64 s[0:1], s14, v1
	v_cmp_gt_i32_e32 vcc, s14, v1
	v_mov_b32_e32 v6, 0
	v_ashrrev_i32_e32 v2, 31, v1
	s_and_saveexec_b64 s[8:9], vcc
	s_cbranch_execz .LBB115_2
; %bb.1:
	s_load_dwordx2 s[12:13], s[4:5], 0x18
	v_lshlrev_b64 v[3:4], 3, v[1:2]
	v_mad_u64_u32 v[5:6], s[2:3], s14, 3, v[1:2]
	s_waitcnt lgkmcnt(0)
	v_mov_b32_e32 v6, s13
	v_add_co_u32_e64 v7, s[2:3], s12, v3
	v_addc_co_u32_e64 v8, s[2:3], v6, v4, s[2:3]
	v_mov_b32_e32 v6, 0
	v_lshlrev_b64 v[3:4], 3, v[5:6]
	v_mov_b32_e32 v5, s13
	v_add_co_u32_e64 v9, s[2:3], s12, v3
	v_addc_co_u32_e64 v10, s[2:3], v5, v4, s[2:3]
	global_load_dwordx2 v[3:4], v[7:8], off
	global_load_dwordx2 v[5:6], v[9:10], off
.LBB115_2:
	s_or_b64 exec, exec, s[8:9]
	s_load_dwordx2 s[2:3], s[4:5], 0x10
	v_lshlrev_b32_e32 v7, 3, v0
	v_add_u32_e32 v8, 16, v7
	s_waitcnt vmcnt(0)
	ds_write2st64_b64 v8, v[3:4], v[5:6] offset0:16 offset1:20
	s_and_saveexec_b64 s[8:9], s[0:1]
	s_xor_b64 s[0:1], exec, s[8:9]
; %bb.3:
	s_mov_b32 s8, 0
	s_mov_b32 s9, s8
	v_mov_b32_e32 v2, s8
	v_mov_b32_e32 v3, s9
	ds_write2st64_b64 v8, v[2:3], v[2:3] offset0:8 offset1:12
; %bb.4:
	s_or_saveexec_b64 s[8:9], s[0:1]
	v_mov_b32_e32 v3, 0
	v_mov_b32_e32 v5, 0
	;; [unrolled: 1-line block ×4, first 2 shown]
	s_mul_i32 s10, s10, s7
	s_xor_b64 exec, exec, s[8:9]
	s_cbranch_execz .LBB115_6
; %bb.5:
	s_load_dwordx2 s[12:13], s[4:5], 0x20
	v_mad_u64_u32 v[8:9], s[0:1], s14, 3, v[1:2]
	v_lshlrev_b64 v[5:6], 3, v[1:2]
	v_mov_b32_e32 v9, 0
	s_waitcnt lgkmcnt(0)
	v_mov_b32_e32 v2, s13
	v_add_co_u32_e64 v5, s[0:1], s12, v5
	v_lshlrev_b64 v[10:11], 3, v[8:9]
	v_addc_co_u32_e64 v6, s[0:1], v2, v6, s[0:1]
	v_add_co_u32_e64 v10, s[0:1], s12, v10
	v_add_u32_e32 v8, s10, v8
	v_addc_co_u32_e64 v11, s[0:1], v2, v11, s[0:1]
	global_load_dwordx2 v[12:13], v[5:6], off
	global_load_dwordx2 v[14:15], v[10:11], off
	v_lshlrev_b64 v[5:6], 3, v[8:9]
	v_mov_b32_e32 v2, s3
	v_add_co_u32_e64 v5, s[0:1], s2, v5
	v_addc_co_u32_e64 v6, s[0:1], v2, v6, s[0:1]
	global_load_dwordx2 v[5:6], v[5:6], off
	v_add_u32_e32 v2, 16, v7
	s_waitcnt vmcnt(1)
	ds_write2st64_b64 v2, v[12:13], v[14:15] offset0:8 offset1:12
.LBB115_6:
	s_or_b64 exec, exec, s[8:9]
	v_add_u32_e32 v1, s10, v1
	s_waitcnt vmcnt(0)
	ds_write_b64 v7, v[5:6] offset:8
	s_and_saveexec_b64 s[8:9], vcc
	s_cbranch_execz .LBB115_8
; %bb.7:
	v_ashrrev_i32_e32 v2, 31, v1
	v_lshlrev_b64 v[2:3], 3, v[1:2]
	s_waitcnt lgkmcnt(0)
	v_mov_b32_e32 v4, s3
	v_add_co_u32_e64 v2, s[0:1], s2, v2
	v_addc_co_u32_e64 v3, s[0:1], v4, v3, s[0:1]
	global_load_dwordx2 v[3:4], v[2:3], off
.LBB115_8:
	s_or_b64 exec, exec, s[8:9]
	v_cmp_eq_u32_e64 s[0:1], 0, v0
	s_waitcnt vmcnt(0)
	ds_write_b64 v7, v[3:4] offset:2056
	s_waitcnt lgkmcnt(0)
	s_barrier
	s_and_saveexec_b64 s[8:9], s[0:1]
	s_cbranch_execz .LBB115_14
; %bb.9:
	s_load_dword s15, s[4:5], 0x30
	s_load_dwordx2 s[10:11], s[4:5], 0x28
	s_cmp_lt_i32 s6, 1
	s_mov_b64 s[4:5], 0
	s_mov_b64 s[12:13], 0
	s_waitcnt lgkmcnt(0)
	s_mul_i32 s7, s7, s15
	s_cbranch_scc1 .LBB115_11
; %bb.10:
	s_lshl_b32 s12, s7, 1
	s_add_i32 s13, s6, s15
	s_add_i32 s12, s13, s12
	s_add_i32 s12, s12, -1
	s_mov_b32 s13, 0
	s_lshl_b64 s[12:13], s[12:13], 3
	s_add_u32 s12, s10, s12
	s_addc_u32 s13, s11, s13
	s_load_dwordx2 s[12:13], s[12:13], 0x0
.LBB115_11:
	s_waitcnt lgkmcnt(0)
	v_mov_b32_e32 v3, s12
	v_mov_b32_e32 v4, s13
	s_add_i32 s12, s15, -1
	v_mov_b32_e32 v2, 0
	s_cmp_ge_u32 s6, s12
	ds_write_b64 v2, v[3:4]
	s_cbranch_scc1 .LBB115_13
; %bb.12:
	s_lshl_b32 s4, s7, 1
	s_add_i32 s4, s6, s4
	s_add_i32 s4, s4, 1
	s_mov_b32 s5, 0
	s_lshl_b64 s[4:5], s[4:5], 3
	s_add_u32 s4, s10, s4
	s_addc_u32 s5, s11, s5
	s_load_dwordx2 s[4:5], s[4:5], 0x0
.LBB115_13:
	s_lshl_b32 s7, s7, 1
	s_add_i32 s6, s7, s6
	s_mov_b32 s7, 0
	s_lshl_b64 s[12:13], s[6:7], 3
	s_add_u32 s12, s10, s12
	s_addc_u32 s13, s11, s13
	s_add_i32 s6, s6, s15
	s_lshl_b64 s[6:7], s[6:7], 3
	s_add_u32 s6, s10, s6
	s_addc_u32 s7, s11, s7
	s_load_dwordx2 s[10:11], s[6:7], 0x0
	s_load_dwordx2 s[16:17], s[12:13], 0x0
	s_waitcnt lgkmcnt(0)
	v_mov_b32_e32 v3, s4
	v_mov_b32_e32 v4, s5
	ds_write_b64 v2, v[3:4] offset:4104
	v_mov_b32_e32 v3, s10
	v_mov_b32_e32 v4, s11
	;; [unrolled: 1-line block ×4, first 2 shown]
	ds_write_b128 v2, v[3:6] offset:2048
.LBB115_14:
	s_or_b64 exec, exec, s[8:9]
	s_waitcnt lgkmcnt(0)
	s_barrier
	s_and_saveexec_b64 s[4:5], s[0:1]
	s_cbranch_execz .LBB115_16
; %bb.15:
	s_movk_i32 s0, 0x1410
	v_mov_b32_e32 v6, 0
	v_add_u32_e64 v12, s0, 0
	v_add_u32_e64 v8, 8, 0
	ds_read2st64_b64 v[2:5], v6 offset1:2
	ds_read2st64_b64 v[8:11], v8 offset0:6 offset1:8
	ds_read2_b64 v[12:15], v12 offset1:255
	s_movk_i32 s0, 0x2410
	s_waitcnt lgkmcnt(0)
	v_fma_f64 v[4:5], -v[14:15], v[10:11], v[4:5]
	v_fma_f64 v[12:13], -v[12:13], v[10:11], v[8:9]
	v_add_u32_e64 v8, s0, 0
	ds_read2_b64 v[8:11], v8 offset1:255
	s_waitcnt lgkmcnt(0)
	v_fma_f64 v[4:5], -v[10:11], v[2:3], v[4:5]
	v_fma_f64 v[2:3], -v[8:9], v[2:3], v[12:13]
	ds_write_b64 v6, v[4:5] offset:1024
	ds_write_b64 v6, v[2:3] offset:3080
.LBB115_16:
	s_or_b64 exec, exec, s[4:5]
	v_cmp_gt_u32_e64 s[0:1], 2, v0
	s_waitcnt lgkmcnt(0)
	s_barrier
	s_and_saveexec_b64 s[4:5], s[0:1]
	s_cbranch_execz .LBB115_18
; %bb.17:
	s_movk_i32 s0, 0x3f8
	v_mad_u32_u24 v6, v0, s0, v7
	v_lshlrev_b32_e32 v16, 10, v0
	v_add_u32_e32 v8, 0x1210, v16
	v_add_u32_e32 v12, 8, v6
	ds_read2st64_b64 v[2:5], v6 offset1:1
	ds_read2_b64 v[8:11], v8 offset1:255
	ds_read2st64_b64 v[12:15], v12 offset0:5 offset1:6
	s_waitcnt lgkmcnt(0)
	v_fma_f64 v[4:5], -v[10:11], v[14:15], v[4:5]
	v_fma_f64 v[12:13], -v[8:9], v[14:15], v[12:13]
	v_add_u32_e32 v8, 0x2210, v16
	ds_read2_b64 v[8:11], v8 offset1:255
	s_waitcnt lgkmcnt(0)
	v_fma_f64 v[4:5], -v[10:11], v[2:3], v[4:5]
	v_fma_f64 v[2:3], -v[8:9], v[2:3], v[12:13]
	ds_write_b64 v6, v[4:5] offset:512
	ds_write_b64 v6, v[2:3] offset:2568
.LBB115_18:
	s_or_b64 exec, exec, s[4:5]
	v_cmp_gt_u32_e64 s[0:1], 4, v0
	s_waitcnt lgkmcnt(0)
	s_barrier
	s_and_saveexec_b64 s[4:5], s[0:1]
	s_cbranch_execz .LBB115_20
; %bb.19:
	v_lshlrev_b32_e32 v6, 9, v0
	v_add_u32_e32 v8, 0x1110, v6
	v_add_u32_e32 v12, 0x800, v6
	ds_read2_b64 v[2:5], v6 offset1:32
	ds_read2_b64 v[8:11], v8 offset1:255
	ds_read2_b64 v[12:15], v12 offset0:33 offset1:65
	s_waitcnt lgkmcnt(0)
	v_fma_f64 v[4:5], -v[10:11], v[14:15], v[4:5]
	v_fma_f64 v[12:13], -v[8:9], v[14:15], v[12:13]
	v_add_u32_e32 v8, 0x2110, v6
	ds_read2_b64 v[8:11], v8 offset1:255
	s_waitcnt lgkmcnt(0)
	v_fma_f64 v[4:5], -v[10:11], v[2:3], v[4:5]
	v_fma_f64 v[2:3], -v[8:9], v[2:3], v[12:13]
	ds_write_b64 v6, v[4:5] offset:256
	ds_write_b64 v6, v[2:3] offset:2312
.LBB115_20:
	s_or_b64 exec, exec, s[4:5]
	v_cmp_gt_u32_e64 s[0:1], 8, v0
	s_waitcnt lgkmcnt(0)
	s_barrier
	s_and_saveexec_b64 s[4:5], s[0:1]
	s_cbranch_execz .LBB115_22
; %bb.21:
	v_lshlrev_b32_e32 v6, 8, v0
	v_add_u32_e32 v8, 0x1090, v6
	v_add_u32_e32 v12, 0x800, v6
	ds_read2_b64 v[2:5], v6 offset1:16
	ds_read2_b64 v[8:11], v8 offset1:255
	ds_read2_b64 v[12:15], v12 offset0:17 offset1:33
	s_waitcnt lgkmcnt(0)
	v_fma_f64 v[4:5], -v[10:11], v[14:15], v[4:5]
	v_fma_f64 v[12:13], -v[8:9], v[14:15], v[12:13]
	v_add_u32_e32 v8, 0x2090, v6
	ds_read2_b64 v[8:11], v8 offset1:255
	s_waitcnt lgkmcnt(0)
	v_fma_f64 v[4:5], -v[10:11], v[2:3], v[4:5]
	v_fma_f64 v[2:3], -v[8:9], v[2:3], v[12:13]
	ds_write_b64 v6, v[4:5] offset:128
	ds_write_b64 v6, v[2:3] offset:2184
.LBB115_22:
	;; [unrolled: 24-line block ×5, first 2 shown]
	s_or_b64 exec, exec, s[4:5]
	s_movk_i32 s0, 0x80
	v_cmp_gt_u32_e64 s[0:1], s0, v0
	s_waitcnt lgkmcnt(0)
	s_barrier
	s_and_saveexec_b64 s[4:5], s[0:1]
	s_cbranch_execz .LBB115_30
; %bb.29:
	v_lshlrev_b32_e32 v0, 4, v0
	v_add_u32_e32 v6, 0x1018, v0
	ds_read_b128 v[2:5], v0
	ds_read_b128 v[8:11], v0 offset:2064
	ds_read2_b64 v[12:15], v6 offset1:255
	v_add_u32_e32 v6, 0x2018, v0
	s_waitcnt lgkmcnt(0)
	v_fma_f64 v[4:5], -v[14:15], v[10:11], v[4:5]
	v_fma_f64 v[12:13], -v[12:13], v[10:11], v[8:9]
	ds_read2_b64 v[8:11], v6 offset1:255
	s_waitcnt lgkmcnt(0)
	v_fma_f64 v[4:5], -v[10:11], v[2:3], v[4:5]
	v_fma_f64 v[2:3], -v[8:9], v[2:3], v[12:13]
	ds_write_b64 v0, v[4:5] offset:8
	ds_write_b64 v0, v[2:3] offset:2064
.LBB115_30:
	s_or_b64 exec, exec, s[4:5]
	s_waitcnt lgkmcnt(0)
	s_barrier
	s_and_saveexec_b64 s[0:1], vcc
	s_cbranch_execz .LBB115_32
; %bb.31:
	v_add_u32_e32 v0, 8, v7
	ds_read2st64_b64 v[3:6], v0 offset1:4
	v_ashrrev_i32_e32 v2, 31, v1
	v_lshlrev_b64 v[7:8], 3, v[1:2]
	v_mov_b32_e32 v2, s3
	v_mad_u64_u32 v[0:1], s[0:1], s14, 3, v[1:2]
	v_add_co_u32_e32 v1, vcc, s2, v7
	v_addc_co_u32_e32 v2, vcc, v2, v8, vcc
	s_waitcnt lgkmcnt(0)
	global_store_dwordx2 v[1:2], v[5:6], off
	v_mov_b32_e32 v1, 0
	v_lshlrev_b64 v[0:1], 3, v[0:1]
	v_mov_b32_e32 v2, s3
	v_add_co_u32_e32 v0, vcc, s2, v0
	v_addc_co_u32_e32 v1, vcc, v2, v1, vcc
	global_store_dwordx2 v[0:1], v[3:4], off
.LBB115_32:
	s_endpgm
	.section	.rodata,"a",@progbits
	.p2align	6, 0x0
	.amdhsa_kernel _ZN9rocsparseL33gtsv_solve_spike_propagate_kernelILj256ELj4EdEEviiiPT1_PKS1_S4_S4_
		.amdhsa_group_segment_fixed_size 12304
		.amdhsa_private_segment_fixed_size 0
		.amdhsa_kernarg_size 304
		.amdhsa_user_sgpr_count 6
		.amdhsa_user_sgpr_private_segment_buffer 1
		.amdhsa_user_sgpr_dispatch_ptr 0
		.amdhsa_user_sgpr_queue_ptr 0
		.amdhsa_user_sgpr_kernarg_segment_ptr 1
		.amdhsa_user_sgpr_dispatch_id 0
		.amdhsa_user_sgpr_flat_scratch_init 0
		.amdhsa_user_sgpr_private_segment_size 0
		.amdhsa_uses_dynamic_stack 0
		.amdhsa_system_sgpr_private_segment_wavefront_offset 0
		.amdhsa_system_sgpr_workgroup_id_x 1
		.amdhsa_system_sgpr_workgroup_id_y 1
		.amdhsa_system_sgpr_workgroup_id_z 0
		.amdhsa_system_sgpr_workgroup_info 0
		.amdhsa_system_vgpr_workitem_id 0
		.amdhsa_next_free_vgpr 41
		.amdhsa_next_free_sgpr 98
		.amdhsa_reserve_vcc 1
		.amdhsa_reserve_flat_scratch 0
		.amdhsa_float_round_mode_32 0
		.amdhsa_float_round_mode_16_64 0
		.amdhsa_float_denorm_mode_32 3
		.amdhsa_float_denorm_mode_16_64 3
		.amdhsa_dx10_clamp 1
		.amdhsa_ieee_mode 1
		.amdhsa_fp16_overflow 0
		.amdhsa_exception_fp_ieee_invalid_op 0
		.amdhsa_exception_fp_denorm_src 0
		.amdhsa_exception_fp_ieee_div_zero 0
		.amdhsa_exception_fp_ieee_overflow 0
		.amdhsa_exception_fp_ieee_underflow 0
		.amdhsa_exception_fp_ieee_inexact 0
		.amdhsa_exception_int_div_zero 0
	.end_amdhsa_kernel
	.section	.text._ZN9rocsparseL33gtsv_solve_spike_propagate_kernelILj256ELj4EdEEviiiPT1_PKS1_S4_S4_,"axG",@progbits,_ZN9rocsparseL33gtsv_solve_spike_propagate_kernelILj256ELj4EdEEviiiPT1_PKS1_S4_S4_,comdat
.Lfunc_end115:
	.size	_ZN9rocsparseL33gtsv_solve_spike_propagate_kernelILj256ELj4EdEEviiiPT1_PKS1_S4_S4_, .Lfunc_end115-_ZN9rocsparseL33gtsv_solve_spike_propagate_kernelILj256ELj4EdEEviiiPT1_PKS1_S4_S4_
                                        ; -- End function
	.set _ZN9rocsparseL33gtsv_solve_spike_propagate_kernelILj256ELj4EdEEviiiPT1_PKS1_S4_S4_.num_vgpr, 17
	.set _ZN9rocsparseL33gtsv_solve_spike_propagate_kernelILj256ELj4EdEEviiiPT1_PKS1_S4_S4_.num_agpr, 0
	.set _ZN9rocsparseL33gtsv_solve_spike_propagate_kernelILj256ELj4EdEEviiiPT1_PKS1_S4_S4_.numbered_sgpr, 18
	.set _ZN9rocsparseL33gtsv_solve_spike_propagate_kernelILj256ELj4EdEEviiiPT1_PKS1_S4_S4_.num_named_barrier, 0
	.set _ZN9rocsparseL33gtsv_solve_spike_propagate_kernelILj256ELj4EdEEviiiPT1_PKS1_S4_S4_.private_seg_size, 0
	.set _ZN9rocsparseL33gtsv_solve_spike_propagate_kernelILj256ELj4EdEEviiiPT1_PKS1_S4_S4_.uses_vcc, 1
	.set _ZN9rocsparseL33gtsv_solve_spike_propagate_kernelILj256ELj4EdEEviiiPT1_PKS1_S4_S4_.uses_flat_scratch, 0
	.set _ZN9rocsparseL33gtsv_solve_spike_propagate_kernelILj256ELj4EdEEviiiPT1_PKS1_S4_S4_.has_dyn_sized_stack, 0
	.set _ZN9rocsparseL33gtsv_solve_spike_propagate_kernelILj256ELj4EdEEviiiPT1_PKS1_S4_S4_.has_recursion, 0
	.set _ZN9rocsparseL33gtsv_solve_spike_propagate_kernelILj256ELj4EdEEviiiPT1_PKS1_S4_S4_.has_indirect_call, 0
	.section	.AMDGPU.csdata,"",@progbits
; Kernel info:
; codeLenInByte = 2036
; TotalNumSgprs: 22
; NumVgprs: 17
; ScratchSize: 0
; MemoryBound: 0
; FloatMode: 240
; IeeeMode: 1
; LDSByteSize: 12304 bytes/workgroup (compile time only)
; SGPRBlocks: 12
; VGPRBlocks: 10
; NumSGPRsForWavesPerEU: 102
; NumVGPRsForWavesPerEU: 41
; Occupancy: 5
; WaveLimiterHint : 0
; COMPUTE_PGM_RSRC2:SCRATCH_EN: 0
; COMPUTE_PGM_RSRC2:USER_SGPR: 6
; COMPUTE_PGM_RSRC2:TRAP_HANDLER: 0
; COMPUTE_PGM_RSRC2:TGID_X_EN: 1
; COMPUTE_PGM_RSRC2:TGID_Y_EN: 1
; COMPUTE_PGM_RSRC2:TGID_Z_EN: 0
; COMPUTE_PGM_RSRC2:TIDIG_COMP_CNT: 0
	.section	.text._ZN9rocsparseL39gtsv_spike_backward_substitution_kernelILj256ELj4EdEEviiiPT1_PKS1_S4_,"axG",@progbits,_ZN9rocsparseL39gtsv_spike_backward_substitution_kernelILj256ELj4EdEEviiiPT1_PKS1_S4_,comdat
	.globl	_ZN9rocsparseL39gtsv_spike_backward_substitution_kernelILj256ELj4EdEEviiiPT1_PKS1_S4_ ; -- Begin function _ZN9rocsparseL39gtsv_spike_backward_substitution_kernelILj256ELj4EdEEviiiPT1_PKS1_S4_
	.p2align	8
	.type	_ZN9rocsparseL39gtsv_spike_backward_substitution_kernelILj256ELj4EdEEviiiPT1_PKS1_S4_,@function
_ZN9rocsparseL39gtsv_spike_backward_substitution_kernelILj256ELj4EdEEviiiPT1_PKS1_S4_: ; @_ZN9rocsparseL39gtsv_spike_backward_substitution_kernelILj256ELj4EdEEviiiPT1_PKS1_S4_
; %bb.0:
	s_load_dword s11, s[4:5], 0x0
	v_lshl_or_b32 v4, s6, 8, v0
	s_waitcnt lgkmcnt(0)
	s_lshr_b32 s6, s11, 2
	v_cmp_gt_i32_e32 vcc, s6, v4
	s_and_saveexec_b64 s[0:1], vcc
	s_cbranch_execz .LBB116_6
; %bb.1:
	s_load_dwordx2 s[8:9], s[4:5], 0x10
	v_mov_b32_e32 v0, 0
	v_cmp_lt_i32_e32 vcc, 0, v4
	v_mov_b32_e32 v1, 0
	s_mul_i32 s10, s11, s7
	s_and_saveexec_b64 s[0:1], vcc
	s_cbranch_execz .LBB116_3
; %bb.2:
	s_mul_i32 s2, s6, 3
	s_mul_i32 s3, s11, s7
	s_add_i32 s2, s2, s3
	v_add3_u32 v0, v4, s2, -1
	v_mov_b32_e32 v1, 0
	v_lshlrev_b64 v[0:1], 3, v[0:1]
	s_waitcnt lgkmcnt(0)
	v_mov_b32_e32 v2, s9
	v_add_co_u32_e32 v0, vcc, s8, v0
	v_addc_co_u32_e32 v1, vcc, v2, v1, vcc
	global_load_dwordx2 v[0:1], v[0:1], off
.LBB116_3:
	s_or_b64 exec, exec, s[0:1]
	s_load_dwordx4 s[0:3], s[4:5], 0x18
	v_add_u32_e32 v2, 4, v4
	v_cmp_le_u32_e32 vcc, s11, v2
	s_and_saveexec_b64 s[4:5], vcc
	s_xor_b64 s[4:5], exec, s[4:5]
	s_or_saveexec_b64 s[4:5], s[4:5]
	v_mov_b32_e32 v2, 0
	v_mov_b32_e32 v3, 0
	;; [unrolled: 1-line block ×3, first 2 shown]
	s_xor_b64 exec, exec, s[4:5]
	s_cbranch_execz .LBB116_5
; %bb.4:
	s_ashr_i32 s7, s10, 31
	v_ashrrev_i32_e32 v3, 31, v4
	v_mov_b32_e32 v5, s7
	v_add_co_u32_e32 v2, vcc, s10, v4
	v_addc_co_u32_e32 v3, vcc, v3, v5, vcc
	v_lshlrev_b64 v[2:3], 3, v[2:3]
	s_waitcnt lgkmcnt(0)
	v_mov_b32_e32 v5, s9
	v_add_co_u32_e32 v2, vcc, s8, v2
	v_addc_co_u32_e32 v3, vcc, v5, v3, vcc
	global_load_dwordx2 v[2:3], v[2:3], off offset:8
	v_mov_b32_e32 v5, s10
.LBB116_5:
	s_or_b64 exec, exec, s[4:5]
	v_add_u32_e32 v6, s6, v4
	v_add_u32_e32 v7, v6, v5
	v_ashrrev_i32_e32 v8, 31, v7
	v_lshlrev_b64 v[7:8], 3, v[7:8]
	s_waitcnt lgkmcnt(0)
	v_mov_b32_e32 v4, s9
	v_add_co_u32_e32 v9, vcc, s8, v7
	v_ashrrev_i32_e32 v7, 31, v6
	v_addc_co_u32_e32 v10, vcc, v4, v8, vcc
	v_lshlrev_b64 v[7:8], 3, v[6:7]
	v_mov_b32_e32 v4, s1
	v_add_co_u32_e32 v13, vcc, s0, v7
	v_addc_co_u32_e32 v14, vcc, v4, v8, vcc
	global_load_dwordx2 v[11:12], v[9:10], off
	v_mov_b32_e32 v4, s3
	global_load_dwordx2 v[13:14], v[13:14], off
	v_add_co_u32_e32 v7, vcc, s2, v7
	v_addc_co_u32_e32 v8, vcc, v4, v8, vcc
	global_load_dwordx2 v[7:8], v[7:8], off
	v_add_u32_e32 v4, s6, v6
	v_mov_b32_e32 v16, s1
	v_mov_b32_e32 v15, s9
	s_waitcnt vmcnt(1)
	v_fma_f64 v[11:12], -v[0:1], v[13:14], v[11:12]
	v_add_u32_e32 v13, v4, v5
	v_ashrrev_i32_e32 v5, 31, v4
	v_lshlrev_b64 v[4:5], 3, v[4:5]
	v_ashrrev_i32_e32 v14, 31, v13
	v_lshlrev_b64 v[13:14], 3, v[13:14]
	s_waitcnt vmcnt(0)
	v_fma_f64 v[6:7], -v[2:3], v[7:8], v[11:12]
	v_add_co_u32_e32 v11, vcc, s0, v4
	v_addc_co_u32_e32 v12, vcc, v16, v5, vcc
	v_add_co_u32_e32 v13, vcc, s8, v13
	v_addc_co_u32_e32 v14, vcc, v15, v14, vcc
	global_store_dwordx2 v[9:10], v[6:7], off
	global_load_dwordx2 v[6:7], v[13:14], off
	s_nop 0
	global_load_dwordx2 v[8:9], v[11:12], off
	v_mov_b32_e32 v10, s3
	v_add_co_u32_e32 v4, vcc, s2, v4
	v_addc_co_u32_e32 v5, vcc, v10, v5, vcc
	global_load_dwordx2 v[4:5], v[4:5], off
	s_waitcnt vmcnt(1)
	v_fma_f64 v[0:1], -v[0:1], v[8:9], v[6:7]
	s_waitcnt vmcnt(0)
	v_fma_f64 v[0:1], -v[2:3], v[4:5], v[0:1]
	global_store_dwordx2 v[13:14], v[0:1], off
.LBB116_6:
	s_endpgm
	.section	.rodata,"a",@progbits
	.p2align	6, 0x0
	.amdhsa_kernel _ZN9rocsparseL39gtsv_spike_backward_substitution_kernelILj256ELj4EdEEviiiPT1_PKS1_S4_
		.amdhsa_group_segment_fixed_size 0
		.amdhsa_private_segment_fixed_size 0
		.amdhsa_kernarg_size 40
		.amdhsa_user_sgpr_count 6
		.amdhsa_user_sgpr_private_segment_buffer 1
		.amdhsa_user_sgpr_dispatch_ptr 0
		.amdhsa_user_sgpr_queue_ptr 0
		.amdhsa_user_sgpr_kernarg_segment_ptr 1
		.amdhsa_user_sgpr_dispatch_id 0
		.amdhsa_user_sgpr_flat_scratch_init 0
		.amdhsa_user_sgpr_private_segment_size 0
		.amdhsa_uses_dynamic_stack 0
		.amdhsa_system_sgpr_private_segment_wavefront_offset 0
		.amdhsa_system_sgpr_workgroup_id_x 1
		.amdhsa_system_sgpr_workgroup_id_y 1
		.amdhsa_system_sgpr_workgroup_id_z 0
		.amdhsa_system_sgpr_workgroup_info 0
		.amdhsa_system_vgpr_workitem_id 0
		.amdhsa_next_free_vgpr 17
		.amdhsa_next_free_sgpr 12
		.amdhsa_reserve_vcc 1
		.amdhsa_reserve_flat_scratch 0
		.amdhsa_float_round_mode_32 0
		.amdhsa_float_round_mode_16_64 0
		.amdhsa_float_denorm_mode_32 3
		.amdhsa_float_denorm_mode_16_64 3
		.amdhsa_dx10_clamp 1
		.amdhsa_ieee_mode 1
		.amdhsa_fp16_overflow 0
		.amdhsa_exception_fp_ieee_invalid_op 0
		.amdhsa_exception_fp_denorm_src 0
		.amdhsa_exception_fp_ieee_div_zero 0
		.amdhsa_exception_fp_ieee_overflow 0
		.amdhsa_exception_fp_ieee_underflow 0
		.amdhsa_exception_fp_ieee_inexact 0
		.amdhsa_exception_int_div_zero 0
	.end_amdhsa_kernel
	.section	.text._ZN9rocsparseL39gtsv_spike_backward_substitution_kernelILj256ELj4EdEEviiiPT1_PKS1_S4_,"axG",@progbits,_ZN9rocsparseL39gtsv_spike_backward_substitution_kernelILj256ELj4EdEEviiiPT1_PKS1_S4_,comdat
.Lfunc_end116:
	.size	_ZN9rocsparseL39gtsv_spike_backward_substitution_kernelILj256ELj4EdEEviiiPT1_PKS1_S4_, .Lfunc_end116-_ZN9rocsparseL39gtsv_spike_backward_substitution_kernelILj256ELj4EdEEviiiPT1_PKS1_S4_
                                        ; -- End function
	.set _ZN9rocsparseL39gtsv_spike_backward_substitution_kernelILj256ELj4EdEEviiiPT1_PKS1_S4_.num_vgpr, 17
	.set _ZN9rocsparseL39gtsv_spike_backward_substitution_kernelILj256ELj4EdEEviiiPT1_PKS1_S4_.num_agpr, 0
	.set _ZN9rocsparseL39gtsv_spike_backward_substitution_kernelILj256ELj4EdEEviiiPT1_PKS1_S4_.numbered_sgpr, 12
	.set _ZN9rocsparseL39gtsv_spike_backward_substitution_kernelILj256ELj4EdEEviiiPT1_PKS1_S4_.num_named_barrier, 0
	.set _ZN9rocsparseL39gtsv_spike_backward_substitution_kernelILj256ELj4EdEEviiiPT1_PKS1_S4_.private_seg_size, 0
	.set _ZN9rocsparseL39gtsv_spike_backward_substitution_kernelILj256ELj4EdEEviiiPT1_PKS1_S4_.uses_vcc, 1
	.set _ZN9rocsparseL39gtsv_spike_backward_substitution_kernelILj256ELj4EdEEviiiPT1_PKS1_S4_.uses_flat_scratch, 0
	.set _ZN9rocsparseL39gtsv_spike_backward_substitution_kernelILj256ELj4EdEEviiiPT1_PKS1_S4_.has_dyn_sized_stack, 0
	.set _ZN9rocsparseL39gtsv_spike_backward_substitution_kernelILj256ELj4EdEEviiiPT1_PKS1_S4_.has_recursion, 0
	.set _ZN9rocsparseL39gtsv_spike_backward_substitution_kernelILj256ELj4EdEEviiiPT1_PKS1_S4_.has_indirect_call, 0
	.section	.AMDGPU.csdata,"",@progbits
; Kernel info:
; codeLenInByte = 496
; TotalNumSgprs: 16
; NumVgprs: 17
; ScratchSize: 0
; MemoryBound: 0
; FloatMode: 240
; IeeeMode: 1
; LDSByteSize: 0 bytes/workgroup (compile time only)
; SGPRBlocks: 1
; VGPRBlocks: 4
; NumSGPRsForWavesPerEU: 16
; NumVGPRsForWavesPerEU: 17
; Occupancy: 10
; WaveLimiterHint : 0
; COMPUTE_PGM_RSRC2:SCRATCH_EN: 0
; COMPUTE_PGM_RSRC2:USER_SGPR: 6
; COMPUTE_PGM_RSRC2:TRAP_HANDLER: 0
; COMPUTE_PGM_RSRC2:TGID_X_EN: 1
; COMPUTE_PGM_RSRC2:TGID_Y_EN: 1
; COMPUTE_PGM_RSRC2:TGID_Z_EN: 0
; COMPUTE_PGM_RSRC2:TIDIG_COMP_CNT: 0
	.section	.text._ZN9rocsparseL32gtsv_transpose_back_array_kernelILj256ELj4EdEEviiiPKT1_PS1_,"axG",@progbits,_ZN9rocsparseL32gtsv_transpose_back_array_kernelILj256ELj4EdEEviiiPKT1_PS1_,comdat
	.globl	_ZN9rocsparseL32gtsv_transpose_back_array_kernelILj256ELj4EdEEviiiPKT1_PS1_ ; -- Begin function _ZN9rocsparseL32gtsv_transpose_back_array_kernelILj256ELj4EdEEviiiPKT1_PS1_
	.p2align	8
	.type	_ZN9rocsparseL32gtsv_transpose_back_array_kernelILj256ELj4EdEEviiiPKT1_PS1_,@function
_ZN9rocsparseL32gtsv_transpose_back_array_kernelILj256ELj4EdEEviiiPKT1_PS1_: ; @_ZN9rocsparseL32gtsv_transpose_back_array_kernelILj256ELj4EdEEviiiPKT1_PS1_
; %bb.0:
	s_load_dwordx4 s[0:3], s[4:5], 0x0
	v_lshl_or_b32 v0, s6, 8, v0
	v_lshlrev_b32_e32 v3, 2, v0
	s_waitcnt lgkmcnt(0)
	v_cvt_f32_u32_e32 v1, s1
	s_sub_i32 s3, 0, s1
	v_rcp_iflag_f32_e32 v1, v1
	v_mul_f32_e32 v1, 0x4f7ffffe, v1
	v_cvt_u32_f32_e32 v1, v1
	v_mul_lo_u32 v2, s3, v1
	v_mul_hi_u32 v2, v1, v2
	v_add_u32_e32 v1, v1, v2
	v_mul_hi_u32 v1, v3, v1
	v_mul_lo_u32 v2, v1, s1
	v_add_u32_e32 v4, 1, v1
	v_sub_u32_e32 v2, v3, v2
	v_cmp_le_u32_e32 vcc, s1, v2
	v_cndmask_b32_e32 v1, v1, v4, vcc
	v_subrev_u32_e32 v4, s1, v2
	v_cndmask_b32_e32 v2, v2, v4, vcc
	v_add_u32_e32 v4, 1, v1
	v_cmp_le_u32_e32 vcc, s1, v2
	v_cndmask_b32_e32 v1, v1, v4, vcc
	v_mul_lo_u32 v2, v1, s1
	v_sub_u32_e32 v2, v3, v2
	v_add_u32_e32 v1, v1, v2
	v_cmp_gt_i32_e32 vcc, s0, v1
	s_and_saveexec_b64 s[8:9], vcc
	s_cbranch_execz .LBB117_2
; %bb.1:
	s_load_dwordx4 s[8:11], s[4:5], 0x10
	s_mul_i32 s0, s1, s7
	v_add_u32_e32 v2, s0, v0
	v_ashrrev_i32_e32 v3, 31, v2
	v_lshlrev_b64 v[2:3], 3, v[2:3]
	s_waitcnt lgkmcnt(0)
	v_mov_b32_e32 v0, s9
	v_add_co_u32_e32 v2, vcc, s8, v2
	v_addc_co_u32_e32 v3, vcc, v0, v3, vcc
	global_load_dwordx2 v[2:3], v[2:3], off
	s_mul_i32 s0, s2, s7
	v_add_u32_e32 v0, s0, v1
	v_ashrrev_i32_e32 v1, 31, v0
	v_lshlrev_b64 v[0:1], 3, v[0:1]
	v_mov_b32_e32 v4, s11
	v_add_co_u32_e32 v0, vcc, s10, v0
	v_addc_co_u32_e32 v1, vcc, v4, v1, vcc
	s_waitcnt vmcnt(0)
	global_store_dwordx2 v[0:1], v[2:3], off
.LBB117_2:
	s_endpgm
	.section	.rodata,"a",@progbits
	.p2align	6, 0x0
	.amdhsa_kernel _ZN9rocsparseL32gtsv_transpose_back_array_kernelILj256ELj4EdEEviiiPKT1_PS1_
		.amdhsa_group_segment_fixed_size 0
		.amdhsa_private_segment_fixed_size 0
		.amdhsa_kernarg_size 32
		.amdhsa_user_sgpr_count 6
		.amdhsa_user_sgpr_private_segment_buffer 1
		.amdhsa_user_sgpr_dispatch_ptr 0
		.amdhsa_user_sgpr_queue_ptr 0
		.amdhsa_user_sgpr_kernarg_segment_ptr 1
		.amdhsa_user_sgpr_dispatch_id 0
		.amdhsa_user_sgpr_flat_scratch_init 0
		.amdhsa_user_sgpr_private_segment_size 0
		.amdhsa_uses_dynamic_stack 0
		.amdhsa_system_sgpr_private_segment_wavefront_offset 0
		.amdhsa_system_sgpr_workgroup_id_x 1
		.amdhsa_system_sgpr_workgroup_id_y 1
		.amdhsa_system_sgpr_workgroup_id_z 0
		.amdhsa_system_sgpr_workgroup_info 0
		.amdhsa_system_vgpr_workitem_id 0
		.amdhsa_next_free_vgpr 5
		.amdhsa_next_free_sgpr 12
		.amdhsa_reserve_vcc 1
		.amdhsa_reserve_flat_scratch 0
		.amdhsa_float_round_mode_32 0
		.amdhsa_float_round_mode_16_64 0
		.amdhsa_float_denorm_mode_32 3
		.amdhsa_float_denorm_mode_16_64 3
		.amdhsa_dx10_clamp 1
		.amdhsa_ieee_mode 1
		.amdhsa_fp16_overflow 0
		.amdhsa_exception_fp_ieee_invalid_op 0
		.amdhsa_exception_fp_denorm_src 0
		.amdhsa_exception_fp_ieee_div_zero 0
		.amdhsa_exception_fp_ieee_overflow 0
		.amdhsa_exception_fp_ieee_underflow 0
		.amdhsa_exception_fp_ieee_inexact 0
		.amdhsa_exception_int_div_zero 0
	.end_amdhsa_kernel
	.section	.text._ZN9rocsparseL32gtsv_transpose_back_array_kernelILj256ELj4EdEEviiiPKT1_PS1_,"axG",@progbits,_ZN9rocsparseL32gtsv_transpose_back_array_kernelILj256ELj4EdEEviiiPKT1_PS1_,comdat
.Lfunc_end117:
	.size	_ZN9rocsparseL32gtsv_transpose_back_array_kernelILj256ELj4EdEEviiiPKT1_PS1_, .Lfunc_end117-_ZN9rocsparseL32gtsv_transpose_back_array_kernelILj256ELj4EdEEviiiPKT1_PS1_
                                        ; -- End function
	.set _ZN9rocsparseL32gtsv_transpose_back_array_kernelILj256ELj4EdEEviiiPKT1_PS1_.num_vgpr, 5
	.set _ZN9rocsparseL32gtsv_transpose_back_array_kernelILj256ELj4EdEEviiiPKT1_PS1_.num_agpr, 0
	.set _ZN9rocsparseL32gtsv_transpose_back_array_kernelILj256ELj4EdEEviiiPKT1_PS1_.numbered_sgpr, 12
	.set _ZN9rocsparseL32gtsv_transpose_back_array_kernelILj256ELj4EdEEviiiPKT1_PS1_.num_named_barrier, 0
	.set _ZN9rocsparseL32gtsv_transpose_back_array_kernelILj256ELj4EdEEviiiPKT1_PS1_.private_seg_size, 0
	.set _ZN9rocsparseL32gtsv_transpose_back_array_kernelILj256ELj4EdEEviiiPKT1_PS1_.uses_vcc, 1
	.set _ZN9rocsparseL32gtsv_transpose_back_array_kernelILj256ELj4EdEEviiiPKT1_PS1_.uses_flat_scratch, 0
	.set _ZN9rocsparseL32gtsv_transpose_back_array_kernelILj256ELj4EdEEviiiPKT1_PS1_.has_dyn_sized_stack, 0
	.set _ZN9rocsparseL32gtsv_transpose_back_array_kernelILj256ELj4EdEEviiiPKT1_PS1_.has_recursion, 0
	.set _ZN9rocsparseL32gtsv_transpose_back_array_kernelILj256ELj4EdEEviiiPKT1_PS1_.has_indirect_call, 0
	.section	.AMDGPU.csdata,"",@progbits
; Kernel info:
; codeLenInByte = 248
; TotalNumSgprs: 16
; NumVgprs: 5
; ScratchSize: 0
; MemoryBound: 0
; FloatMode: 240
; IeeeMode: 1
; LDSByteSize: 0 bytes/workgroup (compile time only)
; SGPRBlocks: 1
; VGPRBlocks: 1
; NumSGPRsForWavesPerEU: 16
; NumVGPRsForWavesPerEU: 5
; Occupancy: 10
; WaveLimiterHint : 0
; COMPUTE_PGM_RSRC2:SCRATCH_EN: 0
; COMPUTE_PGM_RSRC2:USER_SGPR: 6
; COMPUTE_PGM_RSRC2:TRAP_HANDLER: 0
; COMPUTE_PGM_RSRC2:TGID_X_EN: 1
; COMPUTE_PGM_RSRC2:TGID_Y_EN: 1
; COMPUTE_PGM_RSRC2:TGID_Z_EN: 0
; COMPUTE_PGM_RSRC2:TIDIG_COMP_CNT: 0
	.section	.text._ZN9rocsparseL42gtsv_transpose_and_pad_array_shared_kernelILj256ELj8EdEEviiiPKT1_PS1_S1_,"axG",@progbits,_ZN9rocsparseL42gtsv_transpose_and_pad_array_shared_kernelILj256ELj8EdEEviiiPKT1_PS1_S1_,comdat
	.globl	_ZN9rocsparseL42gtsv_transpose_and_pad_array_shared_kernelILj256ELj8EdEEviiiPKT1_PS1_S1_ ; -- Begin function _ZN9rocsparseL42gtsv_transpose_and_pad_array_shared_kernelILj256ELj8EdEEviiiPKT1_PS1_S1_
	.p2align	8
	.type	_ZN9rocsparseL42gtsv_transpose_and_pad_array_shared_kernelILj256ELj8EdEEviiiPKT1_PS1_S1_,@function
_ZN9rocsparseL42gtsv_transpose_and_pad_array_shared_kernelILj256ELj8EdEEviiiPKT1_PS1_S1_: ; @_ZN9rocsparseL42gtsv_transpose_and_pad_array_shared_kernelILj256ELj8EdEEviiiPKT1_PS1_S1_
; %bb.0:
	s_load_dwordx4 s[0:3], s[4:5], 0x0
	s_load_dwordx2 s[8:9], s[4:5], 0x20
	v_lshl_or_b32 v3, s6, 8, v0
	s_waitcnt lgkmcnt(0)
	v_cmp_gt_i32_e32 vcc, s0, v3
	v_mov_b32_e32 v1, s8
	v_mov_b32_e32 v2, s9
	s_and_saveexec_b64 s[8:9], vcc
	s_cbranch_execz .LBB118_2
; %bb.1:
	s_load_dwordx2 s[10:11], s[4:5], 0x10
	s_mul_i32 s0, s2, s7
	v_add_u32_e32 v1, s0, v3
	v_ashrrev_i32_e32 v2, 31, v1
	v_lshlrev_b64 v[1:2], 3, v[1:2]
	s_waitcnt lgkmcnt(0)
	v_mov_b32_e32 v3, s11
	v_add_co_u32_e32 v1, vcc, s10, v1
	v_addc_co_u32_e32 v2, vcc, v3, v2, vcc
	global_load_dwordx2 v[1:2], v[1:2], off
.LBB118_2:
	s_or_b64 exec, exec, s[8:9]
	v_lshrrev_b32_e32 v3, 5, v0
	v_and_b32_e32 v4, 31, v0
	v_lshlrev_b32_e32 v0, 3, v0
	s_waitcnt vmcnt(0)
	ds_write_b64 v0, v[1:2]
	s_lshr_b32 s0, s1, 3
	v_lshl_or_b32 v0, s6, 5, v4
	v_mad_u64_u32 v[0:1], s[2:3], s0, v3, v[0:1]
	s_waitcnt lgkmcnt(0)
	s_barrier
	v_cmp_gt_i32_e32 vcc, s1, v0
	s_and_saveexec_b64 s[2:3], vcc
	s_cbranch_execz .LBB118_4
; %bb.3:
	s_load_dwordx2 s[2:3], s[4:5], 0x18
	v_lshlrev_b32_e32 v1, 3, v3
	s_mul_i32 s0, s1, s7
	v_lshl_or_b32 v1, v4, 6, v1
	v_add_u32_e32 v3, s0, v0
	ds_read_b64 v[1:2], v1
	v_ashrrev_i32_e32 v4, 31, v3
	v_lshlrev_b64 v[3:4], 3, v[3:4]
	s_waitcnt lgkmcnt(0)
	v_mov_b32_e32 v0, s3
	v_add_co_u32_e32 v3, vcc, s2, v3
	v_addc_co_u32_e32 v4, vcc, v0, v4, vcc
	global_store_dwordx2 v[3:4], v[1:2], off
.LBB118_4:
	s_endpgm
	.section	.rodata,"a",@progbits
	.p2align	6, 0x0
	.amdhsa_kernel _ZN9rocsparseL42gtsv_transpose_and_pad_array_shared_kernelILj256ELj8EdEEviiiPKT1_PS1_S1_
		.amdhsa_group_segment_fixed_size 2048
		.amdhsa_private_segment_fixed_size 0
		.amdhsa_kernarg_size 40
		.amdhsa_user_sgpr_count 6
		.amdhsa_user_sgpr_private_segment_buffer 1
		.amdhsa_user_sgpr_dispatch_ptr 0
		.amdhsa_user_sgpr_queue_ptr 0
		.amdhsa_user_sgpr_kernarg_segment_ptr 1
		.amdhsa_user_sgpr_dispatch_id 0
		.amdhsa_user_sgpr_flat_scratch_init 0
		.amdhsa_user_sgpr_private_segment_size 0
		.amdhsa_uses_dynamic_stack 0
		.amdhsa_system_sgpr_private_segment_wavefront_offset 0
		.amdhsa_system_sgpr_workgroup_id_x 1
		.amdhsa_system_sgpr_workgroup_id_y 1
		.amdhsa_system_sgpr_workgroup_id_z 0
		.amdhsa_system_sgpr_workgroup_info 0
		.amdhsa_system_vgpr_workitem_id 0
		.amdhsa_next_free_vgpr 5
		.amdhsa_next_free_sgpr 12
		.amdhsa_reserve_vcc 1
		.amdhsa_reserve_flat_scratch 0
		.amdhsa_float_round_mode_32 0
		.amdhsa_float_round_mode_16_64 0
		.amdhsa_float_denorm_mode_32 3
		.amdhsa_float_denorm_mode_16_64 3
		.amdhsa_dx10_clamp 1
		.amdhsa_ieee_mode 1
		.amdhsa_fp16_overflow 0
		.amdhsa_exception_fp_ieee_invalid_op 0
		.amdhsa_exception_fp_denorm_src 0
		.amdhsa_exception_fp_ieee_div_zero 0
		.amdhsa_exception_fp_ieee_overflow 0
		.amdhsa_exception_fp_ieee_underflow 0
		.amdhsa_exception_fp_ieee_inexact 0
		.amdhsa_exception_int_div_zero 0
	.end_amdhsa_kernel
	.section	.text._ZN9rocsparseL42gtsv_transpose_and_pad_array_shared_kernelILj256ELj8EdEEviiiPKT1_PS1_S1_,"axG",@progbits,_ZN9rocsparseL42gtsv_transpose_and_pad_array_shared_kernelILj256ELj8EdEEviiiPKT1_PS1_S1_,comdat
.Lfunc_end118:
	.size	_ZN9rocsparseL42gtsv_transpose_and_pad_array_shared_kernelILj256ELj8EdEEviiiPKT1_PS1_S1_, .Lfunc_end118-_ZN9rocsparseL42gtsv_transpose_and_pad_array_shared_kernelILj256ELj8EdEEviiiPKT1_PS1_S1_
                                        ; -- End function
	.set _ZN9rocsparseL42gtsv_transpose_and_pad_array_shared_kernelILj256ELj8EdEEviiiPKT1_PS1_S1_.num_vgpr, 5
	.set _ZN9rocsparseL42gtsv_transpose_and_pad_array_shared_kernelILj256ELj8EdEEviiiPKT1_PS1_S1_.num_agpr, 0
	.set _ZN9rocsparseL42gtsv_transpose_and_pad_array_shared_kernelILj256ELj8EdEEviiiPKT1_PS1_S1_.numbered_sgpr, 12
	.set _ZN9rocsparseL42gtsv_transpose_and_pad_array_shared_kernelILj256ELj8EdEEviiiPKT1_PS1_S1_.num_named_barrier, 0
	.set _ZN9rocsparseL42gtsv_transpose_and_pad_array_shared_kernelILj256ELj8EdEEviiiPKT1_PS1_S1_.private_seg_size, 0
	.set _ZN9rocsparseL42gtsv_transpose_and_pad_array_shared_kernelILj256ELj8EdEEviiiPKT1_PS1_S1_.uses_vcc, 1
	.set _ZN9rocsparseL42gtsv_transpose_and_pad_array_shared_kernelILj256ELj8EdEEviiiPKT1_PS1_S1_.uses_flat_scratch, 0
	.set _ZN9rocsparseL42gtsv_transpose_and_pad_array_shared_kernelILj256ELj8EdEEviiiPKT1_PS1_S1_.has_dyn_sized_stack, 0
	.set _ZN9rocsparseL42gtsv_transpose_and_pad_array_shared_kernelILj256ELj8EdEEviiiPKT1_PS1_S1_.has_recursion, 0
	.set _ZN9rocsparseL42gtsv_transpose_and_pad_array_shared_kernelILj256ELj8EdEEviiiPKT1_PS1_S1_.has_indirect_call, 0
	.section	.AMDGPU.csdata,"",@progbits
; Kernel info:
; codeLenInByte = 244
; TotalNumSgprs: 16
; NumVgprs: 5
; ScratchSize: 0
; MemoryBound: 0
; FloatMode: 240
; IeeeMode: 1
; LDSByteSize: 2048 bytes/workgroup (compile time only)
; SGPRBlocks: 1
; VGPRBlocks: 1
; NumSGPRsForWavesPerEU: 16
; NumVGPRsForWavesPerEU: 5
; Occupancy: 10
; WaveLimiterHint : 0
; COMPUTE_PGM_RSRC2:SCRATCH_EN: 0
; COMPUTE_PGM_RSRC2:USER_SGPR: 6
; COMPUTE_PGM_RSRC2:TRAP_HANDLER: 0
; COMPUTE_PGM_RSRC2:TGID_X_EN: 1
; COMPUTE_PGM_RSRC2:TGID_Y_EN: 1
; COMPUTE_PGM_RSRC2:TGID_Z_EN: 0
; COMPUTE_PGM_RSRC2:TIDIG_COMP_CNT: 0
	.section	.text._ZN9rocsparseL18gtsv_LBM_wv_kernelILj256ELj8EdEEviiiPKT1_S3_S3_PS1_S4_S4_Pi,"axG",@progbits,_ZN9rocsparseL18gtsv_LBM_wv_kernelILj256ELj8EdEEviiiPKT1_S3_S3_PS1_S4_S4_Pi,comdat
	.globl	_ZN9rocsparseL18gtsv_LBM_wv_kernelILj256ELj8EdEEviiiPKT1_S3_S3_PS1_S4_S4_Pi ; -- Begin function _ZN9rocsparseL18gtsv_LBM_wv_kernelILj256ELj8EdEEviiiPKT1_S3_S3_PS1_S4_S4_Pi
	.p2align	8
	.type	_ZN9rocsparseL18gtsv_LBM_wv_kernelILj256ELj8EdEEviiiPKT1_S3_S3_PS1_S4_S4_Pi,@function
_ZN9rocsparseL18gtsv_LBM_wv_kernelILj256ELj8EdEEviiiPKT1_S3_S3_PS1_S4_S4_Pi: ; @_ZN9rocsparseL18gtsv_LBM_wv_kernelILj256ELj8EdEEviiiPKT1_S3_S3_PS1_S4_S4_Pi
; %bb.0:
	s_load_dword s27, s[4:5], 0x0
	v_lshl_or_b32 v0, s6, 8, v0
	s_waitcnt lgkmcnt(0)
	s_lshr_b32 s26, s27, 3
	v_cmp_gt_i32_e32 vcc, s26, v0
	s_and_saveexec_b64 s[0:1], vcc
	s_cbranch_execz .LBB119_30
; %bb.1:
	s_load_dwordx2 s[16:17], s[4:5], 0x10
	s_load_dwordx8 s[8:15], s[4:5], 0x20
	v_ashrrev_i32_e32 v1, 31, v0
	v_lshlrev_b64 v[4:5], 3, v[0:1]
	s_mul_i32 s28, s26, 7
	s_waitcnt lgkmcnt(0)
	v_mov_b32_e32 v2, s17
	v_add_co_u32_e32 v1, vcc, s16, v4
	v_addc_co_u32_e32 v2, vcc, v2, v5, vcc
	global_load_dwordx2 v[6:7], v[1:2], off
	v_add_u32_e32 v2, s28, v0
	v_mov_b32_e32 v3, 0
	v_lshlrev_b64 v[8:9], 3, v[2:3]
	v_mov_b32_e32 v2, s9
	v_add_co_u32_e32 v1, vcc, s8, v8
	v_addc_co_u32_e32 v2, vcc, v2, v9, vcc
	global_load_dwordx2 v[10:11], v[1:2], off
	s_load_dwordx2 s[6:7], s[4:5], 0x40
	v_mov_b32_e32 v2, s11
	v_add_co_u32_e32 v1, vcc, s10, v4
	v_addc_co_u32_e32 v2, vcc, v2, v5, vcc
	s_cmp_lt_i32 s27, 1
	v_add_u32_e32 v35, s26, v0
	v_mov_b32_e32 v12, s13
	v_add_co_u32_e32 v8, vcc, s12, v8
	v_addc_co_u32_e32 v9, vcc, v12, v9, vcc
	s_waitcnt vmcnt(1)
	global_store_dwordx2 v[1:2], v[6:7], off
	s_waitcnt vmcnt(1)
	global_store_dwordx2 v[8:9], v[10:11], off
	s_cbranch_scc1 .LBB119_23
; %bb.2:
	s_load_dwordx2 s[18:19], s[4:5], 0x18
	s_mov_b32 s22, 0x372fe950
	s_mul_i32 s29, s26, 6
	s_lshl_b32 s30, s26, 1
	v_add_u32_e32 v36, s26, v35
	s_waitcnt lgkmcnt(0)
	v_mov_b32_e32 v6, s19
	v_add_co_u32_e32 v3, vcc, s18, v4
	v_addc_co_u32_e32 v4, vcc, v6, v5, vcc
	global_load_dwordx2 v[5:6], v[3:4], off
	v_mov_b32_e32 v3, 0
	s_mov_b64 s[20:21], 0
	s_mov_b32 s23, 0x3fe3c6ef
	v_mov_b32_e32 v37, 2
	v_mov_b32_e32 v38, 1
	s_branch .LBB119_5
.LBB119_3:                              ;   in Loop: Header=BB119_5 Depth=1
	s_or_b64 exec, exec, s[4:5]
	v_fma_f64 v[5:6], -v[4:5], v[21:22], v[9:10]
	v_mov_b32_e32 v4, s26
.LBB119_4:                              ;   in Loop: Header=BB119_5 Depth=1
	s_or_b64 exec, exec, s[2:3]
	v_add_u32_e32 v3, v4, v3
	v_cmp_le_i32_e32 vcc, s27, v3
	s_or_b64 s[20:21], vcc, s[20:21]
	s_andn2_b64 exec, exec, s[20:21]
	s_cbranch_execz .LBB119_22
.LBB119_5:                              ; =>This Inner Loop Header: Depth=1
	v_add_u32_e32 v15, v3, v0
	v_ashrrev_i32_e32 v16, 31, v15
	v_lshlrev_b64 v[13:14], 3, v[15:16]
	v_mov_b32_e32 v4, s9
	v_add_co_u32_e32 v7, vcc, s8, v13
	v_addc_co_u32_e32 v8, vcc, v4, v14, vcc
	global_load_dwordx2 v[11:12], v[7:8], off
	v_mov_b32_e32 v9, 0
	v_mov_b32_e32 v7, 0
	;; [unrolled: 1-line block ×4, first 2 shown]
	v_cmp_gt_u32_e64 s[0:1], s28, v3
	s_and_saveexec_b64 s[2:3], s[0:1]
	s_cbranch_execz .LBB119_7
; %bb.6:                                ;   in Loop: Header=BB119_5 Depth=1
	v_add_u32_e32 v7, v35, v3
	v_ashrrev_i32_e32 v8, 31, v7
	v_lshlrev_b64 v[7:8], 3, v[7:8]
	v_mov_b32_e32 v4, s17
	v_add_co_u32_e32 v7, vcc, s16, v7
	v_addc_co_u32_e32 v8, vcc, v4, v8, vcc
	global_load_dwordx2 v[7:8], v[7:8], off
.LBB119_7:                              ;   in Loop: Header=BB119_5 Depth=1
	s_or_b64 exec, exec, s[2:3]
	s_and_saveexec_b64 s[2:3], s[0:1]
	s_cbranch_execz .LBB119_9
; %bb.8:                                ;   in Loop: Header=BB119_5 Depth=1
	v_add_u32_e32 v9, v35, v3
	v_ashrrev_i32_e32 v10, 31, v9
	v_lshlrev_b64 v[9:10], 3, v[9:10]
	v_mov_b32_e32 v4, s19
	v_add_co_u32_e32 v9, vcc, s18, v9
	v_addc_co_u32_e32 v10, vcc, v4, v10, vcc
	global_load_dwordx2 v[9:10], v[9:10], off
.LBB119_9:                              ;   in Loop: Header=BB119_5 Depth=1
	s_or_b64 exec, exec, s[2:3]
	v_mov_b32_e32 v19, 0
	v_mov_b32_e32 v17, 0
	v_mov_b32_e32 v20, 0
	v_mov_b32_e32 v18, 0
	s_and_saveexec_b64 s[2:3], s[0:1]
	s_cbranch_execz .LBB119_11
; %bb.10:                               ;   in Loop: Header=BB119_5 Depth=1
	v_add_u32_e32 v17, v35, v3
	v_ashrrev_i32_e32 v18, 31, v17
	v_lshlrev_b64 v[17:18], 3, v[17:18]
	v_mov_b32_e32 v4, s9
	v_add_co_u32_e32 v17, vcc, s8, v17
	v_addc_co_u32_e32 v18, vcc, v4, v18, vcc
	global_load_dwordx2 v[17:18], v[17:18], off
.LBB119_11:                             ;   in Loop: Header=BB119_5 Depth=1
	s_or_b64 exec, exec, s[2:3]
	v_cmp_gt_u32_e64 s[2:3], s29, v3
	s_and_saveexec_b64 s[4:5], s[2:3]
	s_cbranch_execz .LBB119_13
; %bb.12:                               ;   in Loop: Header=BB119_5 Depth=1
	v_add_u32_e32 v19, v36, v3
	v_ashrrev_i32_e32 v20, 31, v19
	v_lshlrev_b64 v[19:20], 3, v[19:20]
	v_mov_b32_e32 v4, s17
	v_add_co_u32_e32 v19, vcc, s16, v19
	v_addc_co_u32_e32 v20, vcc, v4, v20, vcc
	global_load_dwordx2 v[19:20], v[19:20], off
.LBB119_13:                             ;   in Loop: Header=BB119_5 Depth=1
	s_or_b64 exec, exec, s[4:5]
	s_waitcnt vmcnt(0)
	v_cmp_gt_f64_e32 vcc, 0, v[7:8]
	v_xor_b32_e32 v4, 0x80000000, v8
	v_mov_b32_e32 v21, v7
	v_mov_b32_e32 v23, v19
	;; [unrolled: 1-line block ×3, first 2 shown]
	v_cmp_gt_f64_e64 s[4:5], 0, v[17:18]
	v_cndmask_b32_e32 v22, v8, v4, vcc
	v_cmp_gt_f64_e32 vcc, 0, v[19:20]
	v_xor_b32_e32 v4, 0x80000000, v20
	v_cndmask_b32_e32 v24, v20, v4, vcc
	v_cmp_lt_f64_e32 vcc, v[21:22], v[23:24]
	v_xor_b32_e32 v4, 0x80000000, v10
	v_mov_b32_e32 v23, v9
	v_cndmask_b32_e32 v22, v22, v24, vcc
	v_cndmask_b32_e32 v21, v7, v19, vcc
	v_cmp_gt_f64_e32 vcc, 0, v[9:10]
	v_cndmask_b32_e32 v24, v10, v4, vcc
	v_cmp_lt_f64_e32 vcc, v[23:24], v[21:22]
	v_xor_b32_e32 v4, 0x80000000, v12
	v_cndmask_b32_e32 v24, v24, v22, vcc
	v_cndmask_b32_e32 v23, v9, v21, vcc
	v_cmp_gt_f64_e32 vcc, 0, v[11:12]
	v_mul_f64 v[21:22], v[11:12], v[7:8]
	v_cndmask_b32_e32 v26, v12, v4, vcc
	v_cmp_lt_f64_e32 vcc, v[25:26], v[23:24]
	v_xor_b32_e32 v4, 0x80000000, v18
	v_cndmask_b32_e64 v25, v18, v4, s[4:5]
	v_cmp_gt_f64_e64 s[4:5], 0, v[5:6]
	v_xor_b32_e32 v4, 0x80000000, v6
	v_cndmask_b32_e32 v27, v26, v24, vcc
	v_cndmask_b32_e32 v26, v11, v23, vcc
	v_mov_b32_e32 v24, v17
	v_cmp_lt_f64_e32 vcc, v[24:25], v[26:27]
	v_mov_b32_e32 v23, v5
	v_cndmask_b32_e64 v24, v6, v4, s[4:5]
	v_xor_b32_e32 v4, 0x80000000, v22
	v_cmp_ne_u32_e64 s[4:5], s28, v3
	v_cndmask_b32_e32 v27, v25, v27, vcc
	v_cndmask_b32_e32 v26, v17, v26, vcc
	v_cmp_gt_f64_e32 vcc, 0, v[21:22]
	v_mul_f64 v[23:24], v[23:24], v[26:27]
	v_mov_b32_e32 v25, v21
	v_cndmask_b32_e32 v26, v22, v4, vcc
	v_mul_f64 v[25:26], v[25:26], s[22:23]
	v_cmp_nge_f64_e32 vcc, v[23:24], v[25:26]
	s_and_b64 s[4:5], s[4:5], vcc
	s_and_saveexec_b64 s[24:25], s[4:5]
	s_xor_b64 s[24:25], exec, s[24:25]
	s_cbranch_execz .LBB119_19
; %bb.14:                               ;   in Loop: Header=BB119_5 Depth=1
	v_fma_f64 v[23:24], v[5:6], v[9:10], -v[21:22]
	v_mov_b32_e32 v30, s13
	v_add_u32_e32 v21, v35, v3
	v_mov_b32_e32 v46, s15
	v_lshlrev_b64 v[15:16], 2, v[15:16]
	v_ashrrev_i32_e32 v22, 31, v21
	v_mov_b32_e32 v48, s7
	v_mov_b32_e32 v29, s11
	v_div_scale_f64 v[31:32], s[4:5], v[23:24], v[23:24], 1.0
	v_div_scale_f64 v[39:40], vcc, 1.0, v[23:24], 1.0
	v_add_co_u32_e64 v41, s[4:5], s12, v13
	v_addc_co_u32_e64 v42, s[4:5], v30, v14, s[4:5]
	v_add_co_u32_e64 v45, s[4:5], s14, v13
	v_addc_co_u32_e64 v46, s[4:5], v46, v14, s[4:5]
	;; [unrolled: 2-line block ×3, first 2 shown]
	v_rcp_f64_e32 v[25:26], v[31:32]
	v_mov_b32_e32 v51, s13
	v_ashrrev_i32_e32 v4, 31, v3
	v_lshlrev_b64 v[33:34], 3, v[3:4]
	v_fma_f64 v[27:28], -v[31:32], v[25:26], 1.0
	v_fma_f64 v[25:26], v[25:26], v[27:28], v[25:26]
	v_fma_f64 v[27:28], -v[31:32], v[25:26], 1.0
	v_fma_f64 v[43:44], v[25:26], v[27:28], v[25:26]
	v_lshlrev_b64 v[27:28], 3, v[21:22]
	v_add_co_u32_e64 v25, s[4:5], s10, v27
	v_addc_co_u32_e64 v26, s[4:5], v29, v28, s[4:5]
	v_add_co_u32_e64 v29, s[4:5], s12, v27
	v_mul_f64 v[49:50], v[39:40], v[43:44]
	v_addc_co_u32_e64 v30, s[4:5], v51, v28, s[4:5]
	global_load_dwordx2 v[13:14], v[25:26], off
	v_add_co_u32_e64 v51, s[4:5], v1, v33
	v_addc_co_u32_e64 v52, s[4:5], v2, v34, s[4:5]
	v_fma_f64 v[39:40], -v[31:32], v[49:50], v[39:40]
	global_load_dwordx2 v[31:32], v[29:30], off
	global_load_dwordx2 v[33:34], v[41:42], off
	;; [unrolled: 1-line block ×3, first 2 shown]
	v_div_fmas_f64 v[39:40], v[39:40], v[43:44], v[49:50]
	v_div_fixup_f64 v[23:24], v[39:40], v[23:24], 1.0
	s_waitcnt vmcnt(3)
	v_mul_f64 v[43:44], v[11:12], v[13:14]
	s_waitcnt vmcnt(2)
	v_mul_f64 v[39:40], v[11:12], v[31:32]
	v_mul_f64 v[11:12], v[17:18], -v[11:12]
	s_waitcnt vmcnt(0)
	v_fma_f64 v[43:44], v[9:10], v[15:16], -v[43:44]
	v_fma_f64 v[9:10], v[9:10], v[33:34], -v[39:40]
	v_mul_f64 v[11:12], v[23:24], v[11:12]
	v_mul_f64 v[39:40], v[23:24], v[43:44]
	;; [unrolled: 1-line block ×3, first 2 shown]
	global_store_dwordx2 v[51:52], v[39:40], off
	global_store_dwordx2 v[41:42], v[9:10], off
	;; [unrolled: 1-line block ×3, first 2 shown]
	global_store_dword v[47:48], v37, off
	s_and_saveexec_b64 s[4:5], s[0:1]
	s_cbranch_execz .LBB119_16
; %bb.15:                               ;   in Loop: Header=BB119_5 Depth=1
	v_mul_f64 v[9:10], v[7:8], v[15:16]
	v_mul_f64 v[11:12], v[7:8], v[33:34]
	;; [unrolled: 1-line block ×3, first 2 shown]
	v_mov_b32_e32 v4, s15
	v_lshlrev_b64 v[21:22], 2, v[21:22]
	v_add_co_u32_e32 v27, vcc, s14, v27
	v_addc_co_u32_e32 v28, vcc, v4, v28, vcc
	v_fma_f64 v[9:10], v[5:6], v[13:14], -v[9:10]
	v_fma_f64 v[11:12], v[5:6], v[31:32], -v[11:12]
	v_mul_f64 v[31:32], v[23:24], v[33:34]
	v_mov_b32_e32 v39, s7
	v_add_co_u32_e32 v21, vcc, s6, v21
	v_addc_co_u32_e32 v22, vcc, v39, v22, vcc
	v_mul_f64 v[9:10], v[23:24], v[9:10]
	v_mul_f64 v[11:12], v[23:24], v[11:12]
	global_store_dwordx2 v[27:28], v[31:32], off
	global_store_dwordx2 v[25:26], v[9:10], off
	;; [unrolled: 1-line block ×3, first 2 shown]
	global_store_dword v[21:22], v37, off
.LBB119_16:                             ;   in Loop: Header=BB119_5 Depth=1
	s_or_b64 exec, exec, s[4:5]
	v_mov_b32_e32 v9, 0
	v_mov_b32_e32 v10, 0
	s_and_saveexec_b64 s[4:5], s[2:3]
	s_cbranch_execz .LBB119_18
; %bb.17:                               ;   in Loop: Header=BB119_5 Depth=1
	v_add_u32_e32 v9, v36, v3
	v_ashrrev_i32_e32 v10, 31, v9
	v_lshlrev_b64 v[9:10], 3, v[9:10]
	v_mov_b32_e32 v4, s11
	v_add_co_u32_e32 v11, vcc, s10, v9
	v_addc_co_u32_e32 v12, vcc, v4, v10, vcc
	v_mov_b32_e32 v4, s19
	v_add_co_u32_e32 v9, vcc, s18, v9
	v_addc_co_u32_e32 v10, vcc, v4, v10, vcc
	global_load_dwordx2 v[21:22], v[11:12], off
	v_mul_f64 v[4:5], v[5:6], v[19:20]
	global_load_dwordx2 v[9:10], v[9:10], off
	v_mul_f64 v[6:7], v[19:20], v[7:8]
	v_mul_f64 v[19:20], v[23:24], v[4:5]
	;; [unrolled: 1-line block ×5, first 2 shown]
	v_fma_f64 v[6:7], v[6:7], v[15:16], -v[13:14]
	s_waitcnt vmcnt(1)
	v_add_f64 v[6:7], v[6:7], v[21:22]
	s_waitcnt vmcnt(0)
	v_fma_f64 v[9:10], -v[23:24], v[4:5], v[9:10]
	global_store_dwordx2 v[11:12], v[6:7], off
.LBB119_18:                             ;   in Loop: Header=BB119_5 Depth=1
	s_or_b64 exec, exec, s[4:5]
	v_mov_b32_e32 v5, v9
	v_mov_b32_e32 v6, v10
                                        ; implicit-def: $vgpr21_vgpr22
                                        ; implicit-def: $vgpr9_vgpr10
                                        ; implicit-def: $vgpr11_vgpr12
                                        ; implicit-def: $vgpr13_vgpr14
                                        ; implicit-def: $vgpr15_vgpr16
                                        ; implicit-def: $vgpr7_vgpr8
.LBB119_19:                             ;   in Loop: Header=BB119_5 Depth=1
	s_or_saveexec_b64 s[2:3], s[24:25]
	v_mov_b32_e32 v4, s30
	s_xor_b64 exec, exec, s[2:3]
	s_cbranch_execz .LBB119_4
; %bb.20:                               ;   in Loop: Header=BB119_5 Depth=1
	v_div_scale_f64 v[19:20], s[4:5], v[5:6], v[5:6], 1.0
	v_ashrrev_i32_e32 v4, 31, v3
	v_mov_b32_e32 v26, s13
	v_lshlrev_b64 v[17:18], 3, v[3:4]
	v_add_co_u32_e32 v25, vcc, s12, v13
	v_addc_co_u32_e32 v26, vcc, v26, v14, vcc
	v_add_co_u32_e32 v27, vcc, v1, v17
	v_addc_co_u32_e32 v28, vcc, v2, v18, vcc
	global_load_dwordx2 v[17:18], v[27:28], off
	global_load_dwordx2 v[29:30], v[25:26], off
	v_lshlrev_b64 v[15:16], 2, v[15:16]
	v_rcp_f64_e32 v[23:24], v[19:20]
	v_fma_f64 v[31:32], -v[19:20], v[23:24], 1.0
	v_fma_f64 v[23:24], v[23:24], v[31:32], v[23:24]
	v_div_scale_f64 v[31:32], vcc, 1.0, v[5:6], 1.0
	v_fma_f64 v[33:34], -v[19:20], v[23:24], 1.0
	v_fma_f64 v[23:24], v[23:24], v[33:34], v[23:24]
	v_mul_f64 v[33:34], v[31:32], v[23:24]
	v_fma_f64 v[19:20], -v[19:20], v[33:34], v[31:32]
	v_mov_b32_e32 v31, s7
	v_div_fmas_f64 v[19:20], v[19:20], v[23:24], v[33:34]
	v_add_co_u32_e32 v13, vcc, s14, v13
	v_div_fixup_f64 v[4:5], v[19:20], v[5:6], 1.0
	v_mov_b32_e32 v6, s15
	v_addc_co_u32_e32 v14, vcc, v6, v14, vcc
	v_add_co_u32_e32 v15, vcc, s6, v15
	v_addc_co_u32_e32 v16, vcc, v31, v16, vcc
	s_waitcnt vmcnt(1)
	v_mul_f64 v[19:20], v[4:5], v[17:18]
	s_waitcnt vmcnt(0)
	v_mul_f64 v[23:24], v[4:5], v[29:30]
	v_mul_f64 v[11:12], v[4:5], v[11:12]
	global_store_dwordx2 v[27:28], v[19:20], off
	global_store_dwordx2 v[25:26], v[23:24], off
	;; [unrolled: 1-line block ×3, first 2 shown]
	global_store_dword v[15:16], v38, off
	s_and_saveexec_b64 s[4:5], s[0:1]
	s_cbranch_execz .LBB119_3
; %bb.21:                               ;   in Loop: Header=BB119_5 Depth=1
	v_add_u32_e32 v11, v35, v3
	v_ashrrev_i32_e32 v12, 31, v11
	v_lshlrev_b64 v[11:12], 3, v[11:12]
	v_mov_b32_e32 v6, s11
	v_add_co_u32_e32 v11, vcc, s10, v11
	v_addc_co_u32_e32 v12, vcc, v6, v12, vcc
	global_load_dwordx2 v[13:14], v[11:12], off
	v_mul_f64 v[6:7], v[7:8], v[4:5]
	s_waitcnt vmcnt(0)
	v_fma_f64 v[6:7], -v[6:7], v[17:18], v[13:14]
	global_store_dwordx2 v[11:12], v[6:7], off
	s_branch .LBB119_3
.LBB119_22:
	s_or_b64 exec, exec, s[20:21]
.LBB119_23:
	v_subrev_u32_e32 v5, s26, v3
	v_add_u32_e32 v3, v5, v0
	v_ashrrev_i32_e32 v4, 31, v3
	v_lshlrev_b64 v[3:4], 2, v[3:4]
	s_waitcnt lgkmcnt(0)
	v_mov_b32_e32 v6, s7
	v_add_co_u32_e32 v3, vcc, s6, v3
	v_addc_co_u32_e32 v4, vcc, v6, v4, vcc
	s_waitcnt vmcnt(0)
	buffer_wbinvl1_vol
	global_load_dword v3, v[3:4], off
	s_waitcnt vmcnt(0)
	v_mul_lo_u32 v3, v3, s26
	v_sub_u32_e32 v3, v5, v3
	v_cmp_lt_i32_e32 vcc, -1, v3
	s_and_b64 exec, exec, vcc
	s_cbranch_execz .LBB119_30
; %bb.24:
	v_subrev_u32_e32 v9, s26, v0
	s_lshl_b32 s4, s26, 1
	s_mov_b64 s[0:1], 0
	v_mov_b32_e32 v10, s7
	v_mov_b32_e32 v11, s15
	s_branch .LBB119_26
.LBB119_25:                             ;   in Loop: Header=BB119_26 Depth=1
	s_or_b64 exec, exec, s[2:3]
	v_sub_u32_e32 v3, v3, v4
	v_cmp_gt_i32_e32 vcc, 0, v3
	s_or_b64 s[0:1], vcc, s[0:1]
	s_andn2_b64 exec, exec, s[0:1]
	s_cbranch_execz .LBB119_30
.LBB119_26:                             ; =>This Inner Loop Header: Depth=1
	v_add_u32_e32 v4, v3, v0
	s_waitcnt vmcnt(0)
	v_ashrrev_i32_e32 v5, 31, v4
	v_lshlrev_b64 v[6:7], 2, v[4:5]
	v_add_co_u32_e32 v6, vcc, s6, v6
	v_addc_co_u32_e32 v7, vcc, v10, v7, vcc
	global_load_dword v12, v[6:7], off
	v_lshlrev_b64 v[7:8], 3, v[4:5]
	v_add_co_u32_e32 v4, vcc, s14, v7
	v_addc_co_u32_e32 v5, vcc, v11, v8, vcc
	global_load_dwordx2 v[5:6], v[4:5], off
	s_waitcnt vmcnt(1)
	v_cmp_ne_u32_e32 vcc, 1, v12
	s_and_saveexec_b64 s[2:3], vcc
	s_xor_b64 s[2:3], exec, s[2:3]
	s_cbranch_execz .LBB119_28
; %bb.27:                               ;   in Loop: Header=BB119_26 Depth=1
	v_add_u32_e32 v12, v35, v3
	v_ashrrev_i32_e32 v13, 31, v12
	v_lshlrev_b64 v[12:13], 3, v[12:13]
	v_mov_b32_e32 v4, s11
	v_add_co_u32_e32 v14, vcc, s10, v12
	v_addc_co_u32_e32 v15, vcc, v4, v13, vcc
	v_ashrrev_i32_e32 v4, 31, v3
	v_lshlrev_b64 v[16:17], 3, v[3:4]
	v_mov_b32_e32 v4, s13
	v_add_co_u32_e32 v16, vcc, v1, v16
	v_addc_co_u32_e32 v17, vcc, v2, v17, vcc
	v_add_co_u32_e32 v12, vcc, s12, v12
	v_addc_co_u32_e32 v13, vcc, v4, v13, vcc
	global_load_dwordx2 v[18:19], v[14:15], off
	global_load_dwordx2 v[20:21], v[16:17], off
	v_add_co_u32_e32 v7, vcc, s12, v7
	v_addc_co_u32_e32 v8, vcc, v4, v8, vcc
	global_load_dwordx2 v[22:23], v[12:13], off
	global_load_dwordx2 v[24:25], v[7:8], off
	v_add_u32_e32 v26, v9, v3
	v_ashrrev_i32_e32 v27, 31, v26
	v_lshlrev_b64 v[26:27], 3, v[26:27]
	v_mov_b32_e32 v4, s15
	v_add_co_u32_e32 v28, vcc, s14, v26
	v_addc_co_u32_e32 v29, vcc, v4, v27, vcc
	v_mov_b32_e32 v30, s11
	v_mov_b32_e32 v31, s13
	s_waitcnt vmcnt(2)
	v_fma_f64 v[18:19], -v[5:6], v[18:19], v[20:21]
	v_add_co_u32_e32 v20, vcc, s10, v26
	v_addc_co_u32_e32 v21, vcc, v30, v27, vcc
	s_waitcnt vmcnt(0)
	v_fma_f64 v[4:5], -v[5:6], v[22:23], v[24:25]
	v_add_co_u32_e32 v22, vcc, s12, v26
	global_load_dwordx2 v[24:25], v[28:29], off
	s_nop 0
	global_store_dwordx2 v[16:17], v[18:19], off
	global_store_dwordx2 v[7:8], v[4:5], off
	v_addc_co_u32_e32 v23, vcc, v31, v27, vcc
	global_load_dwordx2 v[4:5], v[14:15], off
	global_load_dwordx2 v[6:7], v[20:21], off
	;; [unrolled: 1-line block ×4, first 2 shown]
	s_waitcnt vmcnt(2)
	v_fma_f64 v[4:5], -v[24:25], v[4:5], v[6:7]
	s_waitcnt vmcnt(0)
	v_fma_f64 v[6:7], -v[24:25], v[16:17], v[18:19]
	global_store_dwordx2 v[20:21], v[4:5], off
	global_store_dwordx2 v[22:23], v[6:7], off
                                        ; implicit-def: $vgpr5_vgpr6
                                        ; implicit-def: $vgpr7_vgpr8
.LBB119_28:                             ;   in Loop: Header=BB119_26 Depth=1
	s_or_saveexec_b64 s[2:3], s[2:3]
	v_mov_b32_e32 v4, s4
	s_xor_b64 exec, exec, s[2:3]
	s_cbranch_execz .LBB119_25
; %bb.29:                               ;   in Loop: Header=BB119_26 Depth=1
	v_add_u32_e32 v12, v35, v3
	v_ashrrev_i32_e32 v13, 31, v12
	v_lshlrev_b64 v[12:13], 3, v[12:13]
	v_mov_b32_e32 v4, s11
	v_add_co_u32_e32 v14, vcc, s10, v12
	v_addc_co_u32_e32 v15, vcc, v4, v13, vcc
	v_ashrrev_i32_e32 v4, 31, v3
	v_lshlrev_b64 v[16:17], 3, v[3:4]
	v_mov_b32_e32 v4, s13
	v_add_co_u32_e32 v16, vcc, v1, v16
	v_addc_co_u32_e32 v17, vcc, v2, v17, vcc
	v_add_co_u32_e32 v12, vcc, s12, v12
	v_addc_co_u32_e32 v13, vcc, v4, v13, vcc
	global_load_dwordx2 v[18:19], v[14:15], off
	global_load_dwordx2 v[20:21], v[16:17], off
	v_add_co_u32_e32 v7, vcc, s12, v7
	v_addc_co_u32_e32 v8, vcc, v4, v8, vcc
	global_load_dwordx2 v[14:15], v[12:13], off
	global_load_dwordx2 v[22:23], v[7:8], off
	s_waitcnt vmcnt(2)
	v_fma_f64 v[12:13], -v[5:6], v[18:19], v[20:21]
	s_waitcnt vmcnt(0)
	v_fma_f64 v[4:5], -v[5:6], v[14:15], v[22:23]
	global_store_dwordx2 v[16:17], v[12:13], off
	global_store_dwordx2 v[7:8], v[4:5], off
	v_mov_b32_e32 v4, s26
	s_branch .LBB119_25
.LBB119_30:
	s_endpgm
	.section	.rodata,"a",@progbits
	.p2align	6, 0x0
	.amdhsa_kernel _ZN9rocsparseL18gtsv_LBM_wv_kernelILj256ELj8EdEEviiiPKT1_S3_S3_PS1_S4_S4_Pi
		.amdhsa_group_segment_fixed_size 0
		.amdhsa_private_segment_fixed_size 0
		.amdhsa_kernarg_size 72
		.amdhsa_user_sgpr_count 6
		.amdhsa_user_sgpr_private_segment_buffer 1
		.amdhsa_user_sgpr_dispatch_ptr 0
		.amdhsa_user_sgpr_queue_ptr 0
		.amdhsa_user_sgpr_kernarg_segment_ptr 1
		.amdhsa_user_sgpr_dispatch_id 0
		.amdhsa_user_sgpr_flat_scratch_init 0
		.amdhsa_user_sgpr_private_segment_size 0
		.amdhsa_uses_dynamic_stack 0
		.amdhsa_system_sgpr_private_segment_wavefront_offset 0
		.amdhsa_system_sgpr_workgroup_id_x 1
		.amdhsa_system_sgpr_workgroup_id_y 0
		.amdhsa_system_sgpr_workgroup_id_z 0
		.amdhsa_system_sgpr_workgroup_info 0
		.amdhsa_system_vgpr_workitem_id 0
		.amdhsa_next_free_vgpr 53
		.amdhsa_next_free_sgpr 31
		.amdhsa_reserve_vcc 1
		.amdhsa_reserve_flat_scratch 0
		.amdhsa_float_round_mode_32 0
		.amdhsa_float_round_mode_16_64 0
		.amdhsa_float_denorm_mode_32 3
		.amdhsa_float_denorm_mode_16_64 3
		.amdhsa_dx10_clamp 1
		.amdhsa_ieee_mode 1
		.amdhsa_fp16_overflow 0
		.amdhsa_exception_fp_ieee_invalid_op 0
		.amdhsa_exception_fp_denorm_src 0
		.amdhsa_exception_fp_ieee_div_zero 0
		.amdhsa_exception_fp_ieee_overflow 0
		.amdhsa_exception_fp_ieee_underflow 0
		.amdhsa_exception_fp_ieee_inexact 0
		.amdhsa_exception_int_div_zero 0
	.end_amdhsa_kernel
	.section	.text._ZN9rocsparseL18gtsv_LBM_wv_kernelILj256ELj8EdEEviiiPKT1_S3_S3_PS1_S4_S4_Pi,"axG",@progbits,_ZN9rocsparseL18gtsv_LBM_wv_kernelILj256ELj8EdEEviiiPKT1_S3_S3_PS1_S4_S4_Pi,comdat
.Lfunc_end119:
	.size	_ZN9rocsparseL18gtsv_LBM_wv_kernelILj256ELj8EdEEviiiPKT1_S3_S3_PS1_S4_S4_Pi, .Lfunc_end119-_ZN9rocsparseL18gtsv_LBM_wv_kernelILj256ELj8EdEEviiiPKT1_S3_S3_PS1_S4_S4_Pi
                                        ; -- End function
	.set _ZN9rocsparseL18gtsv_LBM_wv_kernelILj256ELj8EdEEviiiPKT1_S3_S3_PS1_S4_S4_Pi.num_vgpr, 53
	.set _ZN9rocsparseL18gtsv_LBM_wv_kernelILj256ELj8EdEEviiiPKT1_S3_S3_PS1_S4_S4_Pi.num_agpr, 0
	.set _ZN9rocsparseL18gtsv_LBM_wv_kernelILj256ELj8EdEEviiiPKT1_S3_S3_PS1_S4_S4_Pi.numbered_sgpr, 31
	.set _ZN9rocsparseL18gtsv_LBM_wv_kernelILj256ELj8EdEEviiiPKT1_S3_S3_PS1_S4_S4_Pi.num_named_barrier, 0
	.set _ZN9rocsparseL18gtsv_LBM_wv_kernelILj256ELj8EdEEviiiPKT1_S3_S3_PS1_S4_S4_Pi.private_seg_size, 0
	.set _ZN9rocsparseL18gtsv_LBM_wv_kernelILj256ELj8EdEEviiiPKT1_S3_S3_PS1_S4_S4_Pi.uses_vcc, 1
	.set _ZN9rocsparseL18gtsv_LBM_wv_kernelILj256ELj8EdEEviiiPKT1_S3_S3_PS1_S4_S4_Pi.uses_flat_scratch, 0
	.set _ZN9rocsparseL18gtsv_LBM_wv_kernelILj256ELj8EdEEviiiPKT1_S3_S3_PS1_S4_S4_Pi.has_dyn_sized_stack, 0
	.set _ZN9rocsparseL18gtsv_LBM_wv_kernelILj256ELj8EdEEviiiPKT1_S3_S3_PS1_S4_S4_Pi.has_recursion, 0
	.set _ZN9rocsparseL18gtsv_LBM_wv_kernelILj256ELj8EdEEviiiPKT1_S3_S3_PS1_S4_S4_Pi.has_indirect_call, 0
	.section	.AMDGPU.csdata,"",@progbits
; Kernel info:
; codeLenInByte = 2528
; TotalNumSgprs: 35
; NumVgprs: 53
; ScratchSize: 0
; MemoryBound: 1
; FloatMode: 240
; IeeeMode: 1
; LDSByteSize: 0 bytes/workgroup (compile time only)
; SGPRBlocks: 4
; VGPRBlocks: 13
; NumSGPRsForWavesPerEU: 35
; NumVGPRsForWavesPerEU: 53
; Occupancy: 4
; WaveLimiterHint : 0
; COMPUTE_PGM_RSRC2:SCRATCH_EN: 0
; COMPUTE_PGM_RSRC2:USER_SGPR: 6
; COMPUTE_PGM_RSRC2:TRAP_HANDLER: 0
; COMPUTE_PGM_RSRC2:TGID_X_EN: 1
; COMPUTE_PGM_RSRC2:TGID_Y_EN: 0
; COMPUTE_PGM_RSRC2:TGID_Z_EN: 0
; COMPUTE_PGM_RSRC2:TIDIG_COMP_CNT: 0
	.section	.text._ZN9rocsparseL19gtsv_LBM_rhs_kernelILj256ELj8ELj8EdEEviiiPKT2_S3_S3_PS1_S3_PKi,"axG",@progbits,_ZN9rocsparseL19gtsv_LBM_rhs_kernelILj256ELj8ELj8EdEEviiiPKT2_S3_S3_PS1_S3_PKi,comdat
	.globl	_ZN9rocsparseL19gtsv_LBM_rhs_kernelILj256ELj8ELj8EdEEviiiPKT2_S3_S3_PS1_S3_PKi ; -- Begin function _ZN9rocsparseL19gtsv_LBM_rhs_kernelILj256ELj8ELj8EdEEviiiPKT2_S3_S3_PS1_S3_PKi
	.p2align	8
	.type	_ZN9rocsparseL19gtsv_LBM_rhs_kernelILj256ELj8ELj8EdEEviiiPKT2_S3_S3_PS1_S3_PKi,@function
_ZN9rocsparseL19gtsv_LBM_rhs_kernelILj256ELj8ELj8EdEEviiiPKT2_S3_S3_PS1_S3_PKi: ; @_ZN9rocsparseL19gtsv_LBM_rhs_kernelILj256ELj8ELj8EdEEviiiPKT2_S3_S3_PS1_S3_PKi
; %bb.0:
	s_load_dword s23, s[4:5], 0x0
	v_lshl_or_b32 v0, s6, 8, v0
	s_waitcnt lgkmcnt(0)
	s_lshr_b32 s22, s23, 3
	v_cmp_gt_i32_e32 vcc, s22, v0
	s_and_saveexec_b64 s[0:1], vcc
	s_cbranch_execz .LBB120_29
; %bb.1:
	s_load_dwordx4 s[8:11], s[4:5], 0x28
	s_load_dwordx2 s[16:17], s[4:5], 0x38
	s_cmp_lt_i32 s23, 1
	v_add_u32_e32 v71, s22, v0
	s_mul_i32 s24, s7, s23
	s_cbranch_scc1 .LBB120_21
; %bb.2:
	s_load_dwordx4 s[12:15], s[4:5], 0x10
	s_load_dwordx2 s[6:7], s[4:5], 0x20
	v_ashrrev_i32_e32 v1, 31, v0
	v_lshlrev_b64 v[1:2], 3, v[0:1]
	s_lshl_b32 s28, s24, 3
	s_waitcnt lgkmcnt(0)
	v_mov_b32_e32 v3, s15
	v_add_co_u32_e32 v1, vcc, s14, v1
	v_addc_co_u32_e32 v2, vcc, v3, v2, vcc
	global_load_dwordx2 v[7:8], v[1:2], off
	s_add_i32 s29, s28, s23
	s_add_i32 s30, s29, s23
	s_add_i32 s31, s30, s23
	s_add_i32 s33, s31, s23
	s_add_i32 s34, s33, s23
	s_add_i32 s35, s34, s23
	s_mul_i32 s25, s22, 7
	s_mul_i32 s26, s22, 6
	s_lshl_b32 s27, s22, 1
	v_add_u32_e32 v72, s22, v71
	s_add_i32 s36, s35, s23
	v_mov_b32_e32 v2, 0
	s_mov_b64 s[18:19], 0
	v_mov_b32_e32 v74, s7
	v_mov_b32_e32 v73, 0
	s_branch .LBB120_5
.LBB120_3:                              ;   in Loop: Header=BB120_5 Depth=1
	s_or_b64 exec, exec, s[4:5]
	v_fma_f64 v[7:8], -v[7:8], v[47:48], v[5:6]
	v_mov_b32_e32 v1, s22
.LBB120_4:                              ;   in Loop: Header=BB120_5 Depth=1
	s_or_b64 exec, exec, s[2:3]
	v_add_u32_e32 v73, v1, v73
	v_cmp_le_i32_e32 vcc, s23, v73
	s_or_b64 s[18:19], vcc, s[18:19]
	s_andn2_b64 exec, exec, s[18:19]
	s_cbranch_execz .LBB120_20
.LBB120_5:                              ; =>This Inner Loop Header: Depth=1
	v_add_u32_e32 v29, v73, v0
	v_ashrrev_i32_e32 v30, 31, v29
	v_lshlrev_b64 v[3:4], 3, v[29:30]
	v_mov_b32_e32 v5, 0
	v_add_co_u32_e32 v3, vcc, s6, v3
	v_addc_co_u32_e32 v4, vcc, v74, v4, vcc
	global_load_dwordx2 v[13:14], v[3:4], off
	v_mov_b32_e32 v3, 0
	v_mov_b32_e32 v6, 0
	;; [unrolled: 1-line block ×3, first 2 shown]
	v_cmp_gt_u32_e64 s[0:1], s25, v73
	s_and_saveexec_b64 s[2:3], s[0:1]
	s_cbranch_execz .LBB120_7
; %bb.6:                                ;   in Loop: Header=BB120_5 Depth=1
	v_add_u32_e32 v3, v71, v73
	v_ashrrev_i32_e32 v4, 31, v3
	v_lshlrev_b64 v[3:4], 3, v[3:4]
	v_mov_b32_e32 v1, s13
	v_add_co_u32_e32 v3, vcc, s12, v3
	v_addc_co_u32_e32 v4, vcc, v1, v4, vcc
	global_load_dwordx2 v[3:4], v[3:4], off
.LBB120_7:                              ;   in Loop: Header=BB120_5 Depth=1
	s_or_b64 exec, exec, s[2:3]
	s_and_saveexec_b64 s[2:3], s[0:1]
	s_cbranch_execz .LBB120_9
; %bb.8:                                ;   in Loop: Header=BB120_5 Depth=1
	v_add_u32_e32 v5, v71, v73
	v_ashrrev_i32_e32 v6, 31, v5
	v_lshlrev_b64 v[5:6], 3, v[5:6]
	v_mov_b32_e32 v1, s15
	v_add_co_u32_e32 v5, vcc, s14, v5
	v_addc_co_u32_e32 v6, vcc, v1, v6, vcc
	global_load_dwordx2 v[5:6], v[5:6], off
.LBB120_9:                              ;   in Loop: Header=BB120_5 Depth=1
	s_or_b64 exec, exec, s[2:3]
	v_mov_b32_e32 v11, 0
	v_mov_b32_e32 v9, 0
	;; [unrolled: 1-line block ×4, first 2 shown]
	s_and_saveexec_b64 s[2:3], s[0:1]
	s_cbranch_execz .LBB120_11
; %bb.10:                               ;   in Loop: Header=BB120_5 Depth=1
	v_add_u32_e32 v9, v71, v73
	v_ashrrev_i32_e32 v10, 31, v9
	v_lshlrev_b64 v[9:10], 3, v[9:10]
	v_mov_b32_e32 v1, s7
	v_add_co_u32_e32 v9, vcc, s6, v9
	v_addc_co_u32_e32 v10, vcc, v1, v10, vcc
	global_load_dwordx2 v[9:10], v[9:10], off
.LBB120_11:                             ;   in Loop: Header=BB120_5 Depth=1
	s_or_b64 exec, exec, s[2:3]
	v_cmp_gt_u32_e64 s[2:3], s26, v73
	s_and_saveexec_b64 s[4:5], s[2:3]
	s_cbranch_execz .LBB120_13
; %bb.12:                               ;   in Loop: Header=BB120_5 Depth=1
	v_add_u32_e32 v11, v72, v73
	v_ashrrev_i32_e32 v12, 31, v11
	v_lshlrev_b64 v[11:12], 3, v[11:12]
	v_mov_b32_e32 v1, s13
	v_add_co_u32_e32 v11, vcc, s12, v11
	v_addc_co_u32_e32 v12, vcc, v1, v12, vcc
	global_load_dwordx2 v[11:12], v[11:12], off
.LBB120_13:                             ;   in Loop: Header=BB120_5 Depth=1
	s_or_b64 exec, exec, s[4:5]
	v_lshlrev_b64 v[15:16], 2, v[29:30]
	v_mov_b32_e32 v1, s17
	v_add_co_u32_e32 v15, vcc, s16, v15
	v_addc_co_u32_e32 v16, vcc, v1, v16, vcc
	v_add_u32_e32 v1, s28, v29
	global_load_dword v49, v[15:16], off
	v_lshlrev_b64 v[15:16], 3, v[1:2]
	v_add_u32_e32 v1, s29, v29
	s_waitcnt vmcnt(4)
	v_mov_b32_e32 v39, s9
	v_add_co_u32_e32 v15, vcc, s8, v15
	v_lshlrev_b64 v[17:18], 3, v[1:2]
	v_addc_co_u32_e32 v16, vcc, v39, v16, vcc
	v_add_u32_e32 v1, s30, v29
	v_add_co_u32_e32 v17, vcc, s8, v17
	v_lshlrev_b64 v[19:20], 3, v[1:2]
	v_addc_co_u32_e32 v18, vcc, v39, v18, vcc
	v_add_u32_e32 v1, s31, v29
	;; [unrolled: 4-line block ×6, first 2 shown]
	v_add_co_u32_e32 v27, vcc, s8, v27
	v_lshlrev_b64 v[29:30], 3, v[1:2]
	v_addc_co_u32_e32 v28, vcc, v39, v28, vcc
	v_add_co_u32_e32 v29, vcc, s8, v29
	global_load_dwordx2 v[31:32], v[15:16], off
	global_load_dwordx2 v[33:34], v[17:18], off
	;; [unrolled: 1-line block ×4, first 2 shown]
	v_addc_co_u32_e32 v30, vcc, v39, v30, vcc
	global_load_dwordx2 v[43:44], v[23:24], off
	global_load_dwordx2 v[39:40], v[25:26], off
	;; [unrolled: 1-line block ×4, first 2 shown]
	s_waitcnt vmcnt(9)
	v_mul_f64 v[47:48], v[13:14], v[3:4]
	v_cmp_ne_u32_e64 s[4:5], s25, v73
	s_waitcnt vmcnt(8)
	v_cmp_ne_u32_e32 vcc, 1, v49
	s_and_b64 s[4:5], s[4:5], vcc
	s_and_saveexec_b64 s[20:21], s[4:5]
	s_xor_b64 s[4:5], exec, s[20:21]
	s_cbranch_execz .LBB120_17
; %bb.14:                               ;   in Loop: Header=BB120_5 Depth=1
	v_fma_f64 v[47:48], v[7:8], v[5:6], -v[47:48]
	v_add_u32_e32 v59, v71, v73
	v_add_u32_e32 v1, s28, v59
	v_lshlrev_b64 v[51:52], 3, v[1:2]
	v_add_u32_e32 v1, s29, v59
	v_mov_b32_e32 v65, s9
	v_lshlrev_b64 v[53:54], 3, v[1:2]
	v_add_co_u32_e32 v75, vcc, s8, v51
	v_div_scale_f64 v[49:50], s[20:21], v[47:48], v[47:48], 1.0
	v_add_u32_e32 v1, s30, v59
	v_addc_co_u32_e32 v76, vcc, v65, v52, vcc
	v_lshlrev_b64 v[51:52], 3, v[1:2]
	v_add_co_u32_e32 v77, vcc, s8, v53
	v_add_u32_e32 v1, s31, v59
	v_addc_co_u32_e32 v78, vcc, v65, v54, vcc
	v_lshlrev_b64 v[53:54], 3, v[1:2]
	v_add_co_u32_e32 v79, vcc, s8, v51
	v_add_u32_e32 v1, s33, v59
	v_addc_co_u32_e32 v80, vcc, v65, v52, vcc
	v_rcp_f64_e32 v[55:56], v[49:50]
	v_lshlrev_b64 v[51:52], 3, v[1:2]
	v_add_co_u32_e32 v81, vcc, s8, v53
	v_add_u32_e32 v1, s34, v59
	v_addc_co_u32_e32 v82, vcc, v65, v54, vcc
	v_lshlrev_b64 v[57:58], 3, v[1:2]
	v_add_co_u32_e32 v83, vcc, s8, v51
	v_add_u32_e32 v1, s35, v59
	v_addc_co_u32_e32 v84, vcc, v65, v52, vcc
	v_lshlrev_b64 v[53:54], 3, v[1:2]
	v_add_co_u32_e32 v89, vcc, s8, v57
	v_add_u32_e32 v1, s36, v59
	global_load_dwordx2 v[61:62], v[75:76], off
	global_load_dwordx2 v[63:64], v[77:78], off
	;; [unrolled: 1-line block ×4, first 2 shown]
	v_addc_co_u32_e32 v90, vcc, v65, v58, vcc
	v_lshlrev_b64 v[51:52], 3, v[1:2]
	v_add_co_u32_e32 v91, vcc, s8, v53
	global_load_dwordx2 v[93:94], v[83:84], off
	v_addc_co_u32_e32 v92, vcc, v65, v54, vcc
	v_add_co_u32_e32 v95, vcc, s8, v51
	v_addc_co_u32_e32 v96, vcc, v65, v52, vcc
	global_load_dwordx2 v[97:98], v[89:90], off
	global_load_dwordx2 v[99:100], v[91:92], off
	;; [unrolled: 1-line block ×3, first 2 shown]
	v_fma_f64 v[59:60], -v[49:50], v[55:56], 1.0
	v_div_scale_f64 v[53:54], vcc, 1.0, v[47:48], 1.0
	v_mov_b32_e32 v69, 0
	v_mov_b32_e32 v70, 0
	v_fma_f64 v[51:52], v[55:56], v[59:60], v[55:56]
	v_fma_f64 v[55:56], -v[49:50], v[51:52], 1.0
	v_fma_f64 v[51:52], v[51:52], v[55:56], v[51:52]
	v_mul_f64 v[55:56], v[53:54], v[51:52]
	v_fma_f64 v[49:50], -v[49:50], v[55:56], v[53:54]
	v_div_fmas_f64 v[49:50], v[49:50], v[51:52], v[55:56]
	v_div_fixup_f64 v[47:48], v[49:50], v[47:48], 1.0
	s_waitcnt vmcnt(7)
	v_mul_f64 v[67:68], v[47:48], v[61:62]
	s_waitcnt vmcnt(6)
	v_mul_f64 v[61:62], v[47:48], v[63:64]
	s_waitcnt vmcnt(5)
	v_mul_f64 v[63:64], v[47:48], v[85:86]
	s_waitcnt vmcnt(4)
	v_mul_f64 v[53:54], v[47:48], v[87:88]
	s_waitcnt vmcnt(3)
	v_mul_f64 v[55:56], v[47:48], v[93:94]
	v_mul_f64 v[51:52], v[47:48], v[43:44]
	s_waitcnt vmcnt(2)
	v_mul_f64 v[43:44], v[47:48], v[97:98]
	v_mul_f64 v[57:58], v[47:48], v[35:36]
	s_waitcnt vmcnt(1)
	v_mul_f64 v[35:36], v[47:48], v[99:100]
	;; [unrolled: 3-line block ×3, first 2 shown]
	v_mul_f64 v[59:60], v[47:48], v[33:34]
	v_mul_f64 v[49:50], v[47:48], v[37:38]
	;; [unrolled: 1-line block ×21, first 2 shown]
	v_fma_f64 v[41:42], v[5:6], v[65:66], -v[41:42]
	v_fma_f64 v[45:46], v[5:6], v[59:60], -v[45:46]
	;; [unrolled: 1-line block ×16, first 2 shown]
	global_store_dwordx2 v[15:16], v[41:42], off
	global_store_dwordx2 v[17:18], v[45:46], off
	;; [unrolled: 1-line block ×16, first 2 shown]
	s_and_saveexec_b64 s[20:21], s[2:3]
	s_cbranch_execz .LBB120_16
; %bb.15:                               ;   in Loop: Header=BB120_5 Depth=1
	v_add_u32_e32 v5, v72, v73
	v_add_u32_e32 v1, s28, v5
	v_lshlrev_b64 v[13:14], 3, v[1:2]
	v_mov_b32_e32 v23, s9
	v_add_co_u32_e32 v13, vcc, s8, v13
	v_addc_co_u32_e32 v14, vcc, v23, v14, vcc
	global_load_dwordx2 v[15:16], v[13:14], off
	v_mul_f64 v[7:8], v[7:8], v[11:12]
	v_mul_f64 v[3:4], v[3:4], v[11:12]
	v_add_u32_e32 v1, s29, v5
	v_lshlrev_b64 v[17:18], 3, v[1:2]
	v_add_u32_e32 v1, s30, v5
	v_add_co_u32_e32 v17, vcc, s8, v17
	v_addc_co_u32_e32 v18, vcc, v23, v18, vcc
	v_mul_f64 v[11:12], v[7:8], v[67:68]
	global_load_dwordx2 v[19:20], v[17:18], off
	v_mul_f64 v[21:22], v[7:8], v[63:64]
	v_ashrrev_i32_e32 v6, 31, v5
	v_fma_f64 v[11:12], v[3:4], v[65:66], -v[11:12]
	s_waitcnt vmcnt(1)
	v_add_f64 v[11:12], v[11:12], v[15:16]
	v_lshlrev_b64 v[15:16], 3, v[1:2]
	v_add_u32_e32 v1, s31, v5
	v_add_co_u32_e32 v15, vcc, s8, v15
	v_addc_co_u32_e32 v16, vcc, v23, v16, vcc
	global_store_dwordx2 v[13:14], v[11:12], off
	global_load_dwordx2 v[11:12], v[15:16], off
	v_mul_f64 v[13:14], v[7:8], v[61:62]
	v_fma_f64 v[13:14], v[3:4], v[59:60], -v[13:14]
	s_waitcnt vmcnt(2)
	v_add_f64 v[13:14], v[13:14], v[19:20]
	v_fma_f64 v[19:20], v[3:4], v[57:58], -v[21:22]
	v_lshlrev_b64 v[21:22], 3, v[1:2]
	v_add_u32_e32 v1, s33, v5
	v_add_co_u32_e32 v21, vcc, s8, v21
	v_addc_co_u32_e32 v22, vcc, v23, v22, vcc
	global_store_dwordx2 v[17:18], v[13:14], off
	global_load_dwordx2 v[13:14], v[21:22], off
	v_lshlrev_b64 v[17:18], 3, v[1:2]
	v_add_u32_e32 v1, s34, v5
	v_add_co_u32_e32 v17, vcc, s8, v17
	v_addc_co_u32_e32 v18, vcc, v23, v18, vcc
	s_waitcnt vmcnt(2)
	v_add_f64 v[11:12], v[19:20], v[11:12]
	v_mul_f64 v[19:20], v[7:8], v[55:56]
	global_store_dwordx2 v[15:16], v[11:12], off
	global_load_dwordx2 v[11:12], v[17:18], off
	v_mul_f64 v[15:16], v[7:8], v[53:54]
	v_fma_f64 v[19:20], v[3:4], v[51:52], -v[19:20]
	v_fma_f64 v[15:16], v[3:4], v[49:50], -v[15:16]
	s_waitcnt vmcnt(2)
	v_add_f64 v[13:14], v[15:16], v[13:14]
	v_lshlrev_b64 v[15:16], 3, v[1:2]
	v_add_u32_e32 v1, s35, v5
	v_add_co_u32_e32 v15, vcc, s8, v15
	v_addc_co_u32_e32 v16, vcc, v23, v16, vcc
	s_waitcnt vmcnt(0)
	v_add_f64 v[11:12], v[19:20], v[11:12]
	global_store_dwordx2 v[21:22], v[13:14], off
	global_store_dwordx2 v[17:18], v[11:12], off
	global_load_dwordx2 v[11:12], v[15:16], off
	v_mul_f64 v[13:14], v[7:8], v[43:44]
	v_mov_b32_e32 v17, s15
	v_fma_f64 v[13:14], v[3:4], v[39:40], -v[13:14]
	s_waitcnt vmcnt(0)
	v_add_f64 v[11:12], v[13:14], v[11:12]
	v_lshlrev_b64 v[13:14], 3, v[1:2]
	v_add_u32_e32 v1, s36, v5
	v_add_co_u32_e32 v13, vcc, s8, v13
	v_addc_co_u32_e32 v14, vcc, v23, v14, vcc
	global_store_dwordx2 v[15:16], v[11:12], off
	global_load_dwordx2 v[11:12], v[13:14], off
	v_mul_f64 v[15:16], v[7:8], v[35:36]
	v_fma_f64 v[15:16], v[3:4], v[37:38], -v[15:16]
	s_waitcnt vmcnt(0)
	v_add_f64 v[11:12], v[15:16], v[11:12]
	v_lshlrev_b64 v[15:16], 3, v[5:6]
	v_lshlrev_b64 v[5:6], 3, v[1:2]
	v_add_co_u32_e32 v5, vcc, s8, v5
	v_addc_co_u32_e32 v6, vcc, v23, v6, vcc
	global_store_dwordx2 v[13:14], v[11:12], off
	v_add_co_u32_e32 v13, vcc, s14, v15
	v_addc_co_u32_e32 v14, vcc, v17, v16, vcc
	global_load_dwordx2 v[11:12], v[5:6], off
	v_mul_f64 v[15:16], v[7:8], v[31:32]
	global_load_dwordx2 v[13:14], v[13:14], off
	v_mul_f64 v[7:8], v[9:10], v[7:8]
	v_fma_f64 v[3:4], v[3:4], v[33:34], -v[15:16]
	s_waitcnt vmcnt(1)
	v_add_f64 v[3:4], v[3:4], v[11:12]
	s_waitcnt vmcnt(0)
	v_fma_f64 v[69:70], -v[47:48], v[7:8], v[13:14]
	global_store_dwordx2 v[5:6], v[3:4], off
.LBB120_16:                             ;   in Loop: Header=BB120_5 Depth=1
	s_or_b64 exec, exec, s[20:21]
	v_mov_b32_e32 v7, v69
	v_mov_b32_e32 v8, v70
                                        ; implicit-def: $vgpr3_vgpr4
                                        ; implicit-def: $vgpr5_vgpr6
                                        ; implicit-def: $vgpr47_vgpr48
                                        ; implicit-def: $vgpr15_vgpr16
                                        ; implicit-def: $vgpr31_vgpr32
                                        ; implicit-def: $vgpr17_vgpr18
                                        ; implicit-def: $vgpr33_vgpr34
                                        ; implicit-def: $vgpr19_vgpr20
                                        ; implicit-def: $vgpr35_vgpr36
                                        ; implicit-def: $vgpr21_vgpr22
                                        ; implicit-def: $vgpr37_vgpr38
                                        ; implicit-def: $vgpr23_vgpr24
                                        ; implicit-def: $vgpr43_vgpr44
                                        ; implicit-def: $vgpr25_vgpr26
                                        ; implicit-def: $vgpr39_vgpr40
                                        ; implicit-def: $vgpr27_vgpr28
                                        ; implicit-def: $vgpr41_vgpr42
                                        ; implicit-def: $vgpr29_vgpr30
                                        ; implicit-def: $vgpr45_vgpr46
.LBB120_17:                             ;   in Loop: Header=BB120_5 Depth=1
	s_or_saveexec_b64 s[2:3], s[4:5]
	v_mov_b32_e32 v1, s27
	s_xor_b64 exec, exec, s[2:3]
	s_cbranch_execz .LBB120_4
; %bb.18:                               ;   in Loop: Header=BB120_5 Depth=1
	v_div_scale_f64 v[9:10], s[4:5], v[7:8], v[7:8], 1.0
	v_rcp_f64_e32 v[11:12], v[9:10]
	v_fma_f64 v[13:14], -v[9:10], v[11:12], 1.0
	v_fma_f64 v[11:12], v[11:12], v[13:14], v[11:12]
	v_div_scale_f64 v[13:14], vcc, 1.0, v[7:8], 1.0
	v_fma_f64 v[49:50], -v[9:10], v[11:12], 1.0
	v_fma_f64 v[11:12], v[11:12], v[49:50], v[11:12]
	v_mul_f64 v[49:50], v[13:14], v[11:12]
	v_fma_f64 v[9:10], -v[9:10], v[49:50], v[13:14]
	v_div_fmas_f64 v[9:10], v[9:10], v[11:12], v[49:50]
	v_div_fixup_f64 v[7:8], v[9:10], v[7:8], 1.0
	s_waitcnt vmcnt(7)
	v_mul_f64 v[51:52], v[7:8], v[31:32]
	s_waitcnt vmcnt(6)
	v_mul_f64 v[49:50], v[7:8], v[33:34]
	;; [unrolled: 2-line block ×8, first 2 shown]
	global_store_dwordx2 v[15:16], v[51:52], off
	global_store_dwordx2 v[17:18], v[49:50], off
	;; [unrolled: 1-line block ×8, first 2 shown]
	s_and_saveexec_b64 s[4:5], s[0:1]
	s_cbranch_execz .LBB120_3
; %bb.19:                               ;   in Loop: Header=BB120_5 Depth=1
	v_add_u32_e32 v25, v71, v73
	v_add_u32_e32 v1, s28, v25
	v_lshlrev_b64 v[15:16], 3, v[1:2]
	v_mov_b32_e32 v26, s9
	v_add_co_u32_e32 v15, vcc, s8, v15
	v_addc_co_u32_e32 v16, vcc, v26, v16, vcc
	global_load_dwordx2 v[17:18], v[15:16], off
	v_add_u32_e32 v1, s29, v25
	v_lshlrev_b64 v[19:20], 3, v[1:2]
	v_add_u32_e32 v1, s30, v25
	v_add_co_u32_e32 v19, vcc, s8, v19
	v_addc_co_u32_e32 v20, vcc, v26, v20, vcc
	global_load_dwordx2 v[21:22], v[19:20], off
	v_lshlrev_b64 v[23:24], 3, v[1:2]
	v_add_u32_e32 v1, s31, v25
	v_add_co_u32_e32 v23, vcc, s8, v23
	v_addc_co_u32_e32 v24, vcc, v26, v24, vcc
	s_waitcnt vmcnt(1)
	v_fma_f64 v[17:18], -v[3:4], v[51:52], v[17:18]
	global_store_dwordx2 v[15:16], v[17:18], off
	global_load_dwordx2 v[15:16], v[23:24], off
	s_waitcnt vmcnt(2)
	v_fma_f64 v[17:18], -v[3:4], v[49:50], v[21:22]
	v_lshlrev_b64 v[21:22], 3, v[1:2]
	v_add_u32_e32 v1, s33, v25
	v_add_co_u32_e32 v21, vcc, s8, v21
	v_addc_co_u32_e32 v22, vcc, v26, v22, vcc
	global_store_dwordx2 v[19:20], v[17:18], off
	global_load_dwordx2 v[17:18], v[21:22], off
	v_lshlrev_b64 v[19:20], 3, v[1:2]
	v_add_u32_e32 v1, s34, v25
	v_add_co_u32_e32 v19, vcc, s8, v19
	v_addc_co_u32_e32 v20, vcc, v26, v20, vcc
	s_waitcnt vmcnt(2)
	v_fma_f64 v[15:16], -v[3:4], v[35:36], v[15:16]
	global_store_dwordx2 v[23:24], v[15:16], off
	global_load_dwordx2 v[15:16], v[19:20], off
	s_waitcnt vmcnt(2)
	v_fma_f64 v[17:18], -v[3:4], v[31:32], v[17:18]
	v_lshlrev_b64 v[23:24], 3, v[1:2]
	v_add_u32_e32 v1, s35, v25
	v_add_co_u32_e32 v23, vcc, s8, v23
	v_addc_co_u32_e32 v24, vcc, v26, v24, vcc
	s_waitcnt vmcnt(0)
	v_fma_f64 v[15:16], -v[3:4], v[33:34], v[15:16]
	global_store_dwordx2 v[21:22], v[17:18], off
	global_store_dwordx2 v[19:20], v[15:16], off
	global_load_dwordx2 v[15:16], v[23:24], off
	s_waitcnt vmcnt(0)
	v_fma_f64 v[13:14], -v[3:4], v[13:14], v[15:16]
	v_lshlrev_b64 v[15:16], 3, v[1:2]
	v_add_u32_e32 v1, s36, v25
	v_add_co_u32_e32 v15, vcc, s8, v15
	v_addc_co_u32_e32 v16, vcc, v26, v16, vcc
	global_store_dwordx2 v[23:24], v[13:14], off
	global_load_dwordx2 v[13:14], v[15:16], off
	s_waitcnt vmcnt(0)
	v_fma_f64 v[11:12], -v[3:4], v[11:12], v[13:14]
	v_lshlrev_b64 v[13:14], 3, v[1:2]
	global_store_dwordx2 v[15:16], v[11:12], off
	v_add_co_u32_e32 v11, vcc, s8, v13
	v_addc_co_u32_e32 v12, vcc, v26, v14, vcc
	global_load_dwordx2 v[13:14], v[11:12], off
	s_waitcnt vmcnt(0)
	v_fma_f64 v[3:4], -v[3:4], v[9:10], v[13:14]
	global_store_dwordx2 v[11:12], v[3:4], off
	s_branch .LBB120_3
.LBB120_20:
	s_or_b64 exec, exec, s[18:19]
	s_branch .LBB120_22
.LBB120_21:
	v_mov_b32_e32 v73, 0
.LBB120_22:
	v_subrev_u32_e32 v3, s22, v73
	v_add_u32_e32 v1, v3, v0
	v_ashrrev_i32_e32 v2, 31, v1
	v_lshlrev_b64 v[1:2], 2, v[1:2]
	s_waitcnt lgkmcnt(0)
	v_mov_b32_e32 v4, s17
	v_add_co_u32_e32 v1, vcc, s16, v1
	v_addc_co_u32_e32 v2, vcc, v4, v2, vcc
	s_waitcnt vmcnt(0)
	buffer_wbinvl1_vol
	global_load_dword v1, v[1:2], off
	s_waitcnt vmcnt(0)
	v_mul_lo_u32 v1, v1, s22
	v_sub_u32_e32 v7, v3, v1
	v_cmp_lt_i32_e32 vcc, -1, v7
	s_and_b64 exec, exec, vcc
	s_cbranch_execz .LBB120_29
; %bb.23:
	s_lshl_b32 s4, s24, 3
	s_add_i32 s5, s4, s23
	s_add_i32 s6, s5, s23
	s_add_i32 s7, s6, s23
	s_add_i32 s12, s7, s23
	s_add_i32 s13, s12, s23
	s_add_i32 s14, s13, s23
	s_add_i32 s15, s14, s23
	s_lshl_b32 s18, s22, 1
	s_mov_b64 s[0:1], 0
	v_mov_b32_e32 v8, s17
	v_mov_b32_e32 v9, s11
	;; [unrolled: 1-line block ×3, first 2 shown]
	s_branch .LBB120_25
.LBB120_24:                             ;   in Loop: Header=BB120_25 Depth=1
	s_or_b64 exec, exec, s[2:3]
	v_sub_u32_e32 v7, v7, v1
	v_cmp_gt_i32_e32 vcc, 0, v7
	s_or_b64 s[0:1], vcc, s[0:1]
	s_andn2_b64 exec, exec, s[0:1]
	s_cbranch_execz .LBB120_29
.LBB120_25:                             ; =>This Inner Loop Header: Depth=1
	v_add_u32_e32 v5, v7, v0
	v_ashrrev_i32_e32 v6, 31, v5
	s_waitcnt vmcnt(0)
	v_lshlrev_b64 v[3:4], 2, v[5:6]
	v_add_co_u32_e32 v3, vcc, s16, v3
	v_addc_co_u32_e32 v4, vcc, v8, v4, vcc
	global_load_dword v1, v[3:4], off
	v_lshlrev_b64 v[3:4], 3, v[5:6]
	v_add_co_u32_e32 v3, vcc, s10, v3
	v_addc_co_u32_e32 v4, vcc, v9, v4, vcc
	global_load_dwordx2 v[3:4], v[3:4], off
	s_waitcnt vmcnt(1)
	v_cmp_ne_u32_e32 vcc, 1, v1
	s_and_saveexec_b64 s[2:3], vcc
	s_xor_b64 s[2:3], exec, s[2:3]
	s_cbranch_execz .LBB120_27
; %bb.26:                               ;   in Loop: Header=BB120_25 Depth=1
	v_add_u32_e32 v6, v71, v7
	v_add_u32_e32 v1, s4, v6
	v_lshlrev_b64 v[10:11], 3, v[1:2]
	v_mov_b32_e32 v1, s9
	v_add_co_u32_e32 v10, vcc, s8, v10
	v_addc_co_u32_e32 v11, vcc, v1, v11, vcc
	v_add_u32_e32 v1, s5, v6
	v_lshlrev_b64 v[12:13], 3, v[1:2]
	v_add_u32_e32 v1, s6, v6
	v_lshlrev_b64 v[14:15], 3, v[1:2]
	;; [unrolled: 2-line block ×8, first 2 shown]
	v_mov_b32_e32 v1, s9
	v_add_co_u32_e32 v26, vcc, s8, v26
	v_addc_co_u32_e32 v27, vcc, v1, v27, vcc
	global_load_dwordx2 v[10:11], v[10:11], off
	v_add_co_u32_e32 v12, vcc, s8, v12
	global_load_dwordx2 v[28:29], v[26:27], off
	v_addc_co_u32_e32 v13, vcc, v1, v13, vcc
	v_mov_b32_e32 v6, s9
	v_add_co_u32_e32 v14, vcc, s8, v14
	v_addc_co_u32_e32 v15, vcc, v6, v15, vcc
	v_mov_b32_e32 v30, s9
	v_add_co_u32_e32 v16, vcc, s8, v16
	v_addc_co_u32_e32 v17, vcc, v30, v17, vcc
	v_mov_b32_e32 v36, s9
	global_load_dwordx2 v[30:31], v[12:13], off
	global_load_dwordx2 v[32:33], v[14:15], off
	;; [unrolled: 1-line block ×3, first 2 shown]
	v_add_co_u32_e32 v12, vcc, s8, v18
	v_addc_co_u32_e32 v13, vcc, v36, v19, vcc
	v_mov_b32_e32 v37, s9
	v_add_co_u32_e32 v14, vcc, s8, v20
	v_addc_co_u32_e32 v15, vcc, v37, v21, vcc
	v_mov_b32_e32 v38, s9
	v_add_co_u32_e32 v16, vcc, s8, v22
	v_addc_co_u32_e32 v17, vcc, v38, v23, vcc
	v_add_u32_e32 v1, s5, v5
	v_mov_b32_e32 v39, s9
	v_add_co_u32_e32 v18, vcc, s8, v24
	v_lshlrev_b64 v[20:21], 3, v[1:2]
	v_addc_co_u32_e32 v19, vcc, v39, v25, vcc
	v_mov_b32_e32 v40, s9
	v_add_u32_e32 v1, s6, v5
	s_waitcnt vmcnt(3)
	v_fma_f64 v[22:23], -v[3:4], v[10:11], v[28:29]
	global_load_dwordx2 v[24:25], v[12:13], off
	global_load_dwordx2 v[28:29], v[14:15], off
	;; [unrolled: 1-line block ×4, first 2 shown]
	v_add_co_u32_e32 v12, vcc, s8, v20
	v_addc_co_u32_e32 v13, vcc, v40, v21, vcc
	v_lshlrev_b64 v[16:17], 3, v[1:2]
	v_add_u32_e32 v1, s7, v5
	global_store_dwordx2 v[26:27], v[22:23], off
	global_load_dwordx2 v[14:15], v[12:13], off
	v_add_co_u32_e32 v16, vcc, s8, v16
	v_addc_co_u32_e32 v17, vcc, v6, v17, vcc
	s_waitcnt vmcnt(0)
	v_fma_f64 v[14:15], -v[3:4], v[30:31], v[14:15]
	global_store_dwordx2 v[12:13], v[14:15], off
	global_load_dwordx2 v[12:13], v[16:17], off
	v_lshlrev_b64 v[14:15], 3, v[1:2]
	v_add_u32_e32 v1, s12, v5
	v_add_co_u32_e32 v14, vcc, s8, v14
	v_addc_co_u32_e32 v15, vcc, v6, v15, vcc
	s_waitcnt vmcnt(0)
	v_fma_f64 v[12:13], -v[3:4], v[32:33], v[12:13]
	global_store_dwordx2 v[16:17], v[12:13], off
	global_load_dwordx2 v[12:13], v[14:15], off
	v_lshlrev_b64 v[16:17], 3, v[1:2]
	v_add_u32_e32 v1, s13, v5
	;; [unrolled: 8-line block ×4, first 2 shown]
	v_add_co_u32_e32 v16, vcc, s8, v16
	v_addc_co_u32_e32 v17, vcc, v6, v17, vcc
	v_lshlrev_b64 v[5:6], 3, v[1:2]
	v_subrev_u32_e32 v1, s22, v7
	v_add_co_u32_e32 v5, vcc, s8, v5
	s_waitcnt vmcnt(0)
	v_fma_f64 v[12:13], -v[3:4], v[28:29], v[12:13]
	global_store_dwordx2 v[14:15], v[12:13], off
	global_load_dwordx2 v[12:13], v[16:17], off
	v_mov_b32_e32 v14, s9
	v_addc_co_u32_e32 v6, vcc, v14, v6, vcc
	v_add_u32_e32 v14, v1, v0
	v_ashrrev_i32_e32 v15, 31, v14
	v_add_u32_e32 v1, s4, v14
	s_waitcnt vmcnt(0)
	v_fma_f64 v[12:13], -v[3:4], v[36:37], v[12:13]
	global_store_dwordx2 v[16:17], v[12:13], off
	global_load_dwordx2 v[12:13], v[5:6], off
	v_lshlrev_b64 v[15:16], 3, v[14:15]
	v_mov_b32_e32 v17, s9
	v_add_co_u32_e32 v15, vcc, s10, v15
	v_addc_co_u32_e32 v16, vcc, v9, v16, vcc
	s_waitcnt vmcnt(0)
	v_fma_f64 v[3:4], -v[3:4], v[38:39], v[12:13]
	global_load_dwordx2 v[12:13], v[15:16], off
	v_lshlrev_b64 v[15:16], 3, v[1:2]
	v_add_u32_e32 v1, s5, v14
	v_add_co_u32_e32 v15, vcc, s8, v15
	v_addc_co_u32_e32 v16, vcc, v17, v16, vcc
	global_store_dwordx2 v[5:6], v[3:4], off
	global_load_dwordx2 v[3:4], v[15:16], off
	v_lshlrev_b64 v[5:6], 3, v[1:2]
	v_add_u32_e32 v1, s6, v14
	v_add_co_u32_e32 v5, vcc, s8, v5
	s_waitcnt vmcnt(0)
	v_fma_f64 v[3:4], -v[12:13], v[10:11], v[3:4]
	v_mov_b32_e32 v10, s9
	v_addc_co_u32_e32 v6, vcc, v10, v6, vcc
	v_lshlrev_b64 v[10:11], 3, v[1:2]
	v_add_u32_e32 v1, s7, v14
	v_add_co_u32_e32 v10, vcc, s8, v10
	global_store_dwordx2 v[15:16], v[3:4], off
	global_load_dwordx2 v[3:4], v[5:6], off
	v_mov_b32_e32 v15, s9
	v_addc_co_u32_e32 v11, vcc, v15, v11, vcc
	s_waitcnt vmcnt(0)
	v_fma_f64 v[3:4], -v[12:13], v[30:31], v[3:4]
	global_store_dwordx2 v[5:6], v[3:4], off
	global_load_dwordx2 v[3:4], v[10:11], off
	v_lshlrev_b64 v[5:6], 3, v[1:2]
	v_add_u32_e32 v1, s12, v14
	v_add_co_u32_e32 v5, vcc, s8, v5
	v_addc_co_u32_e32 v6, vcc, v15, v6, vcc
	s_waitcnt vmcnt(0)
	v_fma_f64 v[3:4], -v[12:13], v[32:33], v[3:4]
	global_store_dwordx2 v[10:11], v[3:4], off
	global_load_dwordx2 v[3:4], v[5:6], off
	v_lshlrev_b64 v[10:11], 3, v[1:2]
	v_add_u32_e32 v1, s13, v14
	v_add_co_u32_e32 v10, vcc, s8, v10
	;; [unrolled: 8-line block ×4, first 2 shown]
	v_addc_co_u32_e32 v11, vcc, v15, v11, vcc
	s_waitcnt vmcnt(0)
	v_fma_f64 v[3:4], -v[12:13], v[28:29], v[3:4]
	global_store_dwordx2 v[5:6], v[3:4], off
	global_load_dwordx2 v[3:4], v[10:11], off
	v_lshlrev_b64 v[5:6], 3, v[1:2]
	s_waitcnt vmcnt(0)
	v_fma_f64 v[3:4], -v[12:13], v[36:37], v[3:4]
	global_store_dwordx2 v[10:11], v[3:4], off
	v_add_co_u32_e32 v3, vcc, s8, v5
	v_addc_co_u32_e32 v4, vcc, v15, v6, vcc
	global_load_dwordx2 v[5:6], v[3:4], off
	s_waitcnt vmcnt(0)
	v_fma_f64 v[5:6], -v[12:13], v[38:39], v[5:6]
	global_store_dwordx2 v[3:4], v[5:6], off
                                        ; implicit-def: $vgpr5
                                        ; implicit-def: $vgpr3_vgpr4
.LBB120_27:                             ;   in Loop: Header=BB120_25 Depth=1
	s_or_saveexec_b64 s[2:3], s[2:3]
	v_mov_b32_e32 v1, s18
	s_xor_b64 exec, exec, s[2:3]
	s_cbranch_execz .LBB120_24
; %bb.28:                               ;   in Loop: Header=BB120_25 Depth=1
	v_add_u32_e32 v6, v71, v7
	v_add_u32_e32 v1, s4, v6
	v_lshlrev_b64 v[10:11], 3, v[1:2]
	v_mov_b32_e32 v1, s9
	v_add_co_u32_e32 v10, vcc, s8, v10
	v_addc_co_u32_e32 v11, vcc, v1, v11, vcc
	v_add_u32_e32 v1, s4, v5
	v_lshlrev_b64 v[12:13], 3, v[1:2]
	v_mov_b32_e32 v1, s9
	v_add_co_u32_e32 v12, vcc, s8, v12
	v_addc_co_u32_e32 v13, vcc, v1, v13, vcc
	global_load_dwordx2 v[14:15], v[10:11], off
	global_load_dwordx2 v[16:17], v[12:13], off
	v_add_u32_e32 v1, s5, v6
	v_lshlrev_b64 v[10:11], 3, v[1:2]
	v_add_u32_e32 v1, s5, v5
	v_mov_b32_e32 v20, s9
	v_lshlrev_b64 v[18:19], 3, v[1:2]
	v_add_co_u32_e32 v10, vcc, s8, v10
	v_addc_co_u32_e32 v11, vcc, v20, v11, vcc
	v_mov_b32_e32 v21, s9
	v_add_u32_e32 v1, s6, v6
	s_waitcnt vmcnt(0)
	v_fma_f64 v[14:15], -v[3:4], v[14:15], v[16:17]
	v_add_co_u32_e32 v16, vcc, s8, v18
	v_addc_co_u32_e32 v17, vcc, v21, v19, vcc
	global_store_dwordx2 v[12:13], v[14:15], off
	global_load_dwordx2 v[12:13], v[10:11], off
	s_nop 0
	global_load_dwordx2 v[14:15], v[16:17], off
	v_lshlrev_b64 v[10:11], 3, v[1:2]
	v_add_u32_e32 v1, s6, v5
	v_lshlrev_b64 v[18:19], 3, v[1:2]
	v_add_co_u32_e32 v10, vcc, s8, v10
	v_addc_co_u32_e32 v11, vcc, v20, v11, vcc
	v_add_u32_e32 v1, s7, v6
	s_waitcnt vmcnt(0)
	v_fma_f64 v[12:13], -v[3:4], v[12:13], v[14:15]
	v_add_co_u32_e32 v14, vcc, s8, v18
	v_addc_co_u32_e32 v15, vcc, v21, v19, vcc
	global_store_dwordx2 v[16:17], v[12:13], off
	global_load_dwordx2 v[12:13], v[10:11], off
	s_nop 0
	global_load_dwordx2 v[16:17], v[14:15], off
	v_lshlrev_b64 v[10:11], 3, v[1:2]
	v_add_u32_e32 v1, s7, v5
	v_lshlrev_b64 v[18:19], 3, v[1:2]
	v_add_co_u32_e32 v10, vcc, s8, v10
	v_addc_co_u32_e32 v11, vcc, v20, v11, vcc
	;; [unrolled: 14-line block ×5, first 2 shown]
	v_add_u32_e32 v1, s15, v6
	s_waitcnt vmcnt(0)
	v_fma_f64 v[12:13], -v[3:4], v[12:13], v[14:15]
	v_add_co_u32_e32 v14, vcc, s8, v18
	v_addc_co_u32_e32 v15, vcc, v21, v19, vcc
	v_mov_b32_e32 v18, s9
	v_mov_b32_e32 v19, s9
	global_store_dwordx2 v[16:17], v[12:13], off
	global_load_dwordx2 v[12:13], v[10:11], off
	s_nop 0
	global_load_dwordx2 v[16:17], v[14:15], off
	v_lshlrev_b64 v[10:11], 3, v[1:2]
	v_add_u32_e32 v1, s15, v5
	v_lshlrev_b64 v[5:6], 3, v[1:2]
	v_add_co_u32_e32 v10, vcc, s8, v10
	v_addc_co_u32_e32 v11, vcc, v18, v11, vcc
	v_add_co_u32_e32 v5, vcc, s8, v5
	v_addc_co_u32_e32 v6, vcc, v19, v6, vcc
	v_mov_b32_e32 v1, s22
	s_waitcnt vmcnt(0)
	v_fma_f64 v[12:13], -v[3:4], v[12:13], v[16:17]
	global_store_dwordx2 v[14:15], v[12:13], off
	global_load_dwordx2 v[12:13], v[10:11], off
	s_nop 0
	global_load_dwordx2 v[14:15], v[5:6], off
	s_waitcnt vmcnt(0)
	v_fma_f64 v[3:4], -v[3:4], v[12:13], v[14:15]
	global_store_dwordx2 v[5:6], v[3:4], off
	s_branch .LBB120_24
.LBB120_29:
	s_endpgm
	.section	.rodata,"a",@progbits
	.p2align	6, 0x0
	.amdhsa_kernel _ZN9rocsparseL19gtsv_LBM_rhs_kernelILj256ELj8ELj8EdEEviiiPKT2_S3_S3_PS1_S3_PKi
		.amdhsa_group_segment_fixed_size 0
		.amdhsa_private_segment_fixed_size 0
		.amdhsa_kernarg_size 64
		.amdhsa_user_sgpr_count 6
		.amdhsa_user_sgpr_private_segment_buffer 1
		.amdhsa_user_sgpr_dispatch_ptr 0
		.amdhsa_user_sgpr_queue_ptr 0
		.amdhsa_user_sgpr_kernarg_segment_ptr 1
		.amdhsa_user_sgpr_dispatch_id 0
		.amdhsa_user_sgpr_flat_scratch_init 0
		.amdhsa_user_sgpr_private_segment_size 0
		.amdhsa_uses_dynamic_stack 0
		.amdhsa_system_sgpr_private_segment_wavefront_offset 0
		.amdhsa_system_sgpr_workgroup_id_x 1
		.amdhsa_system_sgpr_workgroup_id_y 1
		.amdhsa_system_sgpr_workgroup_id_z 0
		.amdhsa_system_sgpr_workgroup_info 0
		.amdhsa_system_vgpr_workitem_id 0
		.amdhsa_next_free_vgpr 117
		.amdhsa_next_free_sgpr 37
		.amdhsa_reserve_vcc 1
		.amdhsa_reserve_flat_scratch 0
		.amdhsa_float_round_mode_32 0
		.amdhsa_float_round_mode_16_64 0
		.amdhsa_float_denorm_mode_32 3
		.amdhsa_float_denorm_mode_16_64 3
		.amdhsa_dx10_clamp 1
		.amdhsa_ieee_mode 1
		.amdhsa_fp16_overflow 0
		.amdhsa_exception_fp_ieee_invalid_op 0
		.amdhsa_exception_fp_denorm_src 0
		.amdhsa_exception_fp_ieee_div_zero 0
		.amdhsa_exception_fp_ieee_overflow 0
		.amdhsa_exception_fp_ieee_underflow 0
		.amdhsa_exception_fp_ieee_inexact 0
		.amdhsa_exception_int_div_zero 0
	.end_amdhsa_kernel
	.section	.text._ZN9rocsparseL19gtsv_LBM_rhs_kernelILj256ELj8ELj8EdEEviiiPKT2_S3_S3_PS1_S3_PKi,"axG",@progbits,_ZN9rocsparseL19gtsv_LBM_rhs_kernelILj256ELj8ELj8EdEEviiiPKT2_S3_S3_PS1_S3_PKi,comdat
.Lfunc_end120:
	.size	_ZN9rocsparseL19gtsv_LBM_rhs_kernelILj256ELj8ELj8EdEEviiiPKT2_S3_S3_PS1_S3_PKi, .Lfunc_end120-_ZN9rocsparseL19gtsv_LBM_rhs_kernelILj256ELj8ELj8EdEEviiiPKT2_S3_S3_PS1_S3_PKi
                                        ; -- End function
	.set _ZN9rocsparseL19gtsv_LBM_rhs_kernelILj256ELj8ELj8EdEEviiiPKT2_S3_S3_PS1_S3_PKi.num_vgpr, 117
	.set _ZN9rocsparseL19gtsv_LBM_rhs_kernelILj256ELj8ELj8EdEEviiiPKT2_S3_S3_PS1_S3_PKi.num_agpr, 0
	.set _ZN9rocsparseL19gtsv_LBM_rhs_kernelILj256ELj8ELj8EdEEviiiPKT2_S3_S3_PS1_S3_PKi.numbered_sgpr, 37
	.set _ZN9rocsparseL19gtsv_LBM_rhs_kernelILj256ELj8ELj8EdEEviiiPKT2_S3_S3_PS1_S3_PKi.num_named_barrier, 0
	.set _ZN9rocsparseL19gtsv_LBM_rhs_kernelILj256ELj8ELj8EdEEviiiPKT2_S3_S3_PS1_S3_PKi.private_seg_size, 0
	.set _ZN9rocsparseL19gtsv_LBM_rhs_kernelILj256ELj8ELj8EdEEviiiPKT2_S3_S3_PS1_S3_PKi.uses_vcc, 1
	.set _ZN9rocsparseL19gtsv_LBM_rhs_kernelILj256ELj8ELj8EdEEviiiPKT2_S3_S3_PS1_S3_PKi.uses_flat_scratch, 0
	.set _ZN9rocsparseL19gtsv_LBM_rhs_kernelILj256ELj8ELj8EdEEviiiPKT2_S3_S3_PS1_S3_PKi.has_dyn_sized_stack, 0
	.set _ZN9rocsparseL19gtsv_LBM_rhs_kernelILj256ELj8ELj8EdEEviiiPKT2_S3_S3_PS1_S3_PKi.has_recursion, 0
	.set _ZN9rocsparseL19gtsv_LBM_rhs_kernelILj256ELj8ELj8EdEEviiiPKT2_S3_S3_PS1_S3_PKi.has_indirect_call, 0
	.section	.AMDGPU.csdata,"",@progbits
; Kernel info:
; codeLenInByte = 4984
; TotalNumSgprs: 41
; NumVgprs: 117
; ScratchSize: 0
; MemoryBound: 0
; FloatMode: 240
; IeeeMode: 1
; LDSByteSize: 0 bytes/workgroup (compile time only)
; SGPRBlocks: 5
; VGPRBlocks: 29
; NumSGPRsForWavesPerEU: 41
; NumVGPRsForWavesPerEU: 117
; Occupancy: 2
; WaveLimiterHint : 0
; COMPUTE_PGM_RSRC2:SCRATCH_EN: 0
; COMPUTE_PGM_RSRC2:USER_SGPR: 6
; COMPUTE_PGM_RSRC2:TRAP_HANDLER: 0
; COMPUTE_PGM_RSRC2:TGID_X_EN: 1
; COMPUTE_PGM_RSRC2:TGID_Y_EN: 1
; COMPUTE_PGM_RSRC2:TGID_Z_EN: 0
; COMPUTE_PGM_RSRC2:TIDIG_COMP_CNT: 0
	.section	.text._ZN9rocsparseL19gtsv_LBM_rhs_kernelILj256ELj8ELj4EdEEviiiPKT2_S3_S3_PS1_S3_PKi,"axG",@progbits,_ZN9rocsparseL19gtsv_LBM_rhs_kernelILj256ELj8ELj4EdEEviiiPKT2_S3_S3_PS1_S3_PKi,comdat
	.globl	_ZN9rocsparseL19gtsv_LBM_rhs_kernelILj256ELj8ELj4EdEEviiiPKT2_S3_S3_PS1_S3_PKi ; -- Begin function _ZN9rocsparseL19gtsv_LBM_rhs_kernelILj256ELj8ELj4EdEEviiiPKT2_S3_S3_PS1_S3_PKi
	.p2align	8
	.type	_ZN9rocsparseL19gtsv_LBM_rhs_kernelILj256ELj8ELj4EdEEviiiPKT2_S3_S3_PS1_S3_PKi,@function
_ZN9rocsparseL19gtsv_LBM_rhs_kernelILj256ELj8ELj4EdEEviiiPKT2_S3_S3_PS1_S3_PKi: ; @_ZN9rocsparseL19gtsv_LBM_rhs_kernelILj256ELj8ELj4EdEEviiiPKT2_S3_S3_PS1_S3_PKi
; %bb.0:
	s_load_dword s23, s[4:5], 0x0
	v_lshl_or_b32 v0, s6, 8, v0
	s_waitcnt lgkmcnt(0)
	s_lshr_b32 s22, s23, 3
	v_cmp_gt_i32_e32 vcc, s22, v0
	s_and_saveexec_b64 s[0:1], vcc
	s_cbranch_execz .LBB121_29
; %bb.1:
	s_load_dwordx4 s[8:11], s[4:5], 0x28
	s_load_dwordx2 s[16:17], s[4:5], 0x38
	s_cmp_lt_i32 s23, 1
	v_add_u32_e32 v39, s22, v0
	s_mul_i32 s24, s7, s23
	s_cbranch_scc1 .LBB121_21
; %bb.2:
	s_load_dwordx4 s[12:15], s[4:5], 0x10
	s_load_dwordx2 s[6:7], s[4:5], 0x20
	v_ashrrev_i32_e32 v1, 31, v0
	v_lshlrev_b64 v[1:2], 3, v[0:1]
	s_lshl_b32 s28, s24, 2
	s_waitcnt lgkmcnt(0)
	v_mov_b32_e32 v3, s15
	v_add_co_u32_e32 v1, vcc, s14, v1
	v_addc_co_u32_e32 v2, vcc, v3, v2, vcc
	global_load_dwordx2 v[5:6], v[1:2], off
	s_add_i32 s29, s28, s23
	s_add_i32 s30, s29, s23
	s_mul_i32 s25, s22, 7
	s_mul_i32 s26, s22, 6
	s_lshl_b32 s27, s22, 1
	v_add_u32_e32 v41, s22, v39
	s_add_i32 s31, s30, s23
	v_mov_b32_e32 v2, 0
	s_mov_b64 s[18:19], 0
	v_mov_b32_e32 v42, s7
	v_mov_b32_e32 v40, 0
	s_branch .LBB121_5
.LBB121_3:                              ;   in Loop: Header=BB121_5 Depth=1
	s_or_b64 exec, exec, s[4:5]
	v_fma_f64 v[5:6], -v[5:6], v[29:30], v[7:8]
	v_mov_b32_e32 v1, s22
.LBB121_4:                              ;   in Loop: Header=BB121_5 Depth=1
	s_or_b64 exec, exec, s[2:3]
	v_add_u32_e32 v40, v1, v40
	v_cmp_le_i32_e32 vcc, s23, v40
	s_or_b64 s[18:19], vcc, s[18:19]
	s_andn2_b64 exec, exec, s[18:19]
	s_cbranch_execz .LBB121_20
.LBB121_5:                              ; =>This Inner Loop Header: Depth=1
	v_add_u32_e32 v15, v40, v0
	v_ashrrev_i32_e32 v16, 31, v15
	v_lshlrev_b64 v[3:4], 3, v[15:16]
	v_mov_b32_e32 v7, 0
	v_add_co_u32_e32 v3, vcc, s6, v3
	v_addc_co_u32_e32 v4, vcc, v42, v4, vcc
	global_load_dwordx2 v[13:14], v[3:4], off
	v_mov_b32_e32 v3, 0
	v_mov_b32_e32 v8, 0
	v_mov_b32_e32 v4, 0
	v_cmp_gt_u32_e64 s[0:1], s25, v40
	s_and_saveexec_b64 s[2:3], s[0:1]
	s_cbranch_execz .LBB121_7
; %bb.6:                                ;   in Loop: Header=BB121_5 Depth=1
	v_add_u32_e32 v3, v39, v40
	v_ashrrev_i32_e32 v4, 31, v3
	v_lshlrev_b64 v[3:4], 3, v[3:4]
	v_mov_b32_e32 v1, s13
	v_add_co_u32_e32 v3, vcc, s12, v3
	v_addc_co_u32_e32 v4, vcc, v1, v4, vcc
	global_load_dwordx2 v[3:4], v[3:4], off
.LBB121_7:                              ;   in Loop: Header=BB121_5 Depth=1
	s_or_b64 exec, exec, s[2:3]
	s_and_saveexec_b64 s[2:3], s[0:1]
	s_cbranch_execz .LBB121_9
; %bb.8:                                ;   in Loop: Header=BB121_5 Depth=1
	v_add_u32_e32 v7, v39, v40
	v_ashrrev_i32_e32 v8, 31, v7
	v_lshlrev_b64 v[7:8], 3, v[7:8]
	v_mov_b32_e32 v1, s15
	v_add_co_u32_e32 v7, vcc, s14, v7
	v_addc_co_u32_e32 v8, vcc, v1, v8, vcc
	global_load_dwordx2 v[7:8], v[7:8], off
.LBB121_9:                              ;   in Loop: Header=BB121_5 Depth=1
	s_or_b64 exec, exec, s[2:3]
	v_mov_b32_e32 v11, 0
	v_mov_b32_e32 v9, 0
	;; [unrolled: 1-line block ×4, first 2 shown]
	s_and_saveexec_b64 s[2:3], s[0:1]
	s_cbranch_execz .LBB121_11
; %bb.10:                               ;   in Loop: Header=BB121_5 Depth=1
	v_add_u32_e32 v9, v39, v40
	v_ashrrev_i32_e32 v10, 31, v9
	v_lshlrev_b64 v[9:10], 3, v[9:10]
	v_mov_b32_e32 v1, s7
	v_add_co_u32_e32 v9, vcc, s6, v9
	v_addc_co_u32_e32 v10, vcc, v1, v10, vcc
	global_load_dwordx2 v[9:10], v[9:10], off
.LBB121_11:                             ;   in Loop: Header=BB121_5 Depth=1
	s_or_b64 exec, exec, s[2:3]
	v_cmp_gt_u32_e64 s[2:3], s26, v40
	s_and_saveexec_b64 s[4:5], s[2:3]
	s_cbranch_execz .LBB121_13
; %bb.12:                               ;   in Loop: Header=BB121_5 Depth=1
	v_add_u32_e32 v11, v41, v40
	v_ashrrev_i32_e32 v12, 31, v11
	v_lshlrev_b64 v[11:12], 3, v[11:12]
	v_mov_b32_e32 v1, s13
	v_add_co_u32_e32 v11, vcc, s12, v11
	v_addc_co_u32_e32 v12, vcc, v1, v12, vcc
	global_load_dwordx2 v[11:12], v[11:12], off
.LBB121_13:                             ;   in Loop: Header=BB121_5 Depth=1
	s_or_b64 exec, exec, s[4:5]
	v_lshlrev_b64 v[16:17], 2, v[15:16]
	v_mov_b32_e32 v1, s17
	v_add_co_u32_e32 v16, vcc, s16, v16
	v_addc_co_u32_e32 v17, vcc, v1, v17, vcc
	global_load_dword v1, v[16:17], off
	v_cmp_ne_u32_e64 s[4:5], s25, v40
	s_waitcnt vmcnt(2)
	v_mov_b32_e32 v27, s9
	s_waitcnt vmcnt(1)
	v_mul_f64 v[29:30], v[13:14], v[3:4]
	s_waitcnt vmcnt(0)
	v_cmp_ne_u32_e32 vcc, 1, v1
	v_add_u32_e32 v1, s28, v15
	v_lshlrev_b64 v[16:17], 3, v[1:2]
	s_and_b64 s[4:5], s[4:5], vcc
	v_add_co_u32_e32 v21, vcc, s8, v16
	v_add_u32_e32 v1, s29, v15
	v_addc_co_u32_e32 v22, vcc, v27, v17, vcc
	v_lshlrev_b64 v[17:18], 3, v[1:2]
	v_add_u32_e32 v1, s30, v15
	v_add_co_u32_e32 v17, vcc, s8, v17
	v_lshlrev_b64 v[19:20], 3, v[1:2]
	v_addc_co_u32_e32 v18, vcc, v27, v18, vcc
	v_add_u32_e32 v1, s31, v15
	v_add_co_u32_e32 v19, vcc, s8, v19
	v_lshlrev_b64 v[15:16], 3, v[1:2]
	v_addc_co_u32_e32 v20, vcc, v27, v20, vcc
	v_add_co_u32_e32 v15, vcc, s8, v15
	v_addc_co_u32_e32 v16, vcc, v27, v16, vcc
	global_load_dwordx2 v[31:32], v[21:22], off
	global_load_dwordx2 v[23:24], v[17:18], off
	;; [unrolled: 1-line block ×4, first 2 shown]
	s_and_saveexec_b64 s[20:21], s[4:5]
	s_xor_b64 s[4:5], exec, s[20:21]
	s_cbranch_execz .LBB121_17
; %bb.14:                               ;   in Loop: Header=BB121_5 Depth=1
	v_fma_f64 v[29:30], v[5:6], v[7:8], -v[29:30]
	v_div_scale_f64 v[33:34], s[20:21], v[29:30], v[29:30], 1.0
	v_rcp_f64_e32 v[35:36], v[33:34]
	v_fma_f64 v[37:38], -v[33:34], v[35:36], 1.0
	v_fma_f64 v[35:36], v[35:36], v[37:38], v[35:36]
	v_fma_f64 v[37:38], -v[33:34], v[35:36], 1.0
	v_fma_f64 v[35:36], v[35:36], v[37:38], v[35:36]
	v_div_scale_f64 v[37:38], vcc, 1.0, v[29:30], 1.0
	v_mul_f64 v[43:44], v[37:38], v[35:36]
	v_fma_f64 v[33:34], -v[33:34], v[43:44], v[37:38]
	v_add_u32_e32 v37, v39, v40
	v_add_u32_e32 v1, s28, v37
	v_mov_b32_e32 v38, s9
	v_div_fmas_f64 v[33:34], v[33:34], v[35:36], v[43:44]
	v_lshlrev_b64 v[35:36], 3, v[1:2]
	v_add_u32_e32 v1, s29, v37
	v_add_co_u32_e32 v43, vcc, s8, v35
	v_addc_co_u32_e32 v44, vcc, v38, v36, vcc
	v_lshlrev_b64 v[35:36], 3, v[1:2]
	v_add_u32_e32 v1, s30, v37
	v_add_co_u32_e32 v45, vcc, s8, v35
	v_addc_co_u32_e32 v46, vcc, v38, v36, vcc
	v_lshlrev_b64 v[35:36], 3, v[1:2]
	v_add_u32_e32 v1, s31, v37
	v_add_co_u32_e32 v47, vcc, s8, v35
	v_div_fixup_f64 v[29:30], v[33:34], v[29:30], 1.0
	global_load_dwordx2 v[33:34], v[43:44], off
	v_addc_co_u32_e32 v48, vcc, v38, v36, vcc
	v_lshlrev_b64 v[35:36], 3, v[1:2]
	v_add_co_u32_e32 v49, vcc, s8, v35
	v_addc_co_u32_e32 v50, vcc, v38, v36, vcc
	global_load_dwordx2 v[37:38], v[45:46], off
	global_load_dwordx2 v[51:52], v[47:48], off
	;; [unrolled: 1-line block ×3, first 2 shown]
	s_waitcnt vmcnt(7)
	v_mul_f64 v[31:32], v[29:30], v[31:32]
	s_waitcnt vmcnt(3)
	v_mul_f64 v[35:36], v[29:30], v[33:34]
	;; [unrolled: 2-line block ×3, first 2 shown]
	v_mul_f64 v[33:34], v[13:14], v[35:36]
	v_fma_f64 v[33:34], v[7:8], v[31:32], -v[33:34]
	global_store_dwordx2 v[21:22], v[33:34], off
	v_mul_f64 v[33:34], v[29:30], v[23:24]
	v_mul_f64 v[21:22], v[13:14], v[37:38]
	v_fma_f64 v[21:22], v[7:8], v[33:34], -v[21:22]
	global_store_dwordx2 v[17:18], v[21:22], off
	s_waitcnt vmcnt(3)
	v_mul_f64 v[21:22], v[29:30], v[51:52]
	v_mul_f64 v[17:18], v[29:30], v[25:26]
	;; [unrolled: 1-line block ×3, first 2 shown]
	v_fma_f64 v[23:24], v[7:8], v[17:18], -v[23:24]
	global_store_dwordx2 v[19:20], v[23:24], off
	s_waitcnt vmcnt(3)
	v_mul_f64 v[19:20], v[29:30], v[53:54]
	v_mul_f64 v[23:24], v[29:30], v[27:28]
	;; [unrolled: 1-line block ×3, first 2 shown]
	v_fma_f64 v[7:8], v[7:8], v[23:24], -v[13:14]
	v_mul_f64 v[13:14], v[3:4], v[17:18]
	global_store_dwordx2 v[15:16], v[7:8], off
	v_mul_f64 v[7:8], v[3:4], v[31:32]
	v_fma_f64 v[13:14], v[5:6], v[21:22], -v[13:14]
	v_fma_f64 v[7:8], v[5:6], v[35:36], -v[7:8]
	global_store_dwordx2 v[43:44], v[7:8], off
	v_mul_f64 v[7:8], v[3:4], v[33:34]
	v_fma_f64 v[7:8], v[5:6], v[37:38], -v[7:8]
	global_store_dwordx2 v[45:46], v[7:8], off
	v_mul_f64 v[7:8], v[3:4], v[23:24]
	v_fma_f64 v[15:16], v[5:6], v[19:20], -v[7:8]
	v_mov_b32_e32 v7, 0
	v_mov_b32_e32 v8, 0
	global_store_dwordx2 v[47:48], v[13:14], off
	global_store_dwordx2 v[49:50], v[15:16], off
	s_and_saveexec_b64 s[20:21], s[2:3]
	s_cbranch_execz .LBB121_16
; %bb.15:                               ;   in Loop: Header=BB121_5 Depth=1
	v_add_u32_e32 v7, v41, v40
	v_add_u32_e32 v1, s28, v7
	v_lshlrev_b64 v[13:14], 3, v[1:2]
	v_add_u32_e32 v1, s29, v7
	v_mov_b32_e32 v43, s9
	v_add_co_u32_e32 v13, vcc, s8, v13
	v_lshlrev_b64 v[15:16], 3, v[1:2]
	v_addc_co_u32_e32 v14, vcc, v43, v14, vcc
	v_add_co_u32_e32 v15, vcc, s8, v15
	v_addc_co_u32_e32 v16, vcc, v43, v16, vcc
	global_load_dwordx2 v[25:26], v[13:14], off
	global_load_dwordx2 v[27:28], v[15:16], off
	v_mul_f64 v[5:6], v[5:6], v[11:12]
	v_mul_f64 v[3:4], v[3:4], v[11:12]
	v_add_u32_e32 v1, s30, v7
	v_ashrrev_i32_e32 v8, 31, v7
	v_mul_f64 v[11:12], v[5:6], v[35:36]
	v_mul_f64 v[35:36], v[5:6], v[37:38]
	v_mov_b32_e32 v37, s15
	v_mul_f64 v[19:20], v[5:6], v[19:20]
	v_fma_f64 v[11:12], v[3:4], v[31:32], -v[11:12]
	v_fma_f64 v[31:32], v[3:4], v[33:34], -v[35:36]
	v_lshlrev_b64 v[35:36], 3, v[1:2]
	v_add_u32_e32 v1, s31, v7
	v_lshlrev_b64 v[33:34], 3, v[7:8]
	v_lshlrev_b64 v[7:8], 3, v[1:2]
	s_waitcnt vmcnt(1)
	v_add_f64 v[11:12], v[11:12], v[25:26]
	s_waitcnt vmcnt(0)
	v_add_f64 v[25:26], v[31:32], v[27:28]
	v_add_co_u32_e32 v27, vcc, s8, v35
	v_addc_co_u32_e32 v28, vcc, v43, v36, vcc
	v_add_co_u32_e32 v31, vcc, s8, v7
	v_addc_co_u32_e32 v32, vcc, v43, v8, vcc
	global_store_dwordx2 v[13:14], v[11:12], off
	global_store_dwordx2 v[15:16], v[25:26], off
	v_add_co_u32_e32 v13, vcc, s14, v33
	v_addc_co_u32_e32 v14, vcc, v37, v34, vcc
	global_load_dwordx2 v[7:8], v[27:28], off
	global_load_dwordx2 v[11:12], v[31:32], off
	v_mul_f64 v[15:16], v[5:6], v[21:22]
	global_load_dwordx2 v[13:14], v[13:14], off
	v_mul_f64 v[5:6], v[9:10], v[5:6]
	v_fma_f64 v[15:16], v[3:4], v[17:18], -v[15:16]
	v_fma_f64 v[3:4], v[3:4], v[23:24], -v[19:20]
	s_waitcnt vmcnt(2)
	v_add_f64 v[9:10], v[15:16], v[7:8]
	s_waitcnt vmcnt(1)
	v_add_f64 v[3:4], v[3:4], v[11:12]
	global_store_dwordx2 v[27:28], v[9:10], off
	global_store_dwordx2 v[31:32], v[3:4], off
	s_waitcnt vmcnt(2)
	v_fma_f64 v[7:8], -v[29:30], v[5:6], v[13:14]
.LBB121_16:                             ;   in Loop: Header=BB121_5 Depth=1
	s_or_b64 exec, exec, s[20:21]
	v_mov_b32_e32 v5, v7
	v_mov_b32_e32 v6, v8
                                        ; implicit-def: $vgpr3_vgpr4
                                        ; implicit-def: $vgpr7_vgpr8
                                        ; implicit-def: $vgpr29_vgpr30
                                        ; implicit-def: $vgpr21_vgpr22
                                        ; implicit-def: $vgpr31_vgpr32
                                        ; implicit-def: $vgpr17_vgpr18
                                        ; implicit-def: $vgpr23_vgpr24
                                        ; implicit-def: $vgpr19_vgpr20
                                        ; implicit-def: $vgpr25_vgpr26
                                        ; implicit-def: $vgpr15_vgpr16
                                        ; implicit-def: $vgpr27_vgpr28
.LBB121_17:                             ;   in Loop: Header=BB121_5 Depth=1
	s_or_saveexec_b64 s[2:3], s[4:5]
	v_mov_b32_e32 v1, s27
	s_xor_b64 exec, exec, s[2:3]
	s_cbranch_execz .LBB121_4
; %bb.18:                               ;   in Loop: Header=BB121_5 Depth=1
	v_div_scale_f64 v[9:10], s[4:5], v[5:6], v[5:6], 1.0
	v_rcp_f64_e32 v[11:12], v[9:10]
	v_fma_f64 v[13:14], -v[9:10], v[11:12], 1.0
	v_fma_f64 v[11:12], v[11:12], v[13:14], v[11:12]
	v_div_scale_f64 v[13:14], vcc, 1.0, v[5:6], 1.0
	v_fma_f64 v[33:34], -v[9:10], v[11:12], 1.0
	v_fma_f64 v[11:12], v[11:12], v[33:34], v[11:12]
	v_mul_f64 v[33:34], v[13:14], v[11:12]
	v_fma_f64 v[9:10], -v[9:10], v[33:34], v[13:14]
	v_div_fmas_f64 v[9:10], v[9:10], v[11:12], v[33:34]
	v_div_fixup_f64 v[5:6], v[9:10], v[5:6], 1.0
	s_waitcnt vmcnt(3)
	v_mul_f64 v[13:14], v[5:6], v[31:32]
	s_waitcnt vmcnt(2)
	v_mul_f64 v[23:24], v[5:6], v[23:24]
	;; [unrolled: 2-line block ×4, first 2 shown]
	global_store_dwordx2 v[21:22], v[13:14], off
	global_store_dwordx2 v[17:18], v[23:24], off
	;; [unrolled: 1-line block ×4, first 2 shown]
	s_and_saveexec_b64 s[4:5], s[0:1]
	s_cbranch_execz .LBB121_3
; %bb.19:                               ;   in Loop: Header=BB121_5 Depth=1
	v_add_u32_e32 v27, v39, v40
	v_add_u32_e32 v1, s28, v27
	v_lshlrev_b64 v[15:16], 3, v[1:2]
	v_add_u32_e32 v1, s29, v27
	v_mov_b32_e32 v31, s9
	v_add_co_u32_e32 v15, vcc, s8, v15
	v_lshlrev_b64 v[17:18], 3, v[1:2]
	v_addc_co_u32_e32 v16, vcc, v31, v16, vcc
	v_add_co_u32_e32 v17, vcc, s8, v17
	v_addc_co_u32_e32 v18, vcc, v31, v18, vcc
	global_load_dwordx2 v[19:20], v[15:16], off
	global_load_dwordx2 v[21:22], v[17:18], off
	v_add_u32_e32 v1, s30, v27
	v_lshlrev_b64 v[25:26], 3, v[1:2]
	v_add_u32_e32 v1, s31, v27
	v_lshlrev_b64 v[27:28], 3, v[1:2]
	s_waitcnt vmcnt(1)
	v_fma_f64 v[13:14], -v[3:4], v[13:14], v[19:20]
	s_waitcnt vmcnt(0)
	v_fma_f64 v[19:20], -v[3:4], v[23:24], v[21:22]
	v_add_co_u32_e32 v21, vcc, s8, v25
	v_addc_co_u32_e32 v22, vcc, v31, v26, vcc
	v_add_co_u32_e32 v23, vcc, s8, v27
	global_store_dwordx2 v[15:16], v[13:14], off
	global_store_dwordx2 v[17:18], v[19:20], off
	v_addc_co_u32_e32 v24, vcc, v31, v28, vcc
	global_load_dwordx2 v[13:14], v[21:22], off
	global_load_dwordx2 v[15:16], v[23:24], off
	s_waitcnt vmcnt(1)
	v_fma_f64 v[9:10], -v[3:4], v[9:10], v[13:14]
	s_waitcnt vmcnt(0)
	v_fma_f64 v[3:4], -v[3:4], v[11:12], v[15:16]
	global_store_dwordx2 v[21:22], v[9:10], off
	global_store_dwordx2 v[23:24], v[3:4], off
	s_branch .LBB121_3
.LBB121_20:
	s_or_b64 exec, exec, s[18:19]
	s_branch .LBB121_22
.LBB121_21:
	v_mov_b32_e32 v40, 0
.LBB121_22:
	v_subrev_u32_e32 v3, s22, v40
	v_add_u32_e32 v1, v3, v0
	v_ashrrev_i32_e32 v2, 31, v1
	v_lshlrev_b64 v[1:2], 2, v[1:2]
	s_waitcnt lgkmcnt(0)
	v_mov_b32_e32 v4, s17
	v_add_co_u32_e32 v1, vcc, s16, v1
	v_addc_co_u32_e32 v2, vcc, v4, v2, vcc
	s_waitcnt vmcnt(0)
	buffer_wbinvl1_vol
	global_load_dword v1, v[1:2], off
	s_waitcnt vmcnt(0)
	v_mul_lo_u32 v1, v1, s22
	v_sub_u32_e32 v7, v3, v1
	v_cmp_lt_i32_e32 vcc, -1, v7
	s_and_b64 exec, exec, vcc
	s_cbranch_execz .LBB121_29
; %bb.23:
	s_lshl_b32 s4, s24, 2
	s_add_i32 s5, s4, s23
	s_add_i32 s6, s5, s23
	;; [unrolled: 1-line block ×3, first 2 shown]
	s_lshl_b32 s12, s22, 1
	s_mov_b64 s[0:1], 0
	v_mov_b32_e32 v8, s17
	v_mov_b32_e32 v9, s11
	;; [unrolled: 1-line block ×3, first 2 shown]
	s_branch .LBB121_25
.LBB121_24:                             ;   in Loop: Header=BB121_25 Depth=1
	s_or_b64 exec, exec, s[2:3]
	v_sub_u32_e32 v7, v7, v1
	v_cmp_gt_i32_e32 vcc, 0, v7
	s_or_b64 s[0:1], vcc, s[0:1]
	s_andn2_b64 exec, exec, s[0:1]
	s_cbranch_execz .LBB121_29
.LBB121_25:                             ; =>This Inner Loop Header: Depth=1
	v_add_u32_e32 v5, v7, v0
	v_ashrrev_i32_e32 v6, 31, v5
	s_waitcnt vmcnt(0)
	v_lshlrev_b64 v[3:4], 2, v[5:6]
	v_add_co_u32_e32 v3, vcc, s16, v3
	v_addc_co_u32_e32 v4, vcc, v8, v4, vcc
	global_load_dword v1, v[3:4], off
	v_lshlrev_b64 v[3:4], 3, v[5:6]
	v_add_co_u32_e32 v3, vcc, s10, v3
	v_addc_co_u32_e32 v4, vcc, v9, v4, vcc
	global_load_dwordx2 v[3:4], v[3:4], off
	s_waitcnt vmcnt(1)
	v_cmp_ne_u32_e32 vcc, 1, v1
	s_and_saveexec_b64 s[2:3], vcc
	s_xor_b64 s[2:3], exec, s[2:3]
	s_cbranch_execz .LBB121_27
; %bb.26:                               ;   in Loop: Header=BB121_25 Depth=1
	v_add_u32_e32 v6, v39, v7
	v_add_u32_e32 v1, s4, v6
	v_lshlrev_b64 v[10:11], 3, v[1:2]
	v_mov_b32_e32 v1, s9
	v_add_co_u32_e32 v10, vcc, s8, v10
	v_addc_co_u32_e32 v11, vcc, v1, v11, vcc
	v_add_u32_e32 v1, s5, v6
	v_lshlrev_b64 v[12:13], 3, v[1:2]
	v_add_u32_e32 v1, s6, v6
	v_lshlrev_b64 v[14:15], 3, v[1:2]
	;; [unrolled: 2-line block ×4, first 2 shown]
	v_mov_b32_e32 v1, s9
	v_add_co_u32_e32 v18, vcc, s8, v18
	v_addc_co_u32_e32 v19, vcc, v1, v19, vcc
	global_load_dwordx2 v[10:11], v[10:11], off
	v_add_co_u32_e32 v12, vcc, s8, v12
	global_load_dwordx2 v[20:21], v[18:19], off
	v_addc_co_u32_e32 v13, vcc, v1, v13, vcc
	v_mov_b32_e32 v6, s9
	v_add_co_u32_e32 v14, vcc, s8, v14
	v_addc_co_u32_e32 v15, vcc, v6, v15, vcc
	v_mov_b32_e32 v22, s9
	v_add_co_u32_e32 v16, vcc, s8, v16
	v_addc_co_u32_e32 v17, vcc, v22, v17, vcc
	global_load_dwordx2 v[22:23], v[12:13], off
	global_load_dwordx2 v[24:25], v[14:15], off
	;; [unrolled: 1-line block ×3, first 2 shown]
	v_add_u32_e32 v1, s5, v5
	v_lshlrev_b64 v[14:15], 3, v[1:2]
	v_add_u32_e32 v1, s6, v5
	v_add_co_u32_e32 v14, vcc, s8, v14
	v_addc_co_u32_e32 v15, vcc, v6, v15, vcc
	v_lshlrev_b64 v[16:17], 3, v[1:2]
	v_add_u32_e32 v1, s7, v5
	v_add_co_u32_e32 v16, vcc, s8, v16
	v_addc_co_u32_e32 v17, vcc, v6, v17, vcc
	v_lshlrev_b64 v[5:6], 3, v[1:2]
	v_subrev_u32_e32 v1, s22, v7
	v_add_co_u32_e32 v5, vcc, s8, v5
	s_waitcnt vmcnt(3)
	v_fma_f64 v[12:13], -v[3:4], v[10:11], v[20:21]
	global_store_dwordx2 v[18:19], v[12:13], off
	global_load_dwordx2 v[12:13], v[14:15], off
	s_waitcnt vmcnt(0)
	v_fma_f64 v[12:13], -v[3:4], v[22:23], v[12:13]
	global_store_dwordx2 v[14:15], v[12:13], off
	global_load_dwordx2 v[12:13], v[16:17], off
	v_mov_b32_e32 v14, s9
	v_addc_co_u32_e32 v6, vcc, v14, v6, vcc
	v_add_u32_e32 v14, v1, v0
	v_ashrrev_i32_e32 v15, 31, v14
	v_add_u32_e32 v1, s4, v14
	s_waitcnt vmcnt(0)
	v_fma_f64 v[12:13], -v[3:4], v[24:25], v[12:13]
	global_store_dwordx2 v[16:17], v[12:13], off
	global_load_dwordx2 v[12:13], v[5:6], off
	v_lshlrev_b64 v[15:16], 3, v[14:15]
	v_mov_b32_e32 v17, s9
	v_add_co_u32_e32 v15, vcc, s10, v15
	v_addc_co_u32_e32 v16, vcc, v9, v16, vcc
	s_waitcnt vmcnt(0)
	v_fma_f64 v[3:4], -v[3:4], v[26:27], v[12:13]
	global_load_dwordx2 v[12:13], v[15:16], off
	v_lshlrev_b64 v[15:16], 3, v[1:2]
	v_add_u32_e32 v1, s5, v14
	v_add_co_u32_e32 v15, vcc, s8, v15
	v_addc_co_u32_e32 v16, vcc, v17, v16, vcc
	global_store_dwordx2 v[5:6], v[3:4], off
	global_load_dwordx2 v[3:4], v[15:16], off
	v_lshlrev_b64 v[5:6], 3, v[1:2]
	v_add_u32_e32 v1, s6, v14
	v_add_co_u32_e32 v5, vcc, s8, v5
	s_waitcnt vmcnt(0)
	v_fma_f64 v[3:4], -v[12:13], v[10:11], v[3:4]
	v_mov_b32_e32 v10, s9
	v_addc_co_u32_e32 v6, vcc, v10, v6, vcc
	v_lshlrev_b64 v[10:11], 3, v[1:2]
	v_add_u32_e32 v1, s7, v14
	v_add_co_u32_e32 v10, vcc, s8, v10
	global_store_dwordx2 v[15:16], v[3:4], off
	global_load_dwordx2 v[3:4], v[5:6], off
	v_mov_b32_e32 v15, s9
	v_addc_co_u32_e32 v11, vcc, v15, v11, vcc
	s_waitcnt vmcnt(0)
	v_fma_f64 v[3:4], -v[12:13], v[22:23], v[3:4]
	global_store_dwordx2 v[5:6], v[3:4], off
	global_load_dwordx2 v[3:4], v[10:11], off
	v_lshlrev_b64 v[5:6], 3, v[1:2]
	s_waitcnt vmcnt(0)
	v_fma_f64 v[3:4], -v[12:13], v[24:25], v[3:4]
	global_store_dwordx2 v[10:11], v[3:4], off
	v_add_co_u32_e32 v3, vcc, s8, v5
	v_addc_co_u32_e32 v4, vcc, v15, v6, vcc
	global_load_dwordx2 v[5:6], v[3:4], off
	s_waitcnt vmcnt(0)
	v_fma_f64 v[5:6], -v[12:13], v[26:27], v[5:6]
	global_store_dwordx2 v[3:4], v[5:6], off
                                        ; implicit-def: $vgpr5
                                        ; implicit-def: $vgpr3_vgpr4
.LBB121_27:                             ;   in Loop: Header=BB121_25 Depth=1
	s_or_saveexec_b64 s[2:3], s[2:3]
	v_mov_b32_e32 v1, s12
	s_xor_b64 exec, exec, s[2:3]
	s_cbranch_execz .LBB121_24
; %bb.28:                               ;   in Loop: Header=BB121_25 Depth=1
	v_add_u32_e32 v6, v39, v7
	v_add_u32_e32 v1, s4, v6
	v_lshlrev_b64 v[10:11], 3, v[1:2]
	v_mov_b32_e32 v1, s9
	v_add_co_u32_e32 v10, vcc, s8, v10
	v_addc_co_u32_e32 v11, vcc, v1, v11, vcc
	v_add_u32_e32 v1, s4, v5
	v_lshlrev_b64 v[12:13], 3, v[1:2]
	v_mov_b32_e32 v1, s9
	v_add_co_u32_e32 v12, vcc, s8, v12
	v_addc_co_u32_e32 v13, vcc, v1, v13, vcc
	global_load_dwordx2 v[14:15], v[10:11], off
	global_load_dwordx2 v[16:17], v[12:13], off
	v_add_u32_e32 v1, s5, v6
	v_lshlrev_b64 v[10:11], 3, v[1:2]
	v_add_u32_e32 v1, s5, v5
	v_mov_b32_e32 v20, s9
	v_lshlrev_b64 v[18:19], 3, v[1:2]
	v_add_co_u32_e32 v10, vcc, s8, v10
	v_addc_co_u32_e32 v11, vcc, v20, v11, vcc
	v_mov_b32_e32 v21, s9
	v_add_u32_e32 v1, s6, v6
	s_waitcnt vmcnt(0)
	v_fma_f64 v[14:15], -v[3:4], v[14:15], v[16:17]
	v_add_co_u32_e32 v16, vcc, s8, v18
	v_addc_co_u32_e32 v17, vcc, v21, v19, vcc
	global_store_dwordx2 v[12:13], v[14:15], off
	global_load_dwordx2 v[12:13], v[10:11], off
	s_nop 0
	global_load_dwordx2 v[14:15], v[16:17], off
	v_lshlrev_b64 v[10:11], 3, v[1:2]
	v_add_u32_e32 v1, s6, v5
	v_lshlrev_b64 v[18:19], 3, v[1:2]
	v_add_co_u32_e32 v10, vcc, s8, v10
	v_addc_co_u32_e32 v11, vcc, v20, v11, vcc
	v_add_u32_e32 v1, s7, v6
	s_waitcnt vmcnt(0)
	v_fma_f64 v[12:13], -v[3:4], v[12:13], v[14:15]
	v_add_co_u32_e32 v14, vcc, s8, v18
	v_addc_co_u32_e32 v15, vcc, v21, v19, vcc
	v_mov_b32_e32 v18, s9
	v_mov_b32_e32 v19, s9
	global_store_dwordx2 v[16:17], v[12:13], off
	global_load_dwordx2 v[12:13], v[10:11], off
	s_nop 0
	global_load_dwordx2 v[16:17], v[14:15], off
	v_lshlrev_b64 v[10:11], 3, v[1:2]
	v_add_u32_e32 v1, s7, v5
	v_lshlrev_b64 v[5:6], 3, v[1:2]
	v_add_co_u32_e32 v10, vcc, s8, v10
	v_addc_co_u32_e32 v11, vcc, v18, v11, vcc
	v_add_co_u32_e32 v5, vcc, s8, v5
	v_addc_co_u32_e32 v6, vcc, v19, v6, vcc
	v_mov_b32_e32 v1, s22
	s_waitcnt vmcnt(0)
	v_fma_f64 v[12:13], -v[3:4], v[12:13], v[16:17]
	global_store_dwordx2 v[14:15], v[12:13], off
	global_load_dwordx2 v[12:13], v[10:11], off
	s_nop 0
	global_load_dwordx2 v[14:15], v[5:6], off
	s_waitcnt vmcnt(0)
	v_fma_f64 v[3:4], -v[3:4], v[12:13], v[14:15]
	global_store_dwordx2 v[5:6], v[3:4], off
	s_branch .LBB121_24
.LBB121_29:
	s_endpgm
	.section	.rodata,"a",@progbits
	.p2align	6, 0x0
	.amdhsa_kernel _ZN9rocsparseL19gtsv_LBM_rhs_kernelILj256ELj8ELj4EdEEviiiPKT2_S3_S3_PS1_S3_PKi
		.amdhsa_group_segment_fixed_size 0
		.amdhsa_private_segment_fixed_size 0
		.amdhsa_kernarg_size 64
		.amdhsa_user_sgpr_count 6
		.amdhsa_user_sgpr_private_segment_buffer 1
		.amdhsa_user_sgpr_dispatch_ptr 0
		.amdhsa_user_sgpr_queue_ptr 0
		.amdhsa_user_sgpr_kernarg_segment_ptr 1
		.amdhsa_user_sgpr_dispatch_id 0
		.amdhsa_user_sgpr_flat_scratch_init 0
		.amdhsa_user_sgpr_private_segment_size 0
		.amdhsa_uses_dynamic_stack 0
		.amdhsa_system_sgpr_private_segment_wavefront_offset 0
		.amdhsa_system_sgpr_workgroup_id_x 1
		.amdhsa_system_sgpr_workgroup_id_y 1
		.amdhsa_system_sgpr_workgroup_id_z 0
		.amdhsa_system_sgpr_workgroup_info 0
		.amdhsa_system_vgpr_workitem_id 0
		.amdhsa_next_free_vgpr 55
		.amdhsa_next_free_sgpr 32
		.amdhsa_reserve_vcc 1
		.amdhsa_reserve_flat_scratch 0
		.amdhsa_float_round_mode_32 0
		.amdhsa_float_round_mode_16_64 0
		.amdhsa_float_denorm_mode_32 3
		.amdhsa_float_denorm_mode_16_64 3
		.amdhsa_dx10_clamp 1
		.amdhsa_ieee_mode 1
		.amdhsa_fp16_overflow 0
		.amdhsa_exception_fp_ieee_invalid_op 0
		.amdhsa_exception_fp_denorm_src 0
		.amdhsa_exception_fp_ieee_div_zero 0
		.amdhsa_exception_fp_ieee_overflow 0
		.amdhsa_exception_fp_ieee_underflow 0
		.amdhsa_exception_fp_ieee_inexact 0
		.amdhsa_exception_int_div_zero 0
	.end_amdhsa_kernel
	.section	.text._ZN9rocsparseL19gtsv_LBM_rhs_kernelILj256ELj8ELj4EdEEviiiPKT2_S3_S3_PS1_S3_PKi,"axG",@progbits,_ZN9rocsparseL19gtsv_LBM_rhs_kernelILj256ELj8ELj4EdEEviiiPKT2_S3_S3_PS1_S3_PKi,comdat
.Lfunc_end121:
	.size	_ZN9rocsparseL19gtsv_LBM_rhs_kernelILj256ELj8ELj4EdEEviiiPKT2_S3_S3_PS1_S3_PKi, .Lfunc_end121-_ZN9rocsparseL19gtsv_LBM_rhs_kernelILj256ELj8ELj4EdEEviiiPKT2_S3_S3_PS1_S3_PKi
                                        ; -- End function
	.set _ZN9rocsparseL19gtsv_LBM_rhs_kernelILj256ELj8ELj4EdEEviiiPKT2_S3_S3_PS1_S3_PKi.num_vgpr, 55
	.set _ZN9rocsparseL19gtsv_LBM_rhs_kernelILj256ELj8ELj4EdEEviiiPKT2_S3_S3_PS1_S3_PKi.num_agpr, 0
	.set _ZN9rocsparseL19gtsv_LBM_rhs_kernelILj256ELj8ELj4EdEEviiiPKT2_S3_S3_PS1_S3_PKi.numbered_sgpr, 32
	.set _ZN9rocsparseL19gtsv_LBM_rhs_kernelILj256ELj8ELj4EdEEviiiPKT2_S3_S3_PS1_S3_PKi.num_named_barrier, 0
	.set _ZN9rocsparseL19gtsv_LBM_rhs_kernelILj256ELj8ELj4EdEEviiiPKT2_S3_S3_PS1_S3_PKi.private_seg_size, 0
	.set _ZN9rocsparseL19gtsv_LBM_rhs_kernelILj256ELj8ELj4EdEEviiiPKT2_S3_S3_PS1_S3_PKi.uses_vcc, 1
	.set _ZN9rocsparseL19gtsv_LBM_rhs_kernelILj256ELj8ELj4EdEEviiiPKT2_S3_S3_PS1_S3_PKi.uses_flat_scratch, 0
	.set _ZN9rocsparseL19gtsv_LBM_rhs_kernelILj256ELj8ELj4EdEEviiiPKT2_S3_S3_PS1_S3_PKi.has_dyn_sized_stack, 0
	.set _ZN9rocsparseL19gtsv_LBM_rhs_kernelILj256ELj8ELj4EdEEviiiPKT2_S3_S3_PS1_S3_PKi.has_recursion, 0
	.set _ZN9rocsparseL19gtsv_LBM_rhs_kernelILj256ELj8ELj4EdEEviiiPKT2_S3_S3_PS1_S3_PKi.has_indirect_call, 0
	.section	.AMDGPU.csdata,"",@progbits
; Kernel info:
; codeLenInByte = 3096
; TotalNumSgprs: 36
; NumVgprs: 55
; ScratchSize: 0
; MemoryBound: 0
; FloatMode: 240
; IeeeMode: 1
; LDSByteSize: 0 bytes/workgroup (compile time only)
; SGPRBlocks: 4
; VGPRBlocks: 13
; NumSGPRsForWavesPerEU: 36
; NumVGPRsForWavesPerEU: 55
; Occupancy: 4
; WaveLimiterHint : 0
; COMPUTE_PGM_RSRC2:SCRATCH_EN: 0
; COMPUTE_PGM_RSRC2:USER_SGPR: 6
; COMPUTE_PGM_RSRC2:TRAP_HANDLER: 0
; COMPUTE_PGM_RSRC2:TGID_X_EN: 1
; COMPUTE_PGM_RSRC2:TGID_Y_EN: 1
; COMPUTE_PGM_RSRC2:TGID_Z_EN: 0
; COMPUTE_PGM_RSRC2:TIDIG_COMP_CNT: 0
	.section	.text._ZN9rocsparseL19gtsv_LBM_rhs_kernelILj256ELj8ELj2EdEEviiiPKT2_S3_S3_PS1_S3_PKi,"axG",@progbits,_ZN9rocsparseL19gtsv_LBM_rhs_kernelILj256ELj8ELj2EdEEviiiPKT2_S3_S3_PS1_S3_PKi,comdat
	.globl	_ZN9rocsparseL19gtsv_LBM_rhs_kernelILj256ELj8ELj2EdEEviiiPKT2_S3_S3_PS1_S3_PKi ; -- Begin function _ZN9rocsparseL19gtsv_LBM_rhs_kernelILj256ELj8ELj2EdEEviiiPKT2_S3_S3_PS1_S3_PKi
	.p2align	8
	.type	_ZN9rocsparseL19gtsv_LBM_rhs_kernelILj256ELj8ELj2EdEEviiiPKT2_S3_S3_PS1_S3_PKi,@function
_ZN9rocsparseL19gtsv_LBM_rhs_kernelILj256ELj8ELj2EdEEviiiPKT2_S3_S3_PS1_S3_PKi: ; @_ZN9rocsparseL19gtsv_LBM_rhs_kernelILj256ELj8ELj2EdEEviiiPKT2_S3_S3_PS1_S3_PKi
; %bb.0:
	s_load_dword s23, s[4:5], 0x0
	v_lshl_or_b32 v0, s6, 8, v0
	s_waitcnt lgkmcnt(0)
	s_lshr_b32 s22, s23, 3
	v_cmp_gt_i32_e32 vcc, s22, v0
	s_and_saveexec_b64 s[0:1], vcc
	s_cbranch_execz .LBB122_29
; %bb.1:
	s_load_dwordx4 s[8:11], s[4:5], 0x28
	s_load_dwordx2 s[16:17], s[4:5], 0x38
	s_cmp_lt_i32 s23, 1
	v_add_u32_e32 v29, s22, v0
	s_mul_i32 s24, s7, s23
	s_cbranch_scc1 .LBB122_21
; %bb.2:
	s_load_dwordx4 s[12:15], s[4:5], 0x10
	s_load_dwordx2 s[6:7], s[4:5], 0x20
	v_ashrrev_i32_e32 v1, 31, v0
	v_lshlrev_b64 v[1:2], 3, v[0:1]
	s_lshl_b32 s28, s24, 1
	s_waitcnt lgkmcnt(0)
	v_mov_b32_e32 v3, s15
	v_add_co_u32_e32 v1, vcc, s14, v1
	v_addc_co_u32_e32 v2, vcc, v3, v2, vcc
	global_load_dwordx2 v[3:4], v[1:2], off
	s_mul_i32 s25, s22, 7
	s_mul_i32 s26, s22, 6
	s_lshl_b32 s27, s22, 1
	v_add_u32_e32 v31, s22, v29
	s_add_i32 s29, s28, s23
	v_mov_b32_e32 v2, 0
	s_mov_b64 s[18:19], 0
	v_mov_b32_e32 v32, s7
	v_mov_b32_e32 v30, 0
	s_branch .LBB122_5
.LBB122_3:                              ;   in Loop: Header=BB122_5 Depth=1
	s_or_b64 exec, exec, s[4:5]
	v_fma_f64 v[3:4], -v[3:4], v[21:22], v[7:8]
	v_mov_b32_e32 v1, s22
.LBB122_4:                              ;   in Loop: Header=BB122_5 Depth=1
	s_or_b64 exec, exec, s[2:3]
	v_add_u32_e32 v30, v1, v30
	v_cmp_le_i32_e32 vcc, s23, v30
	s_or_b64 s[18:19], vcc, s[18:19]
	s_andn2_b64 exec, exec, s[18:19]
	s_cbranch_execz .LBB122_20
.LBB122_5:                              ; =>This Inner Loop Header: Depth=1
	v_add_u32_e32 v17, v30, v0
	v_ashrrev_i32_e32 v18, 31, v17
	v_lshlrev_b64 v[5:6], 3, v[17:18]
	v_mov_b32_e32 v7, 0
	v_add_co_u32_e32 v5, vcc, s6, v5
	v_addc_co_u32_e32 v6, vcc, v32, v6, vcc
	global_load_dwordx2 v[13:14], v[5:6], off
	v_mov_b32_e32 v5, 0
	v_mov_b32_e32 v8, 0
	;; [unrolled: 1-line block ×3, first 2 shown]
	v_cmp_gt_u32_e64 s[0:1], s25, v30
	s_and_saveexec_b64 s[2:3], s[0:1]
	s_cbranch_execz .LBB122_7
; %bb.6:                                ;   in Loop: Header=BB122_5 Depth=1
	v_add_u32_e32 v5, v29, v30
	v_ashrrev_i32_e32 v6, 31, v5
	v_lshlrev_b64 v[5:6], 3, v[5:6]
	v_mov_b32_e32 v1, s13
	v_add_co_u32_e32 v5, vcc, s12, v5
	v_addc_co_u32_e32 v6, vcc, v1, v6, vcc
	global_load_dwordx2 v[5:6], v[5:6], off
.LBB122_7:                              ;   in Loop: Header=BB122_5 Depth=1
	s_or_b64 exec, exec, s[2:3]
	s_and_saveexec_b64 s[2:3], s[0:1]
	s_cbranch_execz .LBB122_9
; %bb.8:                                ;   in Loop: Header=BB122_5 Depth=1
	v_add_u32_e32 v7, v29, v30
	v_ashrrev_i32_e32 v8, 31, v7
	v_lshlrev_b64 v[7:8], 3, v[7:8]
	v_mov_b32_e32 v1, s15
	v_add_co_u32_e32 v7, vcc, s14, v7
	v_addc_co_u32_e32 v8, vcc, v1, v8, vcc
	global_load_dwordx2 v[7:8], v[7:8], off
.LBB122_9:                              ;   in Loop: Header=BB122_5 Depth=1
	s_or_b64 exec, exec, s[2:3]
	v_mov_b32_e32 v11, 0
	v_mov_b32_e32 v9, 0
	v_mov_b32_e32 v12, 0
	v_mov_b32_e32 v10, 0
	s_and_saveexec_b64 s[2:3], s[0:1]
	s_cbranch_execz .LBB122_11
; %bb.10:                               ;   in Loop: Header=BB122_5 Depth=1
	v_add_u32_e32 v9, v29, v30
	v_ashrrev_i32_e32 v10, 31, v9
	v_lshlrev_b64 v[9:10], 3, v[9:10]
	v_mov_b32_e32 v1, s7
	v_add_co_u32_e32 v9, vcc, s6, v9
	v_addc_co_u32_e32 v10, vcc, v1, v10, vcc
	global_load_dwordx2 v[9:10], v[9:10], off
.LBB122_11:                             ;   in Loop: Header=BB122_5 Depth=1
	s_or_b64 exec, exec, s[2:3]
	v_cmp_gt_u32_e64 s[2:3], s26, v30
	s_and_saveexec_b64 s[4:5], s[2:3]
	s_cbranch_execz .LBB122_13
; %bb.12:                               ;   in Loop: Header=BB122_5 Depth=1
	v_add_u32_e32 v11, v31, v30
	v_ashrrev_i32_e32 v12, 31, v11
	v_lshlrev_b64 v[11:12], 3, v[11:12]
	v_mov_b32_e32 v1, s13
	v_add_co_u32_e32 v11, vcc, s12, v11
	v_addc_co_u32_e32 v12, vcc, v1, v12, vcc
	global_load_dwordx2 v[11:12], v[11:12], off
.LBB122_13:                             ;   in Loop: Header=BB122_5 Depth=1
	s_or_b64 exec, exec, s[4:5]
	v_lshlrev_b64 v[15:16], 2, v[17:18]
	v_mov_b32_e32 v1, s17
	v_add_co_u32_e32 v15, vcc, s16, v15
	v_addc_co_u32_e32 v16, vcc, v1, v16, vcc
	global_load_dword v1, v[15:16], off
	v_cmp_ne_u32_e64 s[4:5], s25, v30
	s_waitcnt vmcnt(2)
	v_mov_b32_e32 v19, s9
	s_waitcnt vmcnt(1)
	v_mul_f64 v[21:22], v[13:14], v[5:6]
	s_waitcnt vmcnt(0)
	v_cmp_ne_u32_e32 vcc, 1, v1
	v_add_u32_e32 v1, s28, v17
	v_lshlrev_b64 v[15:16], 3, v[1:2]
	v_add_u32_e32 v1, s29, v17
	s_and_b64 s[4:5], s[4:5], vcc
	v_add_co_u32_e32 v15, vcc, s8, v15
	v_lshlrev_b64 v[17:18], 3, v[1:2]
	v_addc_co_u32_e32 v16, vcc, v19, v16, vcc
	v_add_co_u32_e32 v17, vcc, s8, v17
	v_addc_co_u32_e32 v18, vcc, v19, v18, vcc
	global_load_dwordx2 v[23:24], v[15:16], off
	global_load_dwordx2 v[19:20], v[17:18], off
	s_and_saveexec_b64 s[20:21], s[4:5]
	s_xor_b64 s[4:5], exec, s[20:21]
	s_cbranch_execz .LBB122_17
; %bb.14:                               ;   in Loop: Header=BB122_5 Depth=1
	v_fma_f64 v[21:22], v[3:4], v[7:8], -v[21:22]
	v_div_scale_f64 v[25:26], s[20:21], v[21:22], v[21:22], 1.0
	v_rcp_f64_e32 v[27:28], v[25:26]
	v_fma_f64 v[33:34], -v[25:26], v[27:28], 1.0
	v_fma_f64 v[27:28], v[27:28], v[33:34], v[27:28]
	v_fma_f64 v[33:34], -v[25:26], v[27:28], 1.0
	v_fma_f64 v[27:28], v[27:28], v[33:34], v[27:28]
	v_div_scale_f64 v[33:34], vcc, 1.0, v[21:22], 1.0
	v_mul_f64 v[35:36], v[33:34], v[27:28]
	v_fma_f64 v[25:26], -v[25:26], v[35:36], v[33:34]
	s_nop 1
	v_div_fmas_f64 v[25:26], v[25:26], v[27:28], v[35:36]
	v_add_u32_e32 v35, v29, v30
	v_add_u32_e32 v1, s28, v35
	v_lshlrev_b64 v[27:28], 3, v[1:2]
	v_mov_b32_e32 v36, s9
	v_add_co_u32_e32 v33, vcc, s8, v27
	v_addc_co_u32_e32 v34, vcc, v36, v28, vcc
	v_add_u32_e32 v1, s29, v35
	v_lshlrev_b64 v[27:28], 3, v[1:2]
	v_add_co_u32_e32 v35, vcc, s8, v27
	v_addc_co_u32_e32 v36, vcc, v36, v28, vcc
	v_div_fixup_f64 v[21:22], v[25:26], v[21:22], 1.0
	global_load_dwordx2 v[25:26], v[33:34], off
	global_load_dwordx2 v[37:38], v[35:36], off
	s_waitcnt vmcnt(3)
	v_mul_f64 v[23:24], v[21:22], v[23:24]
	s_waitcnt vmcnt(1)
	v_mul_f64 v[25:26], v[21:22], v[25:26]
	v_mul_f64 v[27:28], v[13:14], v[25:26]
	v_fma_f64 v[27:28], v[7:8], v[23:24], -v[27:28]
	global_store_dwordx2 v[15:16], v[27:28], off
	s_waitcnt vmcnt(1)
	v_mul_f64 v[27:28], v[21:22], v[37:38]
	v_mul_f64 v[15:16], v[21:22], v[19:20]
	;; [unrolled: 1-line block ×3, first 2 shown]
	v_fma_f64 v[7:8], v[7:8], v[15:16], -v[13:14]
	global_store_dwordx2 v[17:18], v[7:8], off
	v_mul_f64 v[7:8], v[5:6], v[23:24]
	v_fma_f64 v[7:8], v[3:4], v[25:26], -v[7:8]
	global_store_dwordx2 v[33:34], v[7:8], off
	v_mul_f64 v[7:8], v[5:6], v[15:16]
	v_fma_f64 v[13:14], v[3:4], v[27:28], -v[7:8]
	v_mov_b32_e32 v7, 0
	v_mov_b32_e32 v8, 0
	global_store_dwordx2 v[35:36], v[13:14], off
	s_and_saveexec_b64 s[20:21], s[2:3]
	s_cbranch_execz .LBB122_16
; %bb.15:                               ;   in Loop: Header=BB122_5 Depth=1
	v_add_u32_e32 v7, v31, v30
	v_add_u32_e32 v1, s28, v7
	v_lshlrev_b64 v[13:14], 3, v[1:2]
	v_add_u32_e32 v1, s29, v7
	v_mov_b32_e32 v8, s9
	v_add_co_u32_e32 v13, vcc, s8, v13
	v_lshlrev_b64 v[17:18], 3, v[1:2]
	v_addc_co_u32_e32 v14, vcc, v8, v14, vcc
	v_add_co_u32_e32 v17, vcc, s8, v17
	v_addc_co_u32_e32 v18, vcc, v8, v18, vcc
	v_ashrrev_i32_e32 v8, 31, v7
	v_lshlrev_b64 v[7:8], 3, v[7:8]
	v_mov_b32_e32 v1, s15
	v_add_co_u32_e32 v7, vcc, s14, v7
	v_addc_co_u32_e32 v8, vcc, v1, v8, vcc
	global_load_dwordx2 v[19:20], v[13:14], off
	global_load_dwordx2 v[33:34], v[17:18], off
	v_mul_f64 v[3:4], v[3:4], v[11:12]
	global_load_dwordx2 v[7:8], v[7:8], off
	v_mul_f64 v[5:6], v[5:6], v[11:12]
	v_mul_f64 v[11:12], v[3:4], v[25:26]
	;; [unrolled: 1-line block ×4, first 2 shown]
	v_fma_f64 v[11:12], v[5:6], v[23:24], -v[11:12]
	v_fma_f64 v[5:6], v[5:6], v[15:16], -v[25:26]
	s_waitcnt vmcnt(2)
	v_add_f64 v[9:10], v[11:12], v[19:20]
	s_waitcnt vmcnt(1)
	v_add_f64 v[5:6], v[5:6], v[33:34]
	global_store_dwordx2 v[13:14], v[9:10], off
	global_store_dwordx2 v[17:18], v[5:6], off
	s_waitcnt vmcnt(2)
	v_fma_f64 v[7:8], -v[21:22], v[3:4], v[7:8]
.LBB122_16:                             ;   in Loop: Header=BB122_5 Depth=1
	s_or_b64 exec, exec, s[20:21]
	v_mov_b32_e32 v3, v7
	v_mov_b32_e32 v4, v8
                                        ; implicit-def: $vgpr21_vgpr22
                                        ; implicit-def: $vgpr7_vgpr8
                                        ; implicit-def: $vgpr23_vgpr24
                                        ; implicit-def: $vgpr19_vgpr20
                                        ; implicit-def: $vgpr15_vgpr16
                                        ; implicit-def: $vgpr17_vgpr18
                                        ; implicit-def: $vgpr5_vgpr6
.LBB122_17:                             ;   in Loop: Header=BB122_5 Depth=1
	s_or_saveexec_b64 s[2:3], s[4:5]
	v_mov_b32_e32 v1, s27
	s_xor_b64 exec, exec, s[2:3]
	s_cbranch_execz .LBB122_4
; %bb.18:                               ;   in Loop: Header=BB122_5 Depth=1
	v_div_scale_f64 v[9:10], s[4:5], v[3:4], v[3:4], 1.0
	v_rcp_f64_e32 v[11:12], v[9:10]
	v_fma_f64 v[13:14], -v[9:10], v[11:12], 1.0
	v_fma_f64 v[11:12], v[11:12], v[13:14], v[11:12]
	v_div_scale_f64 v[13:14], vcc, 1.0, v[3:4], 1.0
	v_fma_f64 v[25:26], -v[9:10], v[11:12], 1.0
	v_fma_f64 v[11:12], v[11:12], v[25:26], v[11:12]
	v_mul_f64 v[25:26], v[13:14], v[11:12]
	v_fma_f64 v[9:10], -v[9:10], v[25:26], v[13:14]
	v_div_fmas_f64 v[9:10], v[9:10], v[11:12], v[25:26]
	v_div_fixup_f64 v[3:4], v[9:10], v[3:4], 1.0
	s_waitcnt vmcnt(1)
	v_mul_f64 v[9:10], v[3:4], v[23:24]
	s_waitcnt vmcnt(0)
	v_mul_f64 v[11:12], v[3:4], v[19:20]
	global_store_dwordx2 v[15:16], v[9:10], off
	global_store_dwordx2 v[17:18], v[11:12], off
	s_and_saveexec_b64 s[4:5], s[0:1]
	s_cbranch_execz .LBB122_3
; %bb.19:                               ;   in Loop: Header=BB122_5 Depth=1
	v_add_u32_e32 v15, v29, v30
	v_add_u32_e32 v1, s28, v15
	v_lshlrev_b64 v[13:14], 3, v[1:2]
	v_add_u32_e32 v1, s29, v15
	v_mov_b32_e32 v17, s9
	v_add_co_u32_e32 v13, vcc, s8, v13
	v_lshlrev_b64 v[15:16], 3, v[1:2]
	v_addc_co_u32_e32 v14, vcc, v17, v14, vcc
	v_add_co_u32_e32 v15, vcc, s8, v15
	v_addc_co_u32_e32 v16, vcc, v17, v16, vcc
	global_load_dwordx2 v[17:18], v[13:14], off
	global_load_dwordx2 v[19:20], v[15:16], off
	s_waitcnt vmcnt(1)
	v_fma_f64 v[9:10], -v[5:6], v[9:10], v[17:18]
	s_waitcnt vmcnt(0)
	v_fma_f64 v[5:6], -v[5:6], v[11:12], v[19:20]
	global_store_dwordx2 v[13:14], v[9:10], off
	global_store_dwordx2 v[15:16], v[5:6], off
	s_branch .LBB122_3
.LBB122_20:
	s_or_b64 exec, exec, s[18:19]
	s_branch .LBB122_22
.LBB122_21:
	v_mov_b32_e32 v30, 0
.LBB122_22:
	v_subrev_u32_e32 v3, s22, v30
	v_add_u32_e32 v1, v3, v0
	v_ashrrev_i32_e32 v2, 31, v1
	v_lshlrev_b64 v[1:2], 2, v[1:2]
	s_waitcnt lgkmcnt(0)
	v_mov_b32_e32 v4, s17
	v_add_co_u32_e32 v1, vcc, s16, v1
	v_addc_co_u32_e32 v2, vcc, v4, v2, vcc
	s_waitcnt vmcnt(0)
	buffer_wbinvl1_vol
	global_load_dword v1, v[1:2], off
	s_waitcnt vmcnt(0)
	v_mul_lo_u32 v1, v1, s22
	v_sub_u32_e32 v7, v3, v1
	v_cmp_lt_i32_e32 vcc, -1, v7
	s_and_b64 exec, exec, vcc
	s_cbranch_execz .LBB122_29
; %bb.23:
	s_lshl_b32 s4, s24, 1
	s_add_i32 s5, s4, s23
	s_lshl_b32 s6, s22, 1
	s_mov_b64 s[0:1], 0
	v_mov_b32_e32 v8, s17
	v_mov_b32_e32 v9, s11
	v_mov_b32_e32 v2, 0
	s_branch .LBB122_25
.LBB122_24:                             ;   in Loop: Header=BB122_25 Depth=1
	s_or_b64 exec, exec, s[2:3]
	v_sub_u32_e32 v7, v7, v1
	v_cmp_gt_i32_e32 vcc, 0, v7
	s_or_b64 s[0:1], vcc, s[0:1]
	s_andn2_b64 exec, exec, s[0:1]
	s_cbranch_execz .LBB122_29
.LBB122_25:                             ; =>This Inner Loop Header: Depth=1
	v_add_u32_e32 v5, v7, v0
	v_ashrrev_i32_e32 v6, 31, v5
	s_waitcnt vmcnt(0)
	v_lshlrev_b64 v[3:4], 2, v[5:6]
	v_add_co_u32_e32 v3, vcc, s16, v3
	v_addc_co_u32_e32 v4, vcc, v8, v4, vcc
	global_load_dword v1, v[3:4], off
	v_lshlrev_b64 v[3:4], 3, v[5:6]
	v_add_co_u32_e32 v3, vcc, s10, v3
	v_addc_co_u32_e32 v4, vcc, v9, v4, vcc
	global_load_dwordx2 v[3:4], v[3:4], off
	s_waitcnt vmcnt(1)
	v_cmp_ne_u32_e32 vcc, 1, v1
	s_and_saveexec_b64 s[2:3], vcc
	s_xor_b64 s[2:3], exec, s[2:3]
	s_cbranch_execz .LBB122_27
; %bb.26:                               ;   in Loop: Header=BB122_25 Depth=1
	v_add_u32_e32 v6, v29, v7
	v_add_u32_e32 v1, s4, v6
	v_lshlrev_b64 v[10:11], 3, v[1:2]
	v_mov_b32_e32 v1, s9
	v_add_co_u32_e32 v10, vcc, s8, v10
	v_addc_co_u32_e32 v11, vcc, v1, v11, vcc
	v_add_u32_e32 v1, s5, v6
	v_lshlrev_b64 v[12:13], 3, v[1:2]
	v_add_u32_e32 v1, s4, v5
	v_lshlrev_b64 v[14:15], 3, v[1:2]
	v_mov_b32_e32 v1, s9
	v_add_co_u32_e32 v14, vcc, s8, v14
	v_addc_co_u32_e32 v15, vcc, v1, v15, vcc
	global_load_dwordx2 v[16:17], v[10:11], off
	global_load_dwordx2 v[18:19], v[14:15], off
	v_add_co_u32_e32 v10, vcc, s8, v12
	v_addc_co_u32_e32 v11, vcc, v1, v13, vcc
	v_add_u32_e32 v1, s5, v5
	v_lshlrev_b64 v[5:6], 3, v[1:2]
	global_load_dwordx2 v[10:11], v[10:11], off
	v_add_co_u32_e32 v5, vcc, s8, v5
	v_subrev_u32_e32 v1, s22, v7
	v_mov_b32_e32 v20, s9
	s_waitcnt vmcnt(1)
	v_fma_f64 v[12:13], -v[3:4], v[16:17], v[18:19]
	v_mov_b32_e32 v18, s9
	v_addc_co_u32_e32 v6, vcc, v18, v6, vcc
	global_store_dwordx2 v[14:15], v[12:13], off
	global_load_dwordx2 v[12:13], v[5:6], off
	v_add_u32_e32 v14, v1, v0
	v_ashrrev_i32_e32 v15, 31, v14
	v_lshlrev_b64 v[18:19], 3, v[14:15]
	v_add_u32_e32 v1, s4, v14
	v_add_co_u32_e32 v18, vcc, s10, v18
	v_addc_co_u32_e32 v19, vcc, v9, v19, vcc
	v_mov_b32_e32 v15, s9
	s_waitcnt vmcnt(0)
	v_fma_f64 v[3:4], -v[3:4], v[10:11], v[12:13]
	global_load_dwordx2 v[12:13], v[18:19], off
	v_lshlrev_b64 v[18:19], 3, v[1:2]
	v_add_u32_e32 v1, s5, v14
	v_add_co_u32_e32 v18, vcc, s8, v18
	v_addc_co_u32_e32 v19, vcc, v20, v19, vcc
	global_store_dwordx2 v[5:6], v[3:4], off
	global_load_dwordx2 v[3:4], v[18:19], off
	v_lshlrev_b64 v[5:6], 3, v[1:2]
	s_waitcnt vmcnt(0)
	v_fma_f64 v[3:4], -v[12:13], v[16:17], v[3:4]
	global_store_dwordx2 v[18:19], v[3:4], off
	v_add_co_u32_e32 v3, vcc, s8, v5
	v_addc_co_u32_e32 v4, vcc, v15, v6, vcc
	global_load_dwordx2 v[5:6], v[3:4], off
	s_waitcnt vmcnt(0)
	v_fma_f64 v[5:6], -v[12:13], v[10:11], v[5:6]
	global_store_dwordx2 v[3:4], v[5:6], off
                                        ; implicit-def: $vgpr5
                                        ; implicit-def: $vgpr3_vgpr4
.LBB122_27:                             ;   in Loop: Header=BB122_25 Depth=1
	s_or_saveexec_b64 s[2:3], s[2:3]
	v_mov_b32_e32 v1, s6
	s_xor_b64 exec, exec, s[2:3]
	s_cbranch_execz .LBB122_24
; %bb.28:                               ;   in Loop: Header=BB122_25 Depth=1
	v_add_u32_e32 v6, v29, v7
	v_add_u32_e32 v1, s4, v6
	v_lshlrev_b64 v[10:11], 3, v[1:2]
	v_mov_b32_e32 v1, s9
	v_add_co_u32_e32 v10, vcc, s8, v10
	v_addc_co_u32_e32 v11, vcc, v1, v11, vcc
	v_add_u32_e32 v1, s4, v5
	v_lshlrev_b64 v[12:13], 3, v[1:2]
	v_mov_b32_e32 v1, s9
	v_add_co_u32_e32 v12, vcc, s8, v12
	v_addc_co_u32_e32 v13, vcc, v1, v13, vcc
	global_load_dwordx2 v[14:15], v[10:11], off
	global_load_dwordx2 v[16:17], v[12:13], off
	v_add_u32_e32 v1, s5, v6
	v_lshlrev_b64 v[10:11], 3, v[1:2]
	v_add_u32_e32 v1, s5, v5
	v_mov_b32_e32 v18, s9
	v_lshlrev_b64 v[5:6], 3, v[1:2]
	v_add_co_u32_e32 v10, vcc, s8, v10
	v_addc_co_u32_e32 v11, vcc, v18, v11, vcc
	v_mov_b32_e32 v19, s9
	v_add_co_u32_e32 v5, vcc, s8, v5
	v_addc_co_u32_e32 v6, vcc, v19, v6, vcc
	v_mov_b32_e32 v1, s22
	s_waitcnt vmcnt(0)
	v_fma_f64 v[14:15], -v[3:4], v[14:15], v[16:17]
	global_store_dwordx2 v[12:13], v[14:15], off
	global_load_dwordx2 v[12:13], v[10:11], off
	s_nop 0
	global_load_dwordx2 v[14:15], v[5:6], off
	s_waitcnt vmcnt(0)
	v_fma_f64 v[3:4], -v[3:4], v[12:13], v[14:15]
	global_store_dwordx2 v[5:6], v[3:4], off
	s_branch .LBB122_24
.LBB122_29:
	s_endpgm
	.section	.rodata,"a",@progbits
	.p2align	6, 0x0
	.amdhsa_kernel _ZN9rocsparseL19gtsv_LBM_rhs_kernelILj256ELj8ELj2EdEEviiiPKT2_S3_S3_PS1_S3_PKi
		.amdhsa_group_segment_fixed_size 0
		.amdhsa_private_segment_fixed_size 0
		.amdhsa_kernarg_size 64
		.amdhsa_user_sgpr_count 6
		.amdhsa_user_sgpr_private_segment_buffer 1
		.amdhsa_user_sgpr_dispatch_ptr 0
		.amdhsa_user_sgpr_queue_ptr 0
		.amdhsa_user_sgpr_kernarg_segment_ptr 1
		.amdhsa_user_sgpr_dispatch_id 0
		.amdhsa_user_sgpr_flat_scratch_init 0
		.amdhsa_user_sgpr_private_segment_size 0
		.amdhsa_uses_dynamic_stack 0
		.amdhsa_system_sgpr_private_segment_wavefront_offset 0
		.amdhsa_system_sgpr_workgroup_id_x 1
		.amdhsa_system_sgpr_workgroup_id_y 1
		.amdhsa_system_sgpr_workgroup_id_z 0
		.amdhsa_system_sgpr_workgroup_info 0
		.amdhsa_system_vgpr_workitem_id 0
		.amdhsa_next_free_vgpr 39
		.amdhsa_next_free_sgpr 30
		.amdhsa_reserve_vcc 1
		.amdhsa_reserve_flat_scratch 0
		.amdhsa_float_round_mode_32 0
		.amdhsa_float_round_mode_16_64 0
		.amdhsa_float_denorm_mode_32 3
		.amdhsa_float_denorm_mode_16_64 3
		.amdhsa_dx10_clamp 1
		.amdhsa_ieee_mode 1
		.amdhsa_fp16_overflow 0
		.amdhsa_exception_fp_ieee_invalid_op 0
		.amdhsa_exception_fp_denorm_src 0
		.amdhsa_exception_fp_ieee_div_zero 0
		.amdhsa_exception_fp_ieee_overflow 0
		.amdhsa_exception_fp_ieee_underflow 0
		.amdhsa_exception_fp_ieee_inexact 0
		.amdhsa_exception_int_div_zero 0
	.end_amdhsa_kernel
	.section	.text._ZN9rocsparseL19gtsv_LBM_rhs_kernelILj256ELj8ELj2EdEEviiiPKT2_S3_S3_PS1_S3_PKi,"axG",@progbits,_ZN9rocsparseL19gtsv_LBM_rhs_kernelILj256ELj8ELj2EdEEviiiPKT2_S3_S3_PS1_S3_PKi,comdat
.Lfunc_end122:
	.size	_ZN9rocsparseL19gtsv_LBM_rhs_kernelILj256ELj8ELj2EdEEviiiPKT2_S3_S3_PS1_S3_PKi, .Lfunc_end122-_ZN9rocsparseL19gtsv_LBM_rhs_kernelILj256ELj8ELj2EdEEviiiPKT2_S3_S3_PS1_S3_PKi
                                        ; -- End function
	.set _ZN9rocsparseL19gtsv_LBM_rhs_kernelILj256ELj8ELj2EdEEviiiPKT2_S3_S3_PS1_S3_PKi.num_vgpr, 39
	.set _ZN9rocsparseL19gtsv_LBM_rhs_kernelILj256ELj8ELj2EdEEviiiPKT2_S3_S3_PS1_S3_PKi.num_agpr, 0
	.set _ZN9rocsparseL19gtsv_LBM_rhs_kernelILj256ELj8ELj2EdEEviiiPKT2_S3_S3_PS1_S3_PKi.numbered_sgpr, 30
	.set _ZN9rocsparseL19gtsv_LBM_rhs_kernelILj256ELj8ELj2EdEEviiiPKT2_S3_S3_PS1_S3_PKi.num_named_barrier, 0
	.set _ZN9rocsparseL19gtsv_LBM_rhs_kernelILj256ELj8ELj2EdEEviiiPKT2_S3_S3_PS1_S3_PKi.private_seg_size, 0
	.set _ZN9rocsparseL19gtsv_LBM_rhs_kernelILj256ELj8ELj2EdEEviiiPKT2_S3_S3_PS1_S3_PKi.uses_vcc, 1
	.set _ZN9rocsparseL19gtsv_LBM_rhs_kernelILj256ELj8ELj2EdEEviiiPKT2_S3_S3_PS1_S3_PKi.uses_flat_scratch, 0
	.set _ZN9rocsparseL19gtsv_LBM_rhs_kernelILj256ELj8ELj2EdEEviiiPKT2_S3_S3_PS1_S3_PKi.has_dyn_sized_stack, 0
	.set _ZN9rocsparseL19gtsv_LBM_rhs_kernelILj256ELj8ELj2EdEEviiiPKT2_S3_S3_PS1_S3_PKi.has_recursion, 0
	.set _ZN9rocsparseL19gtsv_LBM_rhs_kernelILj256ELj8ELj2EdEEviiiPKT2_S3_S3_PS1_S3_PKi.has_indirect_call, 0
	.section	.AMDGPU.csdata,"",@progbits
; Kernel info:
; codeLenInByte = 2144
; TotalNumSgprs: 34
; NumVgprs: 39
; ScratchSize: 0
; MemoryBound: 0
; FloatMode: 240
; IeeeMode: 1
; LDSByteSize: 0 bytes/workgroup (compile time only)
; SGPRBlocks: 4
; VGPRBlocks: 9
; NumSGPRsForWavesPerEU: 34
; NumVGPRsForWavesPerEU: 39
; Occupancy: 6
; WaveLimiterHint : 0
; COMPUTE_PGM_RSRC2:SCRATCH_EN: 0
; COMPUTE_PGM_RSRC2:USER_SGPR: 6
; COMPUTE_PGM_RSRC2:TRAP_HANDLER: 0
; COMPUTE_PGM_RSRC2:TGID_X_EN: 1
; COMPUTE_PGM_RSRC2:TGID_Y_EN: 1
; COMPUTE_PGM_RSRC2:TGID_Z_EN: 0
; COMPUTE_PGM_RSRC2:TIDIG_COMP_CNT: 0
	.section	.text._ZN9rocsparseL19gtsv_LBM_rhs_kernelILj256ELj8ELj1EdEEviiiPKT2_S3_S3_PS1_S3_PKi,"axG",@progbits,_ZN9rocsparseL19gtsv_LBM_rhs_kernelILj256ELj8ELj1EdEEviiiPKT2_S3_S3_PS1_S3_PKi,comdat
	.globl	_ZN9rocsparseL19gtsv_LBM_rhs_kernelILj256ELj8ELj1EdEEviiiPKT2_S3_S3_PS1_S3_PKi ; -- Begin function _ZN9rocsparseL19gtsv_LBM_rhs_kernelILj256ELj8ELj1EdEEviiiPKT2_S3_S3_PS1_S3_PKi
	.p2align	8
	.type	_ZN9rocsparseL19gtsv_LBM_rhs_kernelILj256ELj8ELj1EdEEviiiPKT2_S3_S3_PS1_S3_PKi,@function
_ZN9rocsparseL19gtsv_LBM_rhs_kernelILj256ELj8ELj1EdEEviiiPKT2_S3_S3_PS1_S3_PKi: ; @_ZN9rocsparseL19gtsv_LBM_rhs_kernelILj256ELj8ELj1EdEEviiiPKT2_S3_S3_PS1_S3_PKi
; %bb.0:
	s_load_dword s24, s[4:5], 0x0
	v_lshl_or_b32 v0, s6, 8, v0
	s_waitcnt lgkmcnt(0)
	s_lshr_b32 s22, s24, 3
	v_cmp_gt_i32_e32 vcc, s22, v0
	s_and_saveexec_b64 s[0:1], vcc
	s_cbranch_execz .LBB123_29
; %bb.1:
	s_load_dwordx4 s[8:11], s[4:5], 0x28
	s_load_dwordx2 s[16:17], s[4:5], 0x38
	s_cmp_lt_i32 s24, 1
	s_mul_i32 s23, s24, s7
	s_cbranch_scc1 .LBB123_21
; %bb.2:
	s_load_dwordx4 s[12:15], s[4:5], 0x10
	s_load_dwordx2 s[6:7], s[4:5], 0x20
	v_ashrrev_i32_e32 v1, 31, v0
	v_lshlrev_b64 v[1:2], 3, v[0:1]
	v_add_u32_e32 v24, s22, v0
	s_waitcnt lgkmcnt(0)
	v_mov_b32_e32 v3, s15
	v_add_co_u32_e32 v1, vcc, s14, v1
	v_addc_co_u32_e32 v2, vcc, v3, v2, vcc
	global_load_dwordx2 v[3:4], v[1:2], off
	s_mul_i32 s25, s22, 7
	s_mul_i32 s26, s22, 6
	s_lshl_b32 s27, s22, 1
	v_add_u32_e32 v25, s22, v24
	v_add_u32_e32 v26, s23, v24
	v_mov_b32_e32 v2, 0
	s_mov_b64 s[18:19], 0
	v_mov_b32_e32 v27, s7
	v_mov_b32_e32 v23, 0
	s_branch .LBB123_5
.LBB123_3:                              ;   in Loop: Header=BB123_5 Depth=1
	s_or_b64 exec, exec, s[4:5]
	v_fma_f64 v[3:4], -v[3:4], v[19:20], v[7:8]
	v_mov_b32_e32 v1, s22
.LBB123_4:                              ;   in Loop: Header=BB123_5 Depth=1
	s_or_b64 exec, exec, s[2:3]
	v_add_u32_e32 v23, v1, v23
	v_cmp_le_i32_e32 vcc, s24, v23
	s_or_b64 s[18:19], vcc, s[18:19]
	s_andn2_b64 exec, exec, s[18:19]
	s_cbranch_execz .LBB123_20
.LBB123_5:                              ; =>This Inner Loop Header: Depth=1
	v_add_u32_e32 v15, v23, v0
	v_ashrrev_i32_e32 v16, 31, v15
	v_lshlrev_b64 v[5:6], 3, v[15:16]
	v_mov_b32_e32 v7, 0
	v_add_co_u32_e32 v5, vcc, s6, v5
	v_addc_co_u32_e32 v6, vcc, v27, v6, vcc
	global_load_dwordx2 v[9:10], v[5:6], off
	v_mov_b32_e32 v5, 0
	v_cmp_gt_u32_e64 s[0:1], s25, v23
	v_mov_b32_e32 v8, 0
	v_mov_b32_e32 v6, 0
	s_waitcnt vmcnt(1)
	v_add_u32_e32 v17, v24, v23
	s_and_saveexec_b64 s[2:3], s[0:1]
	s_cbranch_execz .LBB123_7
; %bb.6:                                ;   in Loop: Header=BB123_5 Depth=1
	v_ashrrev_i32_e32 v18, 31, v17
	v_lshlrev_b64 v[5:6], 3, v[17:18]
	v_mov_b32_e32 v1, s13
	v_add_co_u32_e32 v5, vcc, s12, v5
	v_addc_co_u32_e32 v6, vcc, v1, v6, vcc
	global_load_dwordx2 v[5:6], v[5:6], off
.LBB123_7:                              ;   in Loop: Header=BB123_5 Depth=1
	s_or_b64 exec, exec, s[2:3]
	s_and_saveexec_b64 s[2:3], s[0:1]
	s_cbranch_execz .LBB123_9
; %bb.8:                                ;   in Loop: Header=BB123_5 Depth=1
	v_ashrrev_i32_e32 v18, 31, v17
	v_lshlrev_b64 v[7:8], 3, v[17:18]
	v_mov_b32_e32 v1, s15
	v_add_co_u32_e32 v7, vcc, s14, v7
	v_addc_co_u32_e32 v8, vcc, v1, v8, vcc
	global_load_dwordx2 v[7:8], v[7:8], off
.LBB123_9:                              ;   in Loop: Header=BB123_5 Depth=1
	s_or_b64 exec, exec, s[2:3]
	v_mov_b32_e32 v13, 0
	v_mov_b32_e32 v11, 0
	;; [unrolled: 1-line block ×4, first 2 shown]
	s_and_saveexec_b64 s[2:3], s[0:1]
	s_cbranch_execz .LBB123_11
; %bb.10:                               ;   in Loop: Header=BB123_5 Depth=1
	v_ashrrev_i32_e32 v18, 31, v17
	v_lshlrev_b64 v[11:12], 3, v[17:18]
	v_mov_b32_e32 v1, s7
	v_add_co_u32_e32 v11, vcc, s6, v11
	v_addc_co_u32_e32 v12, vcc, v1, v12, vcc
	global_load_dwordx2 v[11:12], v[11:12], off
.LBB123_11:                             ;   in Loop: Header=BB123_5 Depth=1
	s_or_b64 exec, exec, s[2:3]
	v_cmp_gt_u32_e64 s[2:3], s26, v23
	s_and_saveexec_b64 s[4:5], s[2:3]
	s_cbranch_execz .LBB123_13
; %bb.12:                               ;   in Loop: Header=BB123_5 Depth=1
	v_add_u32_e32 v13, v25, v23
	v_ashrrev_i32_e32 v14, 31, v13
	v_lshlrev_b64 v[13:14], 3, v[13:14]
	v_mov_b32_e32 v1, s13
	v_add_co_u32_e32 v13, vcc, s12, v13
	v_addc_co_u32_e32 v14, vcc, v1, v14, vcc
	global_load_dwordx2 v[13:14], v[13:14], off
.LBB123_13:                             ;   in Loop: Header=BB123_5 Depth=1
	s_or_b64 exec, exec, s[4:5]
	v_lshlrev_b64 v[16:17], 2, v[15:16]
	v_mov_b32_e32 v1, s17
	v_add_co_u32_e32 v16, vcc, s16, v16
	v_addc_co_u32_e32 v17, vcc, v1, v17, vcc
	v_add_u32_e32 v1, s23, v15
	global_load_dword v21, v[16:17], off
	v_lshlrev_b64 v[15:16], 3, v[1:2]
	v_mov_b32_e32 v1, s9
	v_add_co_u32_e32 v15, vcc, s8, v15
	v_addc_co_u32_e32 v16, vcc, v1, v16, vcc
	global_load_dwordx2 v[17:18], v[15:16], off
	s_waitcnt vmcnt(2)
	v_mul_f64 v[19:20], v[9:10], v[5:6]
	v_cmp_ne_u32_e64 s[4:5], s25, v23
	s_waitcnt vmcnt(1)
	v_cmp_ne_u32_e32 vcc, 1, v21
	s_and_b64 s[4:5], s[4:5], vcc
	s_and_saveexec_b64 s[20:21], s[4:5]
	s_xor_b64 s[4:5], exec, s[20:21]
	s_cbranch_execz .LBB123_17
; %bb.14:                               ;   in Loop: Header=BB123_5 Depth=1
	v_fma_f64 v[19:20], v[3:4], v[7:8], -v[19:20]
	v_add_u32_e32 v1, v26, v23
	v_div_scale_f64 v[21:22], s[20:21], v[19:20], v[19:20], 1.0
	v_rcp_f64_e32 v[28:29], v[21:22]
	v_fma_f64 v[30:31], -v[21:22], v[28:29], 1.0
	v_fma_f64 v[28:29], v[28:29], v[30:31], v[28:29]
	v_fma_f64 v[30:31], -v[21:22], v[28:29], 1.0
	v_fma_f64 v[28:29], v[28:29], v[30:31], v[28:29]
	v_div_scale_f64 v[30:31], vcc, 1.0, v[19:20], 1.0
	v_mul_f64 v[32:33], v[30:31], v[28:29]
	v_fma_f64 v[21:22], -v[21:22], v[32:33], v[30:31]
	v_mov_b32_e32 v30, s9
	s_nop 0
	v_div_fmas_f64 v[21:22], v[21:22], v[28:29], v[32:33]
	v_lshlrev_b64 v[28:29], 3, v[1:2]
	v_add_co_u32_e32 v28, vcc, s8, v28
	v_addc_co_u32_e32 v29, vcc, v30, v29, vcc
	v_div_fixup_f64 v[19:20], v[21:22], v[19:20], 1.0
	global_load_dwordx2 v[21:22], v[28:29], off
	s_waitcnt vmcnt(1)
	v_mul_f64 v[17:18], v[19:20], v[17:18]
	s_waitcnt vmcnt(0)
	v_mul_f64 v[21:22], v[19:20], v[21:22]
	v_mul_f64 v[9:10], v[9:10], v[21:22]
	v_fma_f64 v[7:8], v[7:8], v[17:18], -v[9:10]
	global_store_dwordx2 v[15:16], v[7:8], off
	v_mul_f64 v[7:8], v[5:6], v[17:18]
	v_fma_f64 v[9:10], v[3:4], v[21:22], -v[7:8]
	v_mov_b32_e32 v7, 0
	v_mov_b32_e32 v8, 0
	global_store_dwordx2 v[28:29], v[9:10], off
	s_and_saveexec_b64 s[20:21], s[2:3]
	s_cbranch_execz .LBB123_16
; %bb.15:                               ;   in Loop: Header=BB123_5 Depth=1
	v_add_u32_e32 v7, v25, v23
	v_add_u32_e32 v1, s23, v7
	v_lshlrev_b64 v[8:9], 3, v[1:2]
	v_mov_b32_e32 v1, s9
	v_add_co_u32_e32 v15, vcc, s8, v8
	v_ashrrev_i32_e32 v8, 31, v7
	v_lshlrev_b64 v[7:8], 3, v[7:8]
	v_addc_co_u32_e32 v16, vcc, v1, v9, vcc
	v_mov_b32_e32 v1, s15
	v_add_co_u32_e32 v7, vcc, s14, v7
	v_addc_co_u32_e32 v8, vcc, v1, v8, vcc
	global_load_dwordx2 v[9:10], v[15:16], off
	v_mul_f64 v[3:4], v[3:4], v[13:14]
	global_load_dwordx2 v[7:8], v[7:8], off
	v_mul_f64 v[5:6], v[5:6], v[13:14]
	v_mul_f64 v[13:14], v[3:4], v[21:22]
	;; [unrolled: 1-line block ×3, first 2 shown]
	v_fma_f64 v[5:6], v[5:6], v[17:18], -v[13:14]
	s_waitcnt vmcnt(1)
	v_add_f64 v[5:6], v[5:6], v[9:10]
	s_waitcnt vmcnt(0)
	v_fma_f64 v[7:8], -v[19:20], v[3:4], v[7:8]
	global_store_dwordx2 v[15:16], v[5:6], off
.LBB123_16:                             ;   in Loop: Header=BB123_5 Depth=1
	s_or_b64 exec, exec, s[20:21]
	v_mov_b32_e32 v3, v7
	v_mov_b32_e32 v4, v8
                                        ; implicit-def: $vgpr19_vgpr20
                                        ; implicit-def: $vgpr7_vgpr8
                                        ; implicit-def: $vgpr17_vgpr18
                                        ; implicit-def: $vgpr15_vgpr16
                                        ; implicit-def: $vgpr5_vgpr6
.LBB123_17:                             ;   in Loop: Header=BB123_5 Depth=1
	s_or_saveexec_b64 s[2:3], s[4:5]
	v_mov_b32_e32 v1, s27
	s_xor_b64 exec, exec, s[2:3]
	s_cbranch_execz .LBB123_4
; %bb.18:                               ;   in Loop: Header=BB123_5 Depth=1
	v_div_scale_f64 v[9:10], s[4:5], v[3:4], v[3:4], 1.0
	v_div_scale_f64 v[21:22], vcc, 1.0, v[3:4], 1.0
	v_rcp_f64_e32 v[11:12], v[9:10]
	v_fma_f64 v[13:14], -v[9:10], v[11:12], 1.0
	v_fma_f64 v[11:12], v[11:12], v[13:14], v[11:12]
	v_fma_f64 v[13:14], -v[9:10], v[11:12], 1.0
	v_fma_f64 v[11:12], v[11:12], v[13:14], v[11:12]
	v_mul_f64 v[13:14], v[21:22], v[11:12]
	v_fma_f64 v[9:10], -v[9:10], v[13:14], v[21:22]
	v_div_fmas_f64 v[9:10], v[9:10], v[11:12], v[13:14]
	v_div_fixup_f64 v[3:4], v[9:10], v[3:4], 1.0
	s_waitcnt vmcnt(0)
	v_mul_f64 v[9:10], v[3:4], v[17:18]
	global_store_dwordx2 v[15:16], v[9:10], off
	s_and_saveexec_b64 s[4:5], s[0:1]
	s_cbranch_execz .LBB123_3
; %bb.19:                               ;   in Loop: Header=BB123_5 Depth=1
	v_add_u32_e32 v1, v26, v23
	v_lshlrev_b64 v[11:12], 3, v[1:2]
	v_mov_b32_e32 v1, s9
	v_add_co_u32_e32 v11, vcc, s8, v11
	v_addc_co_u32_e32 v12, vcc, v1, v12, vcc
	global_load_dwordx2 v[13:14], v[11:12], off
	s_waitcnt vmcnt(0)
	v_fma_f64 v[5:6], -v[5:6], v[9:10], v[13:14]
	global_store_dwordx2 v[11:12], v[5:6], off
	s_branch .LBB123_3
.LBB123_20:
	s_or_b64 exec, exec, s[18:19]
	s_branch .LBB123_22
.LBB123_21:
	v_mov_b32_e32 v23, 0
.LBB123_22:
	v_subrev_u32_e32 v3, s22, v23
	v_add_u32_e32 v1, v3, v0
	v_ashrrev_i32_e32 v2, 31, v1
	v_lshlrev_b64 v[1:2], 2, v[1:2]
	s_waitcnt lgkmcnt(0)
	v_mov_b32_e32 v4, s17
	v_add_co_u32_e32 v1, vcc, s16, v1
	v_addc_co_u32_e32 v2, vcc, v4, v2, vcc
	s_waitcnt vmcnt(0)
	buffer_wbinvl1_vol
	global_load_dword v1, v[1:2], off
	s_waitcnt vmcnt(0)
	v_mul_lo_u32 v1, v1, s22
	v_sub_u32_e32 v7, v3, v1
	v_cmp_lt_i32_e32 vcc, -1, v7
	s_and_b64 exec, exec, vcc
	s_cbranch_execz .LBB123_29
; %bb.23:
	s_add_i32 s0, s23, s22
	v_add_u32_e32 v8, s0, v0
	s_lshl_b32 s4, s22, 1
	s_mov_b64 s[0:1], 0
	v_mov_b32_e32 v9, s17
	v_mov_b32_e32 v10, s11
	;; [unrolled: 1-line block ×3, first 2 shown]
	s_branch .LBB123_25
.LBB123_24:                             ;   in Loop: Header=BB123_25 Depth=1
	s_or_b64 exec, exec, s[2:3]
	v_sub_u32_e32 v7, v7, v1
	v_cmp_gt_i32_e32 vcc, 0, v7
	s_or_b64 s[0:1], vcc, s[0:1]
	s_andn2_b64 exec, exec, s[0:1]
	s_cbranch_execz .LBB123_29
.LBB123_25:                             ; =>This Inner Loop Header: Depth=1
	v_add_u32_e32 v5, v7, v0
	v_ashrrev_i32_e32 v6, 31, v5
	s_waitcnt vmcnt(0)
	v_lshlrev_b64 v[3:4], 2, v[5:6]
	v_add_co_u32_e32 v3, vcc, s16, v3
	v_addc_co_u32_e32 v4, vcc, v9, v4, vcc
	global_load_dword v1, v[3:4], off
	v_lshlrev_b64 v[3:4], 3, v[5:6]
	v_add_co_u32_e32 v3, vcc, s10, v3
	v_addc_co_u32_e32 v4, vcc, v10, v4, vcc
	global_load_dwordx2 v[3:4], v[3:4], off
	s_waitcnt vmcnt(1)
	v_cmp_ne_u32_e32 vcc, 1, v1
	s_and_saveexec_b64 s[2:3], vcc
	s_xor_b64 s[2:3], exec, s[2:3]
	s_cbranch_execz .LBB123_27
; %bb.26:                               ;   in Loop: Header=BB123_25 Depth=1
	v_add_u32_e32 v1, v8, v7
	v_lshlrev_b64 v[11:12], 3, v[1:2]
	v_mov_b32_e32 v1, s9
	v_add_co_u32_e32 v11, vcc, s8, v11
	v_addc_co_u32_e32 v12, vcc, v1, v12, vcc
	v_add_u32_e32 v1, s23, v5
	v_lshlrev_b64 v[5:6], 3, v[1:2]
	v_mov_b32_e32 v1, s9
	v_add_co_u32_e32 v5, vcc, s8, v5
	v_addc_co_u32_e32 v6, vcc, v1, v6, vcc
	global_load_dwordx2 v[13:14], v[11:12], off
	global_load_dwordx2 v[15:16], v[5:6], off
	v_subrev_u32_e32 v1, s22, v7
	v_add_u32_e32 v11, v1, v0
	v_ashrrev_i32_e32 v12, 31, v11
	v_add_u32_e32 v1, s23, v11
	v_lshlrev_b64 v[11:12], 3, v[11:12]
	v_mov_b32_e32 v17, s9
	v_add_co_u32_e32 v11, vcc, s10, v11
	v_addc_co_u32_e32 v12, vcc, v10, v12, vcc
	global_load_dwordx2 v[11:12], v[11:12], off
	s_waitcnt vmcnt(1)
	v_fma_f64 v[3:4], -v[3:4], v[13:14], v[15:16]
	v_lshlrev_b64 v[15:16], 3, v[1:2]
	global_store_dwordx2 v[5:6], v[3:4], off
	v_add_co_u32_e32 v3, vcc, s8, v15
	v_addc_co_u32_e32 v4, vcc, v17, v16, vcc
	global_load_dwordx2 v[5:6], v[3:4], off
	s_waitcnt vmcnt(0)
	v_fma_f64 v[5:6], -v[11:12], v[13:14], v[5:6]
	global_store_dwordx2 v[3:4], v[5:6], off
                                        ; implicit-def: $vgpr5
                                        ; implicit-def: $vgpr3_vgpr4
.LBB123_27:                             ;   in Loop: Header=BB123_25 Depth=1
	s_or_saveexec_b64 s[2:3], s[2:3]
	v_mov_b32_e32 v1, s4
	s_xor_b64 exec, exec, s[2:3]
	s_cbranch_execz .LBB123_24
; %bb.28:                               ;   in Loop: Header=BB123_25 Depth=1
	v_add_u32_e32 v1, v8, v7
	v_lshlrev_b64 v[11:12], 3, v[1:2]
	v_mov_b32_e32 v1, s9
	v_add_co_u32_e32 v11, vcc, s8, v11
	v_addc_co_u32_e32 v12, vcc, v1, v12, vcc
	v_add_u32_e32 v1, s23, v5
	v_lshlrev_b64 v[5:6], 3, v[1:2]
	v_mov_b32_e32 v1, s9
	v_add_co_u32_e32 v5, vcc, s8, v5
	v_addc_co_u32_e32 v6, vcc, v1, v6, vcc
	global_load_dwordx2 v[13:14], v[11:12], off
	global_load_dwordx2 v[15:16], v[5:6], off
	v_mov_b32_e32 v1, s22
	s_waitcnt vmcnt(0)
	v_fma_f64 v[3:4], -v[3:4], v[13:14], v[15:16]
	global_store_dwordx2 v[5:6], v[3:4], off
	s_branch .LBB123_24
.LBB123_29:
	s_endpgm
	.section	.rodata,"a",@progbits
	.p2align	6, 0x0
	.amdhsa_kernel _ZN9rocsparseL19gtsv_LBM_rhs_kernelILj256ELj8ELj1EdEEviiiPKT2_S3_S3_PS1_S3_PKi
		.amdhsa_group_segment_fixed_size 0
		.amdhsa_private_segment_fixed_size 0
		.amdhsa_kernarg_size 64
		.amdhsa_user_sgpr_count 6
		.amdhsa_user_sgpr_private_segment_buffer 1
		.amdhsa_user_sgpr_dispatch_ptr 0
		.amdhsa_user_sgpr_queue_ptr 0
		.amdhsa_user_sgpr_kernarg_segment_ptr 1
		.amdhsa_user_sgpr_dispatch_id 0
		.amdhsa_user_sgpr_flat_scratch_init 0
		.amdhsa_user_sgpr_private_segment_size 0
		.amdhsa_uses_dynamic_stack 0
		.amdhsa_system_sgpr_private_segment_wavefront_offset 0
		.amdhsa_system_sgpr_workgroup_id_x 1
		.amdhsa_system_sgpr_workgroup_id_y 1
		.amdhsa_system_sgpr_workgroup_id_z 0
		.amdhsa_system_sgpr_workgroup_info 0
		.amdhsa_system_vgpr_workitem_id 0
		.amdhsa_next_free_vgpr 34
		.amdhsa_next_free_sgpr 28
		.amdhsa_reserve_vcc 1
		.amdhsa_reserve_flat_scratch 0
		.amdhsa_float_round_mode_32 0
		.amdhsa_float_round_mode_16_64 0
		.amdhsa_float_denorm_mode_32 3
		.amdhsa_float_denorm_mode_16_64 3
		.amdhsa_dx10_clamp 1
		.amdhsa_ieee_mode 1
		.amdhsa_fp16_overflow 0
		.amdhsa_exception_fp_ieee_invalid_op 0
		.amdhsa_exception_fp_denorm_src 0
		.amdhsa_exception_fp_ieee_div_zero 0
		.amdhsa_exception_fp_ieee_overflow 0
		.amdhsa_exception_fp_ieee_underflow 0
		.amdhsa_exception_fp_ieee_inexact 0
		.amdhsa_exception_int_div_zero 0
	.end_amdhsa_kernel
	.section	.text._ZN9rocsparseL19gtsv_LBM_rhs_kernelILj256ELj8ELj1EdEEviiiPKT2_S3_S3_PS1_S3_PKi,"axG",@progbits,_ZN9rocsparseL19gtsv_LBM_rhs_kernelILj256ELj8ELj1EdEEviiiPKT2_S3_S3_PS1_S3_PKi,comdat
.Lfunc_end123:
	.size	_ZN9rocsparseL19gtsv_LBM_rhs_kernelILj256ELj8ELj1EdEEviiiPKT2_S3_S3_PS1_S3_PKi, .Lfunc_end123-_ZN9rocsparseL19gtsv_LBM_rhs_kernelILj256ELj8ELj1EdEEviiiPKT2_S3_S3_PS1_S3_PKi
                                        ; -- End function
	.set _ZN9rocsparseL19gtsv_LBM_rhs_kernelILj256ELj8ELj1EdEEviiiPKT2_S3_S3_PS1_S3_PKi.num_vgpr, 34
	.set _ZN9rocsparseL19gtsv_LBM_rhs_kernelILj256ELj8ELj1EdEEviiiPKT2_S3_S3_PS1_S3_PKi.num_agpr, 0
	.set _ZN9rocsparseL19gtsv_LBM_rhs_kernelILj256ELj8ELj1EdEEviiiPKT2_S3_S3_PS1_S3_PKi.numbered_sgpr, 28
	.set _ZN9rocsparseL19gtsv_LBM_rhs_kernelILj256ELj8ELj1EdEEviiiPKT2_S3_S3_PS1_S3_PKi.num_named_barrier, 0
	.set _ZN9rocsparseL19gtsv_LBM_rhs_kernelILj256ELj8ELj1EdEEviiiPKT2_S3_S3_PS1_S3_PKi.private_seg_size, 0
	.set _ZN9rocsparseL19gtsv_LBM_rhs_kernelILj256ELj8ELj1EdEEviiiPKT2_S3_S3_PS1_S3_PKi.uses_vcc, 1
	.set _ZN9rocsparseL19gtsv_LBM_rhs_kernelILj256ELj8ELj1EdEEviiiPKT2_S3_S3_PS1_S3_PKi.uses_flat_scratch, 0
	.set _ZN9rocsparseL19gtsv_LBM_rhs_kernelILj256ELj8ELj1EdEEviiiPKT2_S3_S3_PS1_S3_PKi.has_dyn_sized_stack, 0
	.set _ZN9rocsparseL19gtsv_LBM_rhs_kernelILj256ELj8ELj1EdEEviiiPKT2_S3_S3_PS1_S3_PKi.has_recursion, 0
	.set _ZN9rocsparseL19gtsv_LBM_rhs_kernelILj256ELj8ELj1EdEEviiiPKT2_S3_S3_PS1_S3_PKi.has_indirect_call, 0
	.section	.AMDGPU.csdata,"",@progbits
; Kernel info:
; codeLenInByte = 1640
; TotalNumSgprs: 32
; NumVgprs: 34
; ScratchSize: 0
; MemoryBound: 0
; FloatMode: 240
; IeeeMode: 1
; LDSByteSize: 0 bytes/workgroup (compile time only)
; SGPRBlocks: 3
; VGPRBlocks: 8
; NumSGPRsForWavesPerEU: 32
; NumVGPRsForWavesPerEU: 34
; Occupancy: 7
; WaveLimiterHint : 0
; COMPUTE_PGM_RSRC2:SCRATCH_EN: 0
; COMPUTE_PGM_RSRC2:USER_SGPR: 6
; COMPUTE_PGM_RSRC2:TRAP_HANDLER: 0
; COMPUTE_PGM_RSRC2:TGID_X_EN: 1
; COMPUTE_PGM_RSRC2:TGID_Y_EN: 1
; COMPUTE_PGM_RSRC2:TGID_Z_EN: 0
; COMPUTE_PGM_RSRC2:TIDIG_COMP_CNT: 0
	.section	.text._ZN9rocsparseL29gtsv_spike_block_level_kernelILj256ELj8EdEEviiiPT1_PKS1_S4_S2_S2_S2_S2_S2_,"axG",@progbits,_ZN9rocsparseL29gtsv_spike_block_level_kernelILj256ELj8EdEEviiiPT1_PKS1_S4_S2_S2_S2_S2_S2_,comdat
	.globl	_ZN9rocsparseL29gtsv_spike_block_level_kernelILj256ELj8EdEEviiiPT1_PKS1_S4_S2_S2_S2_S2_S2_ ; -- Begin function _ZN9rocsparseL29gtsv_spike_block_level_kernelILj256ELj8EdEEviiiPT1_PKS1_S4_S2_S2_S2_S2_S2_
	.p2align	8
	.type	_ZN9rocsparseL29gtsv_spike_block_level_kernelILj256ELj8EdEEviiiPT1_PKS1_S4_S2_S2_S2_S2_S2_,@function
_ZN9rocsparseL29gtsv_spike_block_level_kernelILj256ELj8EdEEviiiPT1_PKS1_S4_S2_S2_S2_S2_S2_: ; @_ZN9rocsparseL29gtsv_spike_block_level_kernelILj256ELj8EdEEviiiPT1_PKS1_S4_S2_S2_S2_S2_S2_
; %bb.0:
	s_load_dword s14, s[4:5], 0x0
	s_load_dwordx2 s[8:9], s[4:5], 0x18
	v_lshl_or_b32 v1, s6, 8, v0
	v_mov_b32_e32 v3, 0
	v_mov_b32_e32 v5, 0
	s_waitcnt lgkmcnt(0)
	s_lshr_b32 s18, s14, 3
	v_mov_b32_e32 v4, 0
	v_mov_b32_e32 v6, 0
	v_cmp_gt_i32_e64 s[0:1], s18, v1
	s_and_saveexec_b64 s[2:3], s[0:1]
	s_cbranch_execz .LBB124_2
; %bb.1:
	v_ashrrev_i32_e32 v2, 31, v1
	v_lshlrev_b64 v[5:6], 3, v[1:2]
	v_mov_b32_e32 v2, s9
	v_add_co_u32_e32 v5, vcc, s8, v5
	v_addc_co_u32_e32 v6, vcc, v2, v6, vcc
	global_load_dwordx2 v[5:6], v[5:6], off
.LBB124_2:
	s_or_b64 exec, exec, s[2:3]
	s_load_dwordx2 s[2:3], s[4:5], 0x20
	v_lshlrev_b32_e32 v9, 3, v0
	v_or_b32_e32 v10, 0x1000, v9
	s_waitcnt vmcnt(0)
	ds_write_b64 v9, v[5:6] offset:4096
	s_and_saveexec_b64 s[10:11], s[0:1]
	s_cbranch_execz .LBB124_4
; %bb.3:
	v_mad_u64_u32 v[2:3], s[12:13], s18, 7, v[1:2]
	v_mov_b32_e32 v3, 0
	v_mov_b32_e32 v4, s9
	v_lshlrev_b64 v[2:3], 3, v[2:3]
	v_add_co_u32_e32 v2, vcc, s8, v2
	v_addc_co_u32_e32 v3, vcc, v4, v3, vcc
	global_load_dwordx2 v[3:4], v[2:3], off
.LBB124_4:
	s_or_b64 exec, exec, s[10:11]
	v_mov_b32_e32 v5, 0
	v_mov_b32_e32 v7, 0
	;; [unrolled: 1-line block ×4, first 2 shown]
	s_waitcnt vmcnt(0)
	ds_write_b64 v10, v[3:4] offset:2048
	s_and_saveexec_b64 s[8:9], s[0:1]
	s_cbranch_execz .LBB124_6
; %bb.5:
	v_ashrrev_i32_e32 v2, 31, v1
	v_lshlrev_b64 v[2:3], 3, v[1:2]
	s_waitcnt lgkmcnt(0)
	v_mov_b32_e32 v4, s3
	v_add_co_u32_e32 v2, vcc, s2, v2
	v_addc_co_u32_e32 v3, vcc, v4, v3, vcc
	global_load_dwordx2 v[7:8], v[2:3], off
.LBB124_6:
	s_or_b64 exec, exec, s[8:9]
	s_load_dwordx2 s[12:13], s[4:5], 0x10
	s_waitcnt vmcnt(0)
	ds_write_b64 v9, v[7:8]
	s_and_saveexec_b64 s[8:9], s[0:1]
	s_cbranch_execz .LBB124_8
; %bb.7:
	v_mad_u64_u32 v[2:3], s[10:11], s18, 7, v[1:2]
	v_mov_b32_e32 v3, 0
	s_waitcnt lgkmcnt(0)
	v_mov_b32_e32 v4, s3
	v_lshlrev_b64 v[2:3], 3, v[2:3]
	v_add_co_u32_e32 v2, vcc, s2, v2
	v_addc_co_u32_e32 v3, vcc, v4, v3, vcc
	global_load_dwordx2 v[5:6], v[2:3], off
.LBB124_8:
	s_or_b64 exec, exec, s[8:9]
	s_waitcnt vmcnt(0)
	ds_write_b64 v9, v[5:6] offset:2048
	v_mov_b32_e32 v5, 0
	s_mul_i32 s14, s14, s7
	v_mov_b32_e32 v7, 0
	v_mov_b32_e32 v6, 0
	;; [unrolled: 1-line block ×3, first 2 shown]
	v_add_u32_e32 v3, s14, v1
	s_waitcnt lgkmcnt(0)
	s_and_saveexec_b64 s[2:3], s[0:1]
	s_cbranch_execz .LBB124_10
; %bb.9:
	v_ashrrev_i32_e32 v4, 31, v3
	v_lshlrev_b64 v[7:8], 3, v[3:4]
	v_mov_b32_e32 v2, s13
	v_add_co_u32_e32 v7, vcc, s12, v7
	v_addc_co_u32_e32 v8, vcc, v2, v8, vcc
	global_load_dwordx2 v[7:8], v[7:8], off
.LBB124_10:
	s_or_b64 exec, exec, s[2:3]
	v_or_b32_e32 v4, 0x2000, v9
	s_mul_i32 s19, s18, 7
	s_waitcnt vmcnt(0)
	ds_write_b64 v9, v[7:8] offset:8192
	s_and_saveexec_b64 s[2:3], s[0:1]
	s_cbranch_execz .LBB124_12
; %bb.11:
	s_mul_i32 s8, s18, 7
	s_add_i32 s8, s8, s14
	v_add_u32_e32 v5, s8, v1
	v_mov_b32_e32 v6, 0
	v_lshlrev_b64 v[5:6], 3, v[5:6]
	v_mov_b32_e32 v2, s13
	v_add_co_u32_e32 v5, vcc, s12, v5
	v_addc_co_u32_e32 v6, vcc, v2, v6, vcc
	global_load_dwordx2 v[5:6], v[5:6], off
.LBB124_12:
	s_or_b64 exec, exec, s[2:3]
	s_movk_i32 s2, 0x80
	v_cmp_gt_u32_e32 vcc, s2, v0
	s_waitcnt vmcnt(0)
	ds_write_b64 v4, v[5:6] offset:2048
	s_waitcnt lgkmcnt(0)
	s_barrier
	s_and_saveexec_b64 s[2:3], vcc
	s_cbranch_execz .LBB124_14
; %bb.13:
	v_add_u32_e32 v2, v10, v9
	ds_read_b128 v[5:8], v2
	v_add_u32_e32 v37, v9, v9
	ds_read_b128 v[11:14], v37 offset:2048
	ds_read_b128 v[15:18], v37
	ds_read_b128 v[19:22], v2 offset:2048
	v_add_u32_e32 v38, v4, v9
	s_waitcnt lgkmcnt(2)
	v_fma_f64 v[31:32], -v[7:8], v[11:12], 1.0
	v_div_scale_f64 v[23:24], s[8:9], v[31:32], v[31:32], 1.0
	v_rcp_f64_e32 v[25:26], v[23:24]
	v_fma_f64 v[27:28], -v[23:24], v[25:26], 1.0
	v_fma_f64 v[25:26], v[25:26], v[27:28], v[25:26]
	v_div_scale_f64 v[27:28], vcc, 1.0, v[31:32], 1.0
	v_fma_f64 v[29:30], -v[23:24], v[25:26], 1.0
	v_fma_f64 v[25:26], v[25:26], v[29:30], v[25:26]
	v_mul_f64 v[29:30], v[27:28], v[25:26]
	v_fma_f64 v[23:24], -v[23:24], v[29:30], v[27:28]
	v_div_fmas_f64 v[33:34], v[23:24], v[25:26], v[29:30]
	ds_read_b128 v[23:26], v38 offset:2048
	ds_read_b128 v[27:30], v38
	s_waitcnt lgkmcnt(0)
	v_fma_f64 v[35:36], -v[7:8], v[23:24], v[29:30]
	v_fma_f64 v[23:24], -v[11:12], v[29:30], v[23:24]
	v_mul_f64 v[7:8], v[7:8], v[19:20]
	v_mul_f64 v[11:12], v[11:12], v[17:18]
	v_div_fixup_f64 v[31:32], v[33:34], v[31:32], 1.0
	v_mul_f64 v[29:30], v[35:36], v[31:32]
	v_mul_f64 v[23:24], v[31:32], v[23:24]
	v_mul_f64 v[7:8], v[7:8], -v[31:32]
	v_mul_f64 v[17:18], v[31:32], v[17:18]
	v_mul_f64 v[11:12], v[11:12], -v[31:32]
	v_mul_f64 v[19:20], v[31:32], v[19:20]
	v_fma_f64 v[27:28], -v[29:30], v[15:16], v[27:28]
	v_fma_f64 v[25:26], -v[21:22], v[23:24], v[25:26]
	;; [unrolled: 1-line block ×3, first 2 shown]
	v_mul_f64 v[15:16], v[17:18], -v[15:16]
	v_fma_f64 v[13:14], -v[11:12], v[21:22], v[13:14]
	v_mul_f64 v[21:22], v[19:20], -v[21:22]
	ds_write_b128 v38, v[27:30]
	ds_write_b128 v38, v[23:26] offset:2048
	ds_write_b128 v2, v[5:8]
	ds_write_b128 v37, v[15:18]
	ds_write_b128 v37, v[11:14] offset:2048
	ds_write_b128 v2, v[19:22] offset:2048
.LBB124_14:
	s_or_b64 exec, exec, s[2:3]
	v_cmp_gt_u32_e32 vcc, 64, v0
	s_waitcnt lgkmcnt(0)
	s_barrier
	s_and_saveexec_b64 s[2:3], vcc
	s_cbranch_execz .LBB124_16
; %bb.15:
	v_lshlrev_b32_e32 v2, 5, v0
	v_add_u32_e32 v37, 0x1000, v2
	v_add_u32_e32 v38, 0x800, v2
	ds_read2_b64 v[5:8], v37 offset1:2
	ds_read2_b64 v[11:14], v38 offset0:1 offset1:3
	v_mad_u32_u24 v39, v0, 24, v4
	v_add_u32_e32 v40, 0x800, v39
	v_add_u32_e32 v41, 0x1800, v2
	s_waitcnt lgkmcnt(0)
	v_fma_f64 v[31:32], -v[7:8], v[11:12], 1.0
	v_div_scale_f64 v[15:16], s[8:9], v[31:32], v[31:32], 1.0
	v_rcp_f64_e32 v[17:18], v[15:16]
	v_fma_f64 v[19:20], -v[15:16], v[17:18], 1.0
	v_fma_f64 v[17:18], v[17:18], v[19:20], v[17:18]
	v_div_scale_f64 v[19:20], vcc, 1.0, v[31:32], 1.0
	v_fma_f64 v[21:22], -v[15:16], v[17:18], 1.0
	v_fma_f64 v[17:18], v[17:18], v[21:22], v[17:18]
	v_mul_f64 v[21:22], v[19:20], v[17:18]
	v_fma_f64 v[15:16], -v[15:16], v[21:22], v[19:20]
	v_div_fmas_f64 v[33:34], v[15:16], v[17:18], v[21:22]
	ds_read2_b64 v[15:18], v39 offset1:2
	ds_read2_b64 v[19:22], v40 offset0:1 offset1:3
	ds_read2_b64 v[23:26], v41 offset0:1 offset1:3
	ds_read2_b64 v[27:30], v2 offset1:2
	s_waitcnt lgkmcnt(2)
	v_fma_f64 v[35:36], -v[7:8], v[19:20], v[17:18]
	v_fma_f64 v[17:18], -v[11:12], v[17:18], v[19:20]
	s_waitcnt lgkmcnt(1)
	v_mul_f64 v[7:8], v[7:8], v[23:24]
	s_waitcnt lgkmcnt(0)
	v_mul_f64 v[11:12], v[11:12], v[29:30]
	v_div_fixup_f64 v[31:32], v[33:34], v[31:32], 1.0
	v_mul_f64 v[19:20], v[35:36], v[31:32]
	v_mul_f64 v[17:18], v[31:32], v[17:18]
	v_mul_f64 v[7:8], v[7:8], -v[31:32]
	v_mul_f64 v[29:30], v[31:32], v[29:30]
	v_mul_f64 v[11:12], v[11:12], -v[31:32]
	v_mul_f64 v[23:24], v[31:32], v[23:24]
	v_fma_f64 v[15:16], -v[19:20], v[27:28], v[15:16]
	v_fma_f64 v[21:22], -v[25:26], v[17:18], v[21:22]
	;; [unrolled: 1-line block ×3, first 2 shown]
	v_mul_f64 v[27:28], v[29:30], -v[27:28]
	v_fma_f64 v[13:14], -v[11:12], v[25:26], v[13:14]
	v_mul_f64 v[25:26], v[23:24], -v[25:26]
	ds_write2_b64 v39, v[15:16], v[19:20] offset1:2
	ds_write2_b64 v40, v[17:18], v[21:22] offset0:1 offset1:3
	ds_write2_b64 v37, v[5:6], v[7:8] offset1:2
	ds_write2_b64 v2, v[27:28], v[29:30] offset1:2
	ds_write2_b64 v38, v[11:12], v[13:14] offset0:1 offset1:3
	ds_write2_b64 v41, v[23:24], v[25:26] offset0:1 offset1:3
.LBB124_16:
	s_or_b64 exec, exec, s[2:3]
	v_cmp_gt_u32_e32 vcc, 32, v0
	s_waitcnt lgkmcnt(0)
	s_barrier
	s_and_saveexec_b64 s[2:3], vcc
	s_cbranch_execz .LBB124_18
; %bb.17:
	v_lshlrev_b32_e32 v2, 6, v0
	v_add_u32_e32 v37, 0x1000, v2
	v_add_u32_e32 v38, 0x800, v2
	ds_read2_b64 v[5:8], v37 offset1:4
	ds_read2_b64 v[11:14], v38 offset0:3 offset1:7
	v_add_u32_e32 v39, 0x2800, v2
	v_add_u32_e32 v40, 0x2000, v2
	v_add_u32_e32 v41, 0x1800, v2
	s_waitcnt lgkmcnt(0)
	v_fma_f64 v[31:32], -v[7:8], v[11:12], 1.0
	v_div_scale_f64 v[15:16], s[8:9], v[31:32], v[31:32], 1.0
	v_rcp_f64_e32 v[17:18], v[15:16]
	v_fma_f64 v[19:20], -v[15:16], v[17:18], 1.0
	v_fma_f64 v[17:18], v[17:18], v[19:20], v[17:18]
	v_div_scale_f64 v[19:20], vcc, 1.0, v[31:32], 1.0
	v_fma_f64 v[21:22], -v[15:16], v[17:18], 1.0
	v_fma_f64 v[17:18], v[17:18], v[21:22], v[17:18]
	v_mul_f64 v[21:22], v[19:20], v[17:18]
	v_fma_f64 v[15:16], -v[15:16], v[21:22], v[19:20]
	v_div_fmas_f64 v[33:34], v[15:16], v[17:18], v[21:22]
	ds_read2_b64 v[15:18], v39 offset0:3 offset1:7
	ds_read2_b64 v[19:22], v40 offset1:4
	ds_read2_b64 v[23:26], v41 offset0:3 offset1:7
	ds_read2_b64 v[27:30], v2 offset1:4
	s_waitcnt lgkmcnt(2)
	v_fma_f64 v[35:36], -v[7:8], v[15:16], v[21:22]
	v_fma_f64 v[15:16], -v[11:12], v[21:22], v[15:16]
	s_waitcnt lgkmcnt(1)
	v_mul_f64 v[7:8], v[7:8], v[23:24]
	s_waitcnt lgkmcnt(0)
	v_mul_f64 v[11:12], v[11:12], v[29:30]
	v_div_fixup_f64 v[31:32], v[33:34], v[31:32], 1.0
	v_mul_f64 v[21:22], v[35:36], v[31:32]
	v_mul_f64 v[15:16], v[31:32], v[15:16]
	v_mul_f64 v[7:8], v[7:8], -v[31:32]
	v_mul_f64 v[29:30], v[31:32], v[29:30]
	v_mul_f64 v[11:12], v[11:12], -v[31:32]
	v_mul_f64 v[23:24], v[31:32], v[23:24]
	v_fma_f64 v[19:20], -v[21:22], v[27:28], v[19:20]
	v_fma_f64 v[17:18], -v[25:26], v[15:16], v[17:18]
	v_fma_f64 v[5:6], -v[7:8], v[27:28], v[5:6]
	v_mul_f64 v[27:28], v[29:30], -v[27:28]
	v_fma_f64 v[13:14], -v[11:12], v[25:26], v[13:14]
	v_mul_f64 v[25:26], v[23:24], -v[25:26]
	ds_write2_b64 v40, v[19:20], v[21:22] offset1:4
	ds_write2_b64 v39, v[15:16], v[17:18] offset0:3 offset1:7
	ds_write2_b64 v37, v[5:6], v[7:8] offset1:4
	ds_write2_b64 v2, v[27:28], v[29:30] offset1:4
	ds_write2_b64 v38, v[11:12], v[13:14] offset0:3 offset1:7
	ds_write2_b64 v41, v[23:24], v[25:26] offset0:3 offset1:7
.LBB124_18:
	s_or_b64 exec, exec, s[2:3]
	v_cmp_gt_u32_e32 vcc, 16, v0
	s_waitcnt lgkmcnt(0)
	s_barrier
	s_and_saveexec_b64 s[2:3], vcc
	s_cbranch_execz .LBB124_20
; %bb.19:
	v_lshlrev_b32_e32 v2, 7, v0
	v_add_u32_e32 v37, 0x1000, v2
	v_add_u32_e32 v38, 0x800, v2
	ds_read2_b64 v[5:8], v37 offset1:8
	ds_read2_b64 v[11:14], v38 offset0:7 offset1:15
	v_add_u32_e32 v39, 0x2800, v2
	v_add_u32_e32 v40, 0x2000, v2
	v_add_u32_e32 v41, 0x1800, v2
	s_waitcnt lgkmcnt(0)
	v_fma_f64 v[31:32], -v[7:8], v[11:12], 1.0
	v_div_scale_f64 v[15:16], s[8:9], v[31:32], v[31:32], 1.0
	v_rcp_f64_e32 v[17:18], v[15:16]
	v_fma_f64 v[19:20], -v[15:16], v[17:18], 1.0
	v_fma_f64 v[17:18], v[17:18], v[19:20], v[17:18]
	v_div_scale_f64 v[19:20], vcc, 1.0, v[31:32], 1.0
	v_fma_f64 v[21:22], -v[15:16], v[17:18], 1.0
	v_fma_f64 v[17:18], v[17:18], v[21:22], v[17:18]
	v_mul_f64 v[21:22], v[19:20], v[17:18]
	v_fma_f64 v[15:16], -v[15:16], v[21:22], v[19:20]
	v_div_fmas_f64 v[33:34], v[15:16], v[17:18], v[21:22]
	ds_read2_b64 v[15:18], v39 offset0:7 offset1:15
	ds_read2_b64 v[19:22], v40 offset1:8
	ds_read2_b64 v[23:26], v41 offset0:7 offset1:15
	ds_read2_b64 v[27:30], v2 offset1:8
	s_waitcnt lgkmcnt(2)
	v_fma_f64 v[35:36], -v[7:8], v[15:16], v[21:22]
	v_fma_f64 v[15:16], -v[11:12], v[21:22], v[15:16]
	s_waitcnt lgkmcnt(1)
	v_mul_f64 v[7:8], v[7:8], v[23:24]
	s_waitcnt lgkmcnt(0)
	v_mul_f64 v[11:12], v[11:12], v[29:30]
	v_div_fixup_f64 v[31:32], v[33:34], v[31:32], 1.0
	v_mul_f64 v[21:22], v[35:36], v[31:32]
	v_mul_f64 v[15:16], v[31:32], v[15:16]
	v_mul_f64 v[7:8], v[7:8], -v[31:32]
	v_mul_f64 v[29:30], v[31:32], v[29:30]
	v_mul_f64 v[11:12], v[11:12], -v[31:32]
	v_mul_f64 v[23:24], v[31:32], v[23:24]
	v_fma_f64 v[19:20], -v[21:22], v[27:28], v[19:20]
	v_fma_f64 v[17:18], -v[25:26], v[15:16], v[17:18]
	v_fma_f64 v[5:6], -v[7:8], v[27:28], v[5:6]
	v_mul_f64 v[27:28], v[29:30], -v[27:28]
	v_fma_f64 v[13:14], -v[11:12], v[25:26], v[13:14]
	v_mul_f64 v[25:26], v[23:24], -v[25:26]
	ds_write2_b64 v40, v[19:20], v[21:22] offset1:8
	ds_write2_b64 v39, v[15:16], v[17:18] offset0:7 offset1:15
	ds_write2_b64 v37, v[5:6], v[7:8] offset1:8
	ds_write2_b64 v2, v[27:28], v[29:30] offset1:8
	ds_write2_b64 v38, v[11:12], v[13:14] offset0:7 offset1:15
	ds_write2_b64 v41, v[23:24], v[25:26] offset0:7 offset1:15
.LBB124_20:
	;; [unrolled: 58-line block ×4, first 2 shown]
	s_or_b64 exec, exec, s[2:3]
	v_cmp_gt_u32_e32 vcc, 2, v0
	s_waitcnt lgkmcnt(0)
	s_barrier
	s_and_saveexec_b64 s[2:3], vcc
	s_cbranch_execz .LBB124_26
; %bb.25:
	v_lshlrev_b32_e32 v2, 10, v0
	v_add_u32_e32 v37, 0x1f8, v2
	ds_read2st64_b64 v[5:8], v37 offset0:4 offset1:5
	ds_read2st64_b64 v[11:14], v2 offset0:8 offset1:9
	ds_read2st64_b64 v[15:18], v2 offset1:1
	ds_read2st64_b64 v[19:22], v37 offset0:12 offset1:13
	s_waitcnt lgkmcnt(2)
	v_fma_f64 v[31:32], -v[13:14], v[5:6], 1.0
	v_div_scale_f64 v[23:24], s[8:9], v[31:32], v[31:32], 1.0
	v_rcp_f64_e32 v[25:26], v[23:24]
	v_fma_f64 v[27:28], -v[23:24], v[25:26], 1.0
	v_fma_f64 v[25:26], v[25:26], v[27:28], v[25:26]
	v_div_scale_f64 v[27:28], vcc, 1.0, v[31:32], 1.0
	v_fma_f64 v[29:30], -v[23:24], v[25:26], 1.0
	v_fma_f64 v[25:26], v[25:26], v[29:30], v[25:26]
	v_mul_f64 v[29:30], v[27:28], v[25:26]
	v_fma_f64 v[23:24], -v[23:24], v[29:30], v[27:28]
	v_div_fmas_f64 v[33:34], v[23:24], v[25:26], v[29:30]
	ds_read2st64_b64 v[23:26], v2 offset0:16 offset1:17
	ds_read2st64_b64 v[27:30], v37 offset0:20 offset1:21
	s_waitcnt lgkmcnt(0)
	v_fma_f64 v[35:36], -v[13:14], v[27:28], v[25:26]
	v_fma_f64 v[25:26], -v[5:6], v[25:26], v[27:28]
	v_mul_f64 v[13:14], v[13:14], v[19:20]
	v_mul_f64 v[5:6], v[5:6], v[17:18]
	v_div_fixup_f64 v[31:32], v[33:34], v[31:32], 1.0
	v_mul_f64 v[27:28], v[35:36], v[31:32]
	v_mul_f64 v[25:26], v[31:32], v[25:26]
	v_mul_f64 v[13:14], v[13:14], -v[31:32]
	v_mul_f64 v[17:18], v[31:32], v[17:18]
	v_mul_f64 v[5:6], v[5:6], -v[31:32]
	v_mul_f64 v[19:20], v[31:32], v[19:20]
	v_fma_f64 v[23:24], -v[27:28], v[15:16], v[23:24]
	v_fma_f64 v[29:30], -v[21:22], v[25:26], v[29:30]
	;; [unrolled: 1-line block ×3, first 2 shown]
	v_mul_f64 v[15:16], v[17:18], -v[15:16]
	v_fma_f64 v[7:8], -v[5:6], v[21:22], v[7:8]
	v_mul_f64 v[21:22], v[19:20], -v[21:22]
	ds_write2st64_b64 v2, v[23:24], v[27:28] offset0:16 offset1:17
	ds_write2st64_b64 v37, v[25:26], v[29:30] offset0:20 offset1:21
	;; [unrolled: 1-line block ×3, first 2 shown]
	ds_write2st64_b64 v2, v[15:16], v[17:18] offset1:1
	ds_write2st64_b64 v37, v[5:6], v[7:8] offset0:4 offset1:5
	ds_write2st64_b64 v37, v[19:20], v[21:22] offset0:12 offset1:13
.LBB124_26:
	s_or_b64 exec, exec, s[2:3]
	v_cmp_eq_u32_e64 s[2:3], 0, v0
	s_waitcnt lgkmcnt(0)
	s_barrier
	s_and_saveexec_b64 s[8:9], s[2:3]
	s_cbranch_execz .LBB124_28
; %bb.27:
	s_movk_i32 s10, 0x1400
	v_add_u32_e64 v2, s10, 0
	v_mov_b32_e32 v0, 0
	ds_read2_b64 v[5:8], v2 offset1:255
	ds_read_b64 v[19:20], v0 offset:3064
	ds_read_b64 v[21:22], v0 offset:12280
	v_mov_b32_e32 v32, 0x1ff8
	v_mov_b32_e32 v33, 0xff8
	s_waitcnt lgkmcnt(1)
	v_fma_f64 v[23:24], -v[5:6], v[19:20], 1.0
	v_div_scale_f64 v[11:12], s[10:11], v[23:24], v[23:24], 1.0
	s_movk_i32 s10, 0x2400
	v_add_u32_e64 v31, s10, 0
	v_rcp_f64_e32 v[13:14], v[11:12]
	v_fma_f64 v[15:16], -v[11:12], v[13:14], 1.0
	v_fma_f64 v[13:14], v[13:14], v[15:16], v[13:14]
	v_div_scale_f64 v[15:16], vcc, 1.0, v[23:24], 1.0
	v_fma_f64 v[17:18], -v[11:12], v[13:14], 1.0
	v_fma_f64 v[13:14], v[13:14], v[17:18], v[13:14]
	v_mul_f64 v[17:18], v[15:16], v[13:14]
	v_fma_f64 v[11:12], -v[11:12], v[17:18], v[15:16]
	v_div_fmas_f64 v[25:26], v[11:12], v[13:14], v[17:18]
	ds_read2_b64 v[11:14], v31 offset1:255
	ds_read2st64_b64 v[15:18], v0 offset1:2
	s_waitcnt lgkmcnt(1)
	v_fma_f64 v[27:28], -v[19:20], v[11:12], v[13:14]
	s_waitcnt lgkmcnt(0)
	v_mul_f64 v[19:20], v[19:20], v[17:18]
	v_div_fixup_f64 v[23:24], v[25:26], v[23:24], 1.0
	v_fma_f64 v[25:26], -v[5:6], v[13:14], v[11:12]
	v_mul_f64 v[5:6], v[5:6], v[7:8]
	ds_read2_b64 v[11:14], v32 offset1:1
	v_mul_f64 v[27:28], v[23:24], v[27:28]
	v_mul_f64 v[25:26], v[25:26], v[23:24]
	v_mul_f64 v[29:30], v[5:6], -v[23:24]
	v_mul_f64 v[17:18], v[23:24], v[17:18]
	v_mul_f64 v[19:20], v[19:20], -v[23:24]
	v_mul_f64 v[23:24], v[23:24], v[7:8]
	ds_read2_b64 v[5:8], v33 offset1:1
	s_waitcnt lgkmcnt(1)
	v_fma_f64 v[21:22], -v[11:12], v[27:28], v[21:22]
	v_fma_f64 v[13:14], -v[25:26], v[15:16], v[13:14]
	s_waitcnt lgkmcnt(0)
	v_fma_f64 v[7:8], -v[29:30], v[15:16], v[7:8]
	v_mul_f64 v[15:16], v[17:18], -v[15:16]
	v_fma_f64 v[5:6], -v[19:20], v[11:12], v[5:6]
	v_mul_f64 v[11:12], v[23:24], -v[11:12]
	ds_write2_b64 v31, v[25:26], v[27:28] offset1:255
	ds_write_b64 v0, v[19:20] offset:3064
	ds_write2_b64 v2, v[29:30], v[23:24] offset1:255
	ds_write_b64 v0, v[21:22] offset:12280
	ds_write2st64_b64 v0, v[15:16], v[17:18] offset1:2
	ds_write2_b64 v33, v[5:6], v[7:8] offset1:1
	ds_write2_b64 v32, v[11:12], v[13:14] offset1:1
.LBB124_28:
	s_or_b64 exec, exec, s[8:9]
	s_load_dwordx2 s[14:15], s[4:5], 0x48
	s_load_dwordx4 s[8:11], s[4:5], 0x38
	s_waitcnt lgkmcnt(0)
	s_barrier
	s_and_saveexec_b64 s[16:17], s[0:1]
	s_cbranch_execnz .LBB124_31
; %bb.29:
	s_or_b64 exec, exec, s[16:17]
	s_and_saveexec_b64 s[0:1], s[2:3]
	s_cbranch_execnz .LBB124_35
.LBB124_30:
	s_endpgm
.LBB124_31:
	s_cmp_eq_u32 s7, 0
	s_cbranch_scc1 .LBB124_39
; %bb.32:
	s_mul_i32 s18, s18, 7
	s_cbranch_execnz .LBB124_34
.LBB124_33:
	s_load_dwordx4 s[20:23], s[4:5], 0x28
	v_ashrrev_i32_e32 v2, 31, v1
	ds_read2st64_b64 v[5:8], v10 offset1:4
	v_lshlrev_b64 v[10:11], 3, v[1:2]
	s_mov_b32 s18, s19
	s_waitcnt lgkmcnt(0)
	v_mov_b32_e32 v0, s21
	v_add_co_u32_e32 v12, vcc, s20, v10
	v_addc_co_u32_e32 v13, vcc, v0, v11, vcc
	v_add_u32_e32 v0, s19, v1
	v_mov_b32_e32 v1, 0
	v_lshlrev_b64 v[0:1], 3, v[0:1]
	global_store_dwordx2 v[12:13], v[5:6], off
	v_mov_b32_e32 v2, s21
	v_add_co_u32_e32 v5, vcc, s20, v0
	v_addc_co_u32_e32 v6, vcc, v2, v1, vcc
	global_store_dwordx2 v[5:6], v[7:8], off
	ds_read2st64_b64 v[5:8], v9 offset1:4
	v_mov_b32_e32 v2, s23
	v_add_co_u32_e32 v9, vcc, s22, v10
	v_addc_co_u32_e32 v10, vcc, v2, v11, vcc
	v_add_co_u32_e32 v0, vcc, s22, v0
	v_addc_co_u32_e32 v1, vcc, v2, v1, vcc
	s_waitcnt lgkmcnt(0)
	global_store_dwordx2 v[9:10], v[5:6], off
	global_store_dwordx2 v[0:1], v[7:8], off
.LBB124_34:
	ds_read2st64_b64 v[5:8], v4 offset1:4
	v_ashrrev_i32_e32 v4, 31, v3
	v_lshlrev_b64 v[0:1], 3, v[3:4]
	v_mov_b32_e32 v2, s13
	v_add_co_u32_e32 v0, vcc, s12, v0
	v_addc_co_u32_e32 v1, vcc, v2, v1, vcc
	s_waitcnt lgkmcnt(0)
	global_store_dwordx2 v[0:1], v[5:6], off
	v_add_u32_e32 v0, s18, v3
	v_mov_b32_e32 v1, 0
	v_lshlrev_b64 v[0:1], 3, v[0:1]
	v_add_co_u32_e32 v0, vcc, s12, v0
	v_addc_co_u32_e32 v1, vcc, v2, v1, vcc
	global_store_dwordx2 v[0:1], v[7:8], off
	s_or_b64 exec, exec, s[16:17]
	s_and_saveexec_b64 s[0:1], s[2:3]
	s_cbranch_execz .LBB124_30
.LBB124_35:
	s_cmp_eq_u32 s7, 0
	s_cbranch_scc1 .LBB124_40
; %bb.36:
	s_load_dword s2, s[4:5], 0x50
	s_cbranch_execnz .LBB124_38
.LBB124_37:
	v_mov_b32_e32 v0, 0xff8
	ds_read2_b64 v[0:3], v0 offset1:1
	s_mov_b32 s0, s7
	s_ashr_i32 s7, s6, 31
	s_waitcnt lgkmcnt(0)
	s_load_dword s2, s[4:5], 0x50
	s_lshl_b64 s[12:13], s[6:7], 3
	s_mov_b32 s7, s0
	s_add_u32 s0, s10, s12
	s_addc_u32 s1, s11, s13
	v_mov_b32_e32 v6, 0
	ds_read_b64 v[4:5], v6
	global_store_dwordx2 v6, v[2:3], s[0:1]
	ds_read_b64 v[2:3], v6 offset:8184
	s_waitcnt lgkmcnt(0)
	s_add_i32 s0, s2, s6
	s_mov_b32 s1, 0
	s_lshl_b64 s[0:1], s[0:1], 3
	s_add_u32 s4, s10, s0
	s_addc_u32 s5, s11, s1
	global_store_dwordx2 v6, v[2:3], s[4:5]
	s_add_u32 s4, s14, s12
	s_addc_u32 s5, s15, s13
	s_add_u32 s0, s14, s0
	s_addc_u32 s1, s15, s1
	global_store_dwordx2 v6, v[4:5], s[4:5]
	global_store_dwordx2 v6, v[0:1], s[0:1]
.LBB124_38:
	s_waitcnt lgkmcnt(0)
	s_mul_i32 s0, s2, s7
	s_lshl_b32 s0, s0, 1
	s_add_i32 s0, s0, s6
	s_mov_b32 s1, 0
	v_mov_b32_e32 v4, 0
	s_lshl_b64 s[4:5], s[0:1], 3
	ds_read_b64 v[0:1], v4 offset:8192
	ds_read_b64 v[2:3], v4 offset:12280
	s_add_u32 s4, s8, s4
	s_addc_u32 s5, s9, s5
	s_add_i32 s0, s0, s2
	s_lshl_b64 s[0:1], s[0:1], 3
	s_add_u32 s0, s8, s0
	s_addc_u32 s1, s9, s1
	s_waitcnt lgkmcnt(1)
	global_store_dwordx2 v4, v[0:1], s[4:5]
	s_waitcnt lgkmcnt(0)
	global_store_dwordx2 v4, v[2:3], s[0:1]
	s_endpgm
.LBB124_39:
                                        ; implicit-def: $sgpr18
	s_branch .LBB124_33
.LBB124_40:
                                        ; implicit-def: $sgpr2
	s_branch .LBB124_37
	.section	.rodata,"a",@progbits
	.p2align	6, 0x0
	.amdhsa_kernel _ZN9rocsparseL29gtsv_spike_block_level_kernelILj256ELj8EdEEviiiPT1_PKS1_S4_S2_S2_S2_S2_S2_
		.amdhsa_group_segment_fixed_size 12288
		.amdhsa_private_segment_fixed_size 0
		.amdhsa_kernarg_size 336
		.amdhsa_user_sgpr_count 6
		.amdhsa_user_sgpr_private_segment_buffer 1
		.amdhsa_user_sgpr_dispatch_ptr 0
		.amdhsa_user_sgpr_queue_ptr 0
		.amdhsa_user_sgpr_kernarg_segment_ptr 1
		.amdhsa_user_sgpr_dispatch_id 0
		.amdhsa_user_sgpr_flat_scratch_init 0
		.amdhsa_user_sgpr_private_segment_size 0
		.amdhsa_uses_dynamic_stack 0
		.amdhsa_system_sgpr_private_segment_wavefront_offset 0
		.amdhsa_system_sgpr_workgroup_id_x 1
		.amdhsa_system_sgpr_workgroup_id_y 1
		.amdhsa_system_sgpr_workgroup_id_z 0
		.amdhsa_system_sgpr_workgroup_info 0
		.amdhsa_system_vgpr_workitem_id 0
		.amdhsa_next_free_vgpr 42
		.amdhsa_next_free_sgpr 98
		.amdhsa_reserve_vcc 1
		.amdhsa_reserve_flat_scratch 0
		.amdhsa_float_round_mode_32 0
		.amdhsa_float_round_mode_16_64 0
		.amdhsa_float_denorm_mode_32 3
		.amdhsa_float_denorm_mode_16_64 3
		.amdhsa_dx10_clamp 1
		.amdhsa_ieee_mode 1
		.amdhsa_fp16_overflow 0
		.amdhsa_exception_fp_ieee_invalid_op 0
		.amdhsa_exception_fp_denorm_src 0
		.amdhsa_exception_fp_ieee_div_zero 0
		.amdhsa_exception_fp_ieee_overflow 0
		.amdhsa_exception_fp_ieee_underflow 0
		.amdhsa_exception_fp_ieee_inexact 0
		.amdhsa_exception_int_div_zero 0
	.end_amdhsa_kernel
	.section	.text._ZN9rocsparseL29gtsv_spike_block_level_kernelILj256ELj8EdEEviiiPT1_PKS1_S4_S2_S2_S2_S2_S2_,"axG",@progbits,_ZN9rocsparseL29gtsv_spike_block_level_kernelILj256ELj8EdEEviiiPT1_PKS1_S4_S2_S2_S2_S2_S2_,comdat
.Lfunc_end124:
	.size	_ZN9rocsparseL29gtsv_spike_block_level_kernelILj256ELj8EdEEviiiPT1_PKS1_S4_S2_S2_S2_S2_S2_, .Lfunc_end124-_ZN9rocsparseL29gtsv_spike_block_level_kernelILj256ELj8EdEEviiiPT1_PKS1_S4_S2_S2_S2_S2_S2_
                                        ; -- End function
	.set _ZN9rocsparseL29gtsv_spike_block_level_kernelILj256ELj8EdEEviiiPT1_PKS1_S4_S2_S2_S2_S2_S2_.num_vgpr, 42
	.set _ZN9rocsparseL29gtsv_spike_block_level_kernelILj256ELj8EdEEviiiPT1_PKS1_S4_S2_S2_S2_S2_S2_.num_agpr, 0
	.set _ZN9rocsparseL29gtsv_spike_block_level_kernelILj256ELj8EdEEviiiPT1_PKS1_S4_S2_S2_S2_S2_S2_.numbered_sgpr, 24
	.set _ZN9rocsparseL29gtsv_spike_block_level_kernelILj256ELj8EdEEviiiPT1_PKS1_S4_S2_S2_S2_S2_S2_.num_named_barrier, 0
	.set _ZN9rocsparseL29gtsv_spike_block_level_kernelILj256ELj8EdEEviiiPT1_PKS1_S4_S2_S2_S2_S2_S2_.private_seg_size, 0
	.set _ZN9rocsparseL29gtsv_spike_block_level_kernelILj256ELj8EdEEviiiPT1_PKS1_S4_S2_S2_S2_S2_S2_.uses_vcc, 1
	.set _ZN9rocsparseL29gtsv_spike_block_level_kernelILj256ELj8EdEEviiiPT1_PKS1_S4_S2_S2_S2_S2_S2_.uses_flat_scratch, 0
	.set _ZN9rocsparseL29gtsv_spike_block_level_kernelILj256ELj8EdEEviiiPT1_PKS1_S4_S2_S2_S2_S2_S2_.has_dyn_sized_stack, 0
	.set _ZN9rocsparseL29gtsv_spike_block_level_kernelILj256ELj8EdEEviiiPT1_PKS1_S4_S2_S2_S2_S2_S2_.has_recursion, 0
	.set _ZN9rocsparseL29gtsv_spike_block_level_kernelILj256ELj8EdEEviiiPT1_PKS1_S4_S2_S2_S2_S2_S2_.has_indirect_call, 0
	.section	.AMDGPU.csdata,"",@progbits
; Kernel info:
; codeLenInByte = 4220
; TotalNumSgprs: 28
; NumVgprs: 42
; ScratchSize: 0
; MemoryBound: 0
; FloatMode: 240
; IeeeMode: 1
; LDSByteSize: 12288 bytes/workgroup (compile time only)
; SGPRBlocks: 12
; VGPRBlocks: 10
; NumSGPRsForWavesPerEU: 102
; NumVGPRsForWavesPerEU: 42
; Occupancy: 5
; WaveLimiterHint : 0
; COMPUTE_PGM_RSRC2:SCRATCH_EN: 0
; COMPUTE_PGM_RSRC2:USER_SGPR: 6
; COMPUTE_PGM_RSRC2:TRAP_HANDLER: 0
; COMPUTE_PGM_RSRC2:TGID_X_EN: 1
; COMPUTE_PGM_RSRC2:TGID_Y_EN: 1
; COMPUTE_PGM_RSRC2:TGID_Z_EN: 0
; COMPUTE_PGM_RSRC2:TIDIG_COMP_CNT: 0
	.section	.text._ZN9rocsparseL33gtsv_solve_spike_propagate_kernelILj256ELj8EdEEviiiPT1_PKS1_S4_S4_,"axG",@progbits,_ZN9rocsparseL33gtsv_solve_spike_propagate_kernelILj256ELj8EdEEviiiPT1_PKS1_S4_S4_,comdat
	.globl	_ZN9rocsparseL33gtsv_solve_spike_propagate_kernelILj256ELj8EdEEviiiPT1_PKS1_S4_S4_ ; -- Begin function _ZN9rocsparseL33gtsv_solve_spike_propagate_kernelILj256ELj8EdEEviiiPT1_PKS1_S4_S4_
	.p2align	8
	.type	_ZN9rocsparseL33gtsv_solve_spike_propagate_kernelILj256ELj8EdEEviiiPT1_PKS1_S4_S4_,@function
_ZN9rocsparseL33gtsv_solve_spike_propagate_kernelILj256ELj8EdEEviiiPT1_PKS1_S4_S4_: ; @_ZN9rocsparseL33gtsv_solve_spike_propagate_kernelILj256ELj8EdEEviiiPT1_PKS1_S4_S4_
; %bb.0:
	s_load_dword s10, s[4:5], 0x0
	v_lshl_or_b32 v1, s6, 8, v0
	v_mov_b32_e32 v3, 0
	v_mov_b32_e32 v5, 0
	;; [unrolled: 1-line block ×3, first 2 shown]
	s_waitcnt lgkmcnt(0)
	s_lshr_b32 s14, s10, 3
	v_cmp_le_i32_e64 s[0:1], s14, v1
	v_cmp_gt_i32_e32 vcc, s14, v1
	v_mov_b32_e32 v6, 0
	v_ashrrev_i32_e32 v2, 31, v1
	s_and_saveexec_b64 s[8:9], vcc
	s_cbranch_execz .LBB125_2
; %bb.1:
	s_load_dwordx2 s[12:13], s[4:5], 0x18
	v_lshlrev_b64 v[3:4], 3, v[1:2]
	v_mad_u64_u32 v[5:6], s[2:3], s14, 7, v[1:2]
	s_waitcnt lgkmcnt(0)
	v_mov_b32_e32 v6, s13
	v_add_co_u32_e64 v7, s[2:3], s12, v3
	v_addc_co_u32_e64 v8, s[2:3], v6, v4, s[2:3]
	v_mov_b32_e32 v6, 0
	v_lshlrev_b64 v[3:4], 3, v[5:6]
	v_mov_b32_e32 v5, s13
	v_add_co_u32_e64 v9, s[2:3], s12, v3
	v_addc_co_u32_e64 v10, s[2:3], v5, v4, s[2:3]
	global_load_dwordx2 v[3:4], v[7:8], off
	global_load_dwordx2 v[5:6], v[9:10], off
.LBB125_2:
	s_or_b64 exec, exec, s[8:9]
	s_load_dwordx2 s[2:3], s[4:5], 0x10
	v_lshlrev_b32_e32 v7, 3, v0
	v_add_u32_e32 v8, 16, v7
	s_waitcnt vmcnt(0)
	ds_write2st64_b64 v8, v[3:4], v[5:6] offset0:16 offset1:20
	s_and_saveexec_b64 s[8:9], s[0:1]
	s_xor_b64 s[0:1], exec, s[8:9]
; %bb.3:
	s_mov_b32 s8, 0
	s_mov_b32 s9, s8
	v_mov_b32_e32 v2, s8
	v_mov_b32_e32 v3, s9
	ds_write2st64_b64 v8, v[2:3], v[2:3] offset0:8 offset1:12
; %bb.4:
	s_or_saveexec_b64 s[8:9], s[0:1]
	v_mov_b32_e32 v3, 0
	v_mov_b32_e32 v5, 0
	;; [unrolled: 1-line block ×4, first 2 shown]
	s_mul_i32 s10, s10, s7
	s_xor_b64 exec, exec, s[8:9]
	s_cbranch_execz .LBB125_6
; %bb.5:
	s_load_dwordx2 s[12:13], s[4:5], 0x20
	v_mad_u64_u32 v[8:9], s[0:1], s14, 7, v[1:2]
	v_lshlrev_b64 v[5:6], 3, v[1:2]
	v_mov_b32_e32 v9, 0
	s_waitcnt lgkmcnt(0)
	v_mov_b32_e32 v2, s13
	v_add_co_u32_e64 v5, s[0:1], s12, v5
	v_lshlrev_b64 v[10:11], 3, v[8:9]
	v_addc_co_u32_e64 v6, s[0:1], v2, v6, s[0:1]
	v_add_co_u32_e64 v10, s[0:1], s12, v10
	v_add_u32_e32 v8, s10, v8
	v_addc_co_u32_e64 v11, s[0:1], v2, v11, s[0:1]
	global_load_dwordx2 v[12:13], v[5:6], off
	global_load_dwordx2 v[14:15], v[10:11], off
	v_lshlrev_b64 v[5:6], 3, v[8:9]
	v_mov_b32_e32 v2, s3
	v_add_co_u32_e64 v5, s[0:1], s2, v5
	v_addc_co_u32_e64 v6, s[0:1], v2, v6, s[0:1]
	global_load_dwordx2 v[5:6], v[5:6], off
	v_add_u32_e32 v2, 16, v7
	s_waitcnt vmcnt(1)
	ds_write2st64_b64 v2, v[12:13], v[14:15] offset0:8 offset1:12
.LBB125_6:
	s_or_b64 exec, exec, s[8:9]
	v_add_u32_e32 v1, s10, v1
	s_waitcnt vmcnt(0)
	ds_write_b64 v7, v[5:6] offset:8
	s_and_saveexec_b64 s[8:9], vcc
	s_cbranch_execz .LBB125_8
; %bb.7:
	v_ashrrev_i32_e32 v2, 31, v1
	v_lshlrev_b64 v[2:3], 3, v[1:2]
	s_waitcnt lgkmcnt(0)
	v_mov_b32_e32 v4, s3
	v_add_co_u32_e64 v2, s[0:1], s2, v2
	v_addc_co_u32_e64 v3, s[0:1], v4, v3, s[0:1]
	global_load_dwordx2 v[3:4], v[2:3], off
.LBB125_8:
	s_or_b64 exec, exec, s[8:9]
	v_cmp_eq_u32_e64 s[0:1], 0, v0
	s_waitcnt vmcnt(0)
	ds_write_b64 v7, v[3:4] offset:2056
	s_waitcnt lgkmcnt(0)
	s_barrier
	s_and_saveexec_b64 s[8:9], s[0:1]
	s_cbranch_execz .LBB125_14
; %bb.9:
	s_load_dword s15, s[4:5], 0x30
	s_load_dwordx2 s[10:11], s[4:5], 0x28
	s_cmp_lt_i32 s6, 1
	s_mov_b64 s[4:5], 0
	s_mov_b64 s[12:13], 0
	s_waitcnt lgkmcnt(0)
	s_mul_i32 s7, s7, s15
	s_cbranch_scc1 .LBB125_11
; %bb.10:
	s_lshl_b32 s12, s7, 1
	s_add_i32 s13, s6, s15
	s_add_i32 s12, s13, s12
	s_add_i32 s12, s12, -1
	s_mov_b32 s13, 0
	s_lshl_b64 s[12:13], s[12:13], 3
	s_add_u32 s12, s10, s12
	s_addc_u32 s13, s11, s13
	s_load_dwordx2 s[12:13], s[12:13], 0x0
.LBB125_11:
	s_waitcnt lgkmcnt(0)
	v_mov_b32_e32 v3, s12
	v_mov_b32_e32 v4, s13
	s_add_i32 s12, s15, -1
	v_mov_b32_e32 v2, 0
	s_cmp_ge_u32 s6, s12
	ds_write_b64 v2, v[3:4]
	s_cbranch_scc1 .LBB125_13
; %bb.12:
	s_lshl_b32 s4, s7, 1
	s_add_i32 s4, s6, s4
	s_add_i32 s4, s4, 1
	s_mov_b32 s5, 0
	s_lshl_b64 s[4:5], s[4:5], 3
	s_add_u32 s4, s10, s4
	s_addc_u32 s5, s11, s5
	s_load_dwordx2 s[4:5], s[4:5], 0x0
.LBB125_13:
	s_lshl_b32 s7, s7, 1
	s_add_i32 s6, s7, s6
	s_mov_b32 s7, 0
	s_lshl_b64 s[12:13], s[6:7], 3
	s_add_u32 s12, s10, s12
	s_addc_u32 s13, s11, s13
	s_add_i32 s6, s6, s15
	s_lshl_b64 s[6:7], s[6:7], 3
	s_add_u32 s6, s10, s6
	s_addc_u32 s7, s11, s7
	s_load_dwordx2 s[10:11], s[6:7], 0x0
	s_load_dwordx2 s[16:17], s[12:13], 0x0
	s_waitcnt lgkmcnt(0)
	v_mov_b32_e32 v3, s4
	v_mov_b32_e32 v4, s5
	ds_write_b64 v2, v[3:4] offset:4104
	v_mov_b32_e32 v3, s10
	v_mov_b32_e32 v4, s11
	v_mov_b32_e32 v5, s16
	v_mov_b32_e32 v6, s17
	ds_write_b128 v2, v[3:6] offset:2048
.LBB125_14:
	s_or_b64 exec, exec, s[8:9]
	s_waitcnt lgkmcnt(0)
	s_barrier
	s_and_saveexec_b64 s[4:5], s[0:1]
	s_cbranch_execz .LBB125_16
; %bb.15:
	s_movk_i32 s0, 0x1410
	v_mov_b32_e32 v6, 0
	v_add_u32_e64 v12, s0, 0
	v_add_u32_e64 v8, 8, 0
	ds_read2st64_b64 v[2:5], v6 offset1:2
	ds_read2st64_b64 v[8:11], v8 offset0:6 offset1:8
	ds_read2_b64 v[12:15], v12 offset1:255
	s_movk_i32 s0, 0x2410
	s_waitcnt lgkmcnt(0)
	v_fma_f64 v[4:5], -v[14:15], v[10:11], v[4:5]
	v_fma_f64 v[12:13], -v[12:13], v[10:11], v[8:9]
	v_add_u32_e64 v8, s0, 0
	ds_read2_b64 v[8:11], v8 offset1:255
	s_waitcnt lgkmcnt(0)
	v_fma_f64 v[4:5], -v[10:11], v[2:3], v[4:5]
	v_fma_f64 v[2:3], -v[8:9], v[2:3], v[12:13]
	ds_write_b64 v6, v[4:5] offset:1024
	ds_write_b64 v6, v[2:3] offset:3080
.LBB125_16:
	s_or_b64 exec, exec, s[4:5]
	v_cmp_gt_u32_e64 s[0:1], 2, v0
	s_waitcnt lgkmcnt(0)
	s_barrier
	s_and_saveexec_b64 s[4:5], s[0:1]
	s_cbranch_execz .LBB125_18
; %bb.17:
	s_movk_i32 s0, 0x3f8
	v_mad_u32_u24 v6, v0, s0, v7
	v_lshlrev_b32_e32 v16, 10, v0
	v_add_u32_e32 v8, 0x1210, v16
	v_add_u32_e32 v12, 8, v6
	ds_read2st64_b64 v[2:5], v6 offset1:1
	ds_read2_b64 v[8:11], v8 offset1:255
	ds_read2st64_b64 v[12:15], v12 offset0:5 offset1:6
	s_waitcnt lgkmcnt(0)
	v_fma_f64 v[4:5], -v[10:11], v[14:15], v[4:5]
	v_fma_f64 v[12:13], -v[8:9], v[14:15], v[12:13]
	v_add_u32_e32 v8, 0x2210, v16
	ds_read2_b64 v[8:11], v8 offset1:255
	s_waitcnt lgkmcnt(0)
	v_fma_f64 v[4:5], -v[10:11], v[2:3], v[4:5]
	v_fma_f64 v[2:3], -v[8:9], v[2:3], v[12:13]
	ds_write_b64 v6, v[4:5] offset:512
	ds_write_b64 v6, v[2:3] offset:2568
.LBB125_18:
	s_or_b64 exec, exec, s[4:5]
	v_cmp_gt_u32_e64 s[0:1], 4, v0
	s_waitcnt lgkmcnt(0)
	s_barrier
	s_and_saveexec_b64 s[4:5], s[0:1]
	s_cbranch_execz .LBB125_20
; %bb.19:
	v_lshlrev_b32_e32 v6, 9, v0
	v_add_u32_e32 v8, 0x1110, v6
	v_add_u32_e32 v12, 0x800, v6
	ds_read2_b64 v[2:5], v6 offset1:32
	ds_read2_b64 v[8:11], v8 offset1:255
	ds_read2_b64 v[12:15], v12 offset0:33 offset1:65
	s_waitcnt lgkmcnt(0)
	v_fma_f64 v[4:5], -v[10:11], v[14:15], v[4:5]
	v_fma_f64 v[12:13], -v[8:9], v[14:15], v[12:13]
	v_add_u32_e32 v8, 0x2110, v6
	ds_read2_b64 v[8:11], v8 offset1:255
	s_waitcnt lgkmcnt(0)
	v_fma_f64 v[4:5], -v[10:11], v[2:3], v[4:5]
	v_fma_f64 v[2:3], -v[8:9], v[2:3], v[12:13]
	ds_write_b64 v6, v[4:5] offset:256
	ds_write_b64 v6, v[2:3] offset:2312
.LBB125_20:
	s_or_b64 exec, exec, s[4:5]
	v_cmp_gt_u32_e64 s[0:1], 8, v0
	s_waitcnt lgkmcnt(0)
	s_barrier
	s_and_saveexec_b64 s[4:5], s[0:1]
	s_cbranch_execz .LBB125_22
; %bb.21:
	v_lshlrev_b32_e32 v6, 8, v0
	v_add_u32_e32 v8, 0x1090, v6
	v_add_u32_e32 v12, 0x800, v6
	ds_read2_b64 v[2:5], v6 offset1:16
	ds_read2_b64 v[8:11], v8 offset1:255
	ds_read2_b64 v[12:15], v12 offset0:17 offset1:33
	s_waitcnt lgkmcnt(0)
	v_fma_f64 v[4:5], -v[10:11], v[14:15], v[4:5]
	v_fma_f64 v[12:13], -v[8:9], v[14:15], v[12:13]
	v_add_u32_e32 v8, 0x2090, v6
	ds_read2_b64 v[8:11], v8 offset1:255
	s_waitcnt lgkmcnt(0)
	v_fma_f64 v[4:5], -v[10:11], v[2:3], v[4:5]
	v_fma_f64 v[2:3], -v[8:9], v[2:3], v[12:13]
	ds_write_b64 v6, v[4:5] offset:128
	ds_write_b64 v6, v[2:3] offset:2184
.LBB125_22:
	;; [unrolled: 24-line block ×5, first 2 shown]
	s_or_b64 exec, exec, s[4:5]
	s_movk_i32 s0, 0x80
	v_cmp_gt_u32_e64 s[0:1], s0, v0
	s_waitcnt lgkmcnt(0)
	s_barrier
	s_and_saveexec_b64 s[4:5], s[0:1]
	s_cbranch_execz .LBB125_30
; %bb.29:
	v_lshlrev_b32_e32 v0, 4, v0
	v_add_u32_e32 v6, 0x1018, v0
	ds_read_b128 v[2:5], v0
	ds_read_b128 v[8:11], v0 offset:2064
	ds_read2_b64 v[12:15], v6 offset1:255
	v_add_u32_e32 v6, 0x2018, v0
	s_waitcnt lgkmcnt(0)
	v_fma_f64 v[4:5], -v[14:15], v[10:11], v[4:5]
	v_fma_f64 v[12:13], -v[12:13], v[10:11], v[8:9]
	ds_read2_b64 v[8:11], v6 offset1:255
	s_waitcnt lgkmcnt(0)
	v_fma_f64 v[4:5], -v[10:11], v[2:3], v[4:5]
	v_fma_f64 v[2:3], -v[8:9], v[2:3], v[12:13]
	ds_write_b64 v0, v[4:5] offset:8
	ds_write_b64 v0, v[2:3] offset:2064
.LBB125_30:
	s_or_b64 exec, exec, s[4:5]
	s_waitcnt lgkmcnt(0)
	s_barrier
	s_and_saveexec_b64 s[0:1], vcc
	s_cbranch_execz .LBB125_32
; %bb.31:
	v_add_u32_e32 v0, 8, v7
	ds_read2st64_b64 v[3:6], v0 offset1:4
	v_ashrrev_i32_e32 v2, 31, v1
	v_lshlrev_b64 v[7:8], 3, v[1:2]
	v_mov_b32_e32 v2, s3
	v_mad_u64_u32 v[0:1], s[0:1], s14, 7, v[1:2]
	v_add_co_u32_e32 v1, vcc, s2, v7
	v_addc_co_u32_e32 v2, vcc, v2, v8, vcc
	s_waitcnt lgkmcnt(0)
	global_store_dwordx2 v[1:2], v[5:6], off
	v_mov_b32_e32 v1, 0
	v_lshlrev_b64 v[0:1], 3, v[0:1]
	v_mov_b32_e32 v2, s3
	v_add_co_u32_e32 v0, vcc, s2, v0
	v_addc_co_u32_e32 v1, vcc, v2, v1, vcc
	global_store_dwordx2 v[0:1], v[3:4], off
.LBB125_32:
	s_endpgm
	.section	.rodata,"a",@progbits
	.p2align	6, 0x0
	.amdhsa_kernel _ZN9rocsparseL33gtsv_solve_spike_propagate_kernelILj256ELj8EdEEviiiPT1_PKS1_S4_S4_
		.amdhsa_group_segment_fixed_size 12304
		.amdhsa_private_segment_fixed_size 0
		.amdhsa_kernarg_size 304
		.amdhsa_user_sgpr_count 6
		.amdhsa_user_sgpr_private_segment_buffer 1
		.amdhsa_user_sgpr_dispatch_ptr 0
		.amdhsa_user_sgpr_queue_ptr 0
		.amdhsa_user_sgpr_kernarg_segment_ptr 1
		.amdhsa_user_sgpr_dispatch_id 0
		.amdhsa_user_sgpr_flat_scratch_init 0
		.amdhsa_user_sgpr_private_segment_size 0
		.amdhsa_uses_dynamic_stack 0
		.amdhsa_system_sgpr_private_segment_wavefront_offset 0
		.amdhsa_system_sgpr_workgroup_id_x 1
		.amdhsa_system_sgpr_workgroup_id_y 1
		.amdhsa_system_sgpr_workgroup_id_z 0
		.amdhsa_system_sgpr_workgroup_info 0
		.amdhsa_system_vgpr_workitem_id 0
		.amdhsa_next_free_vgpr 41
		.amdhsa_next_free_sgpr 98
		.amdhsa_reserve_vcc 1
		.amdhsa_reserve_flat_scratch 0
		.amdhsa_float_round_mode_32 0
		.amdhsa_float_round_mode_16_64 0
		.amdhsa_float_denorm_mode_32 3
		.amdhsa_float_denorm_mode_16_64 3
		.amdhsa_dx10_clamp 1
		.amdhsa_ieee_mode 1
		.amdhsa_fp16_overflow 0
		.amdhsa_exception_fp_ieee_invalid_op 0
		.amdhsa_exception_fp_denorm_src 0
		.amdhsa_exception_fp_ieee_div_zero 0
		.amdhsa_exception_fp_ieee_overflow 0
		.amdhsa_exception_fp_ieee_underflow 0
		.amdhsa_exception_fp_ieee_inexact 0
		.amdhsa_exception_int_div_zero 0
	.end_amdhsa_kernel
	.section	.text._ZN9rocsparseL33gtsv_solve_spike_propagate_kernelILj256ELj8EdEEviiiPT1_PKS1_S4_S4_,"axG",@progbits,_ZN9rocsparseL33gtsv_solve_spike_propagate_kernelILj256ELj8EdEEviiiPT1_PKS1_S4_S4_,comdat
.Lfunc_end125:
	.size	_ZN9rocsparseL33gtsv_solve_spike_propagate_kernelILj256ELj8EdEEviiiPT1_PKS1_S4_S4_, .Lfunc_end125-_ZN9rocsparseL33gtsv_solve_spike_propagate_kernelILj256ELj8EdEEviiiPT1_PKS1_S4_S4_
                                        ; -- End function
	.set _ZN9rocsparseL33gtsv_solve_spike_propagate_kernelILj256ELj8EdEEviiiPT1_PKS1_S4_S4_.num_vgpr, 17
	.set _ZN9rocsparseL33gtsv_solve_spike_propagate_kernelILj256ELj8EdEEviiiPT1_PKS1_S4_S4_.num_agpr, 0
	.set _ZN9rocsparseL33gtsv_solve_spike_propagate_kernelILj256ELj8EdEEviiiPT1_PKS1_S4_S4_.numbered_sgpr, 18
	.set _ZN9rocsparseL33gtsv_solve_spike_propagate_kernelILj256ELj8EdEEviiiPT1_PKS1_S4_S4_.num_named_barrier, 0
	.set _ZN9rocsparseL33gtsv_solve_spike_propagate_kernelILj256ELj8EdEEviiiPT1_PKS1_S4_S4_.private_seg_size, 0
	.set _ZN9rocsparseL33gtsv_solve_spike_propagate_kernelILj256ELj8EdEEviiiPT1_PKS1_S4_S4_.uses_vcc, 1
	.set _ZN9rocsparseL33gtsv_solve_spike_propagate_kernelILj256ELj8EdEEviiiPT1_PKS1_S4_S4_.uses_flat_scratch, 0
	.set _ZN9rocsparseL33gtsv_solve_spike_propagate_kernelILj256ELj8EdEEviiiPT1_PKS1_S4_S4_.has_dyn_sized_stack, 0
	.set _ZN9rocsparseL33gtsv_solve_spike_propagate_kernelILj256ELj8EdEEviiiPT1_PKS1_S4_S4_.has_recursion, 0
	.set _ZN9rocsparseL33gtsv_solve_spike_propagate_kernelILj256ELj8EdEEviiiPT1_PKS1_S4_S4_.has_indirect_call, 0
	.section	.AMDGPU.csdata,"",@progbits
; Kernel info:
; codeLenInByte = 2036
; TotalNumSgprs: 22
; NumVgprs: 17
; ScratchSize: 0
; MemoryBound: 0
; FloatMode: 240
; IeeeMode: 1
; LDSByteSize: 12304 bytes/workgroup (compile time only)
; SGPRBlocks: 12
; VGPRBlocks: 10
; NumSGPRsForWavesPerEU: 102
; NumVGPRsForWavesPerEU: 41
; Occupancy: 5
; WaveLimiterHint : 0
; COMPUTE_PGM_RSRC2:SCRATCH_EN: 0
; COMPUTE_PGM_RSRC2:USER_SGPR: 6
; COMPUTE_PGM_RSRC2:TRAP_HANDLER: 0
; COMPUTE_PGM_RSRC2:TGID_X_EN: 1
; COMPUTE_PGM_RSRC2:TGID_Y_EN: 1
; COMPUTE_PGM_RSRC2:TGID_Z_EN: 0
; COMPUTE_PGM_RSRC2:TIDIG_COMP_CNT: 0
	.section	.text._ZN9rocsparseL39gtsv_spike_backward_substitution_kernelILj256ELj8EdEEviiiPT1_PKS1_S4_,"axG",@progbits,_ZN9rocsparseL39gtsv_spike_backward_substitution_kernelILj256ELj8EdEEviiiPT1_PKS1_S4_,comdat
	.globl	_ZN9rocsparseL39gtsv_spike_backward_substitution_kernelILj256ELj8EdEEviiiPT1_PKS1_S4_ ; -- Begin function _ZN9rocsparseL39gtsv_spike_backward_substitution_kernelILj256ELj8EdEEviiiPT1_PKS1_S4_
	.p2align	8
	.type	_ZN9rocsparseL39gtsv_spike_backward_substitution_kernelILj256ELj8EdEEviiiPT1_PKS1_S4_,@function
_ZN9rocsparseL39gtsv_spike_backward_substitution_kernelILj256ELj8EdEEviiiPT1_PKS1_S4_: ; @_ZN9rocsparseL39gtsv_spike_backward_substitution_kernelILj256ELj8EdEEviiiPT1_PKS1_S4_
; %bb.0:
	s_load_dword s11, s[4:5], 0x0
	v_lshl_or_b32 v5, s6, 8, v0
	s_waitcnt lgkmcnt(0)
	s_lshr_b32 s6, s11, 3
	v_cmp_gt_i32_e32 vcc, s6, v5
	s_and_saveexec_b64 s[0:1], vcc
	s_cbranch_execz .LBB126_6
; %bb.1:
	s_load_dwordx2 s[8:9], s[4:5], 0x10
	v_mov_b32_e32 v0, 0
	v_cmp_lt_i32_e32 vcc, 0, v5
	v_mov_b32_e32 v1, 0
	s_mul_i32 s10, s11, s7
	s_and_saveexec_b64 s[0:1], vcc
	s_cbranch_execz .LBB126_3
; %bb.2:
	s_mul_i32 s2, s6, 7
	s_mul_i32 s3, s11, s7
	s_add_i32 s2, s2, s3
	v_add3_u32 v0, v5, s2, -1
	v_mov_b32_e32 v1, 0
	v_lshlrev_b64 v[0:1], 3, v[0:1]
	s_waitcnt lgkmcnt(0)
	v_mov_b32_e32 v2, s9
	v_add_co_u32_e32 v0, vcc, s8, v0
	v_addc_co_u32_e32 v1, vcc, v2, v1, vcc
	global_load_dwordx2 v[0:1], v[0:1], off
.LBB126_3:
	s_or_b64 exec, exec, s[0:1]
	s_load_dwordx4 s[0:3], s[4:5], 0x18
	v_add_u32_e32 v2, 8, v5
	v_cmp_le_u32_e32 vcc, s11, v2
	s_and_saveexec_b64 s[4:5], vcc
	s_xor_b64 s[4:5], exec, s[4:5]
	s_or_saveexec_b64 s[4:5], s[4:5]
	v_mov_b32_e32 v2, 0
	v_mov_b32_e32 v3, 0
	;; [unrolled: 1-line block ×3, first 2 shown]
	s_xor_b64 exec, exec, s[4:5]
	s_cbranch_execz .LBB126_5
; %bb.4:
	s_ashr_i32 s7, s10, 31
	v_ashrrev_i32_e32 v3, 31, v5
	v_mov_b32_e32 v4, s7
	v_add_co_u32_e32 v2, vcc, s10, v5
	v_addc_co_u32_e32 v3, vcc, v3, v4, vcc
	v_lshlrev_b64 v[2:3], 3, v[2:3]
	s_waitcnt lgkmcnt(0)
	v_mov_b32_e32 v4, s9
	v_add_co_u32_e32 v2, vcc, s8, v2
	v_addc_co_u32_e32 v3, vcc, v4, v3, vcc
	global_load_dwordx2 v[2:3], v[2:3], off offset:8
	v_mov_b32_e32 v4, s10
.LBB126_5:
	s_or_b64 exec, exec, s[4:5]
	v_add_u32_e32 v5, s6, v5
	v_add_u32_e32 v6, v5, v4
	v_ashrrev_i32_e32 v7, 31, v6
	v_lshlrev_b64 v[6:7], 3, v[6:7]
	s_waitcnt lgkmcnt(0)
	v_mov_b32_e32 v9, s9
	v_add_co_u32_e32 v8, vcc, s8, v6
	v_ashrrev_i32_e32 v6, 31, v5
	v_addc_co_u32_e32 v9, vcc, v9, v7, vcc
	v_lshlrev_b64 v[6:7], 3, v[5:6]
	v_mov_b32_e32 v13, s1
	v_add_co_u32_e32 v12, vcc, s0, v6
	v_addc_co_u32_e32 v13, vcc, v13, v7, vcc
	global_load_dwordx2 v[10:11], v[8:9], off
	v_mov_b32_e32 v14, s3
	global_load_dwordx2 v[12:13], v[12:13], off
	v_add_co_u32_e32 v6, vcc, s2, v6
	v_addc_co_u32_e32 v7, vcc, v14, v7, vcc
	global_load_dwordx2 v[6:7], v[6:7], off
	v_mov_b32_e32 v19, s1
	v_mov_b32_e32 v18, s9
	s_waitcnt vmcnt(1)
	v_fma_f64 v[10:11], -v[0:1], v[12:13], v[10:11]
	v_add_u32_e32 v12, s6, v5
	v_ashrrev_i32_e32 v13, 31, v12
	v_add_u32_e32 v14, v12, v4
	v_lshlrev_b64 v[16:17], 3, v[12:13]
	v_ashrrev_i32_e32 v15, 31, v14
	v_lshlrev_b64 v[13:14], 3, v[14:15]
	s_waitcnt vmcnt(0)
	v_fma_f64 v[5:6], -v[2:3], v[6:7], v[10:11]
	v_add_co_u32_e32 v10, vcc, s0, v16
	v_addc_co_u32_e32 v11, vcc, v19, v17, vcc
	v_add_co_u32_e32 v13, vcc, s8, v13
	v_addc_co_u32_e32 v14, vcc, v18, v14, vcc
	global_store_dwordx2 v[8:9], v[5:6], off
	global_load_dwordx2 v[10:11], v[10:11], off
	v_mov_b32_e32 v8, s3
	global_load_dwordx2 v[5:6], v[13:14], off
	v_add_co_u32_e32 v7, vcc, s2, v16
	v_addc_co_u32_e32 v8, vcc, v8, v17, vcc
	global_load_dwordx2 v[7:8], v[7:8], off
	v_add_u32_e32 v9, s6, v12
	v_mov_b32_e32 v18, s1
	v_mov_b32_e32 v17, s9
	s_waitcnt vmcnt(1)
	v_fma_f64 v[5:6], -v[0:1], v[10:11], v[5:6]
	v_ashrrev_i32_e32 v10, 31, v9
	v_add_u32_e32 v11, v9, v4
	v_lshlrev_b64 v[15:16], 3, v[9:10]
	v_ashrrev_i32_e32 v12, 31, v11
	v_lshlrev_b64 v[10:11], 3, v[11:12]
	s_waitcnt vmcnt(0)
	v_fma_f64 v[5:6], -v[2:3], v[7:8], v[5:6]
	v_add_co_u32_e32 v7, vcc, s0, v15
	v_addc_co_u32_e32 v8, vcc, v18, v16, vcc
	v_add_co_u32_e32 v10, vcc, s8, v10
	v_addc_co_u32_e32 v11, vcc, v17, v11, vcc
	global_store_dwordx2 v[13:14], v[5:6], off
	global_load_dwordx2 v[7:8], v[7:8], off
	v_mov_b32_e32 v13, s3
	global_load_dwordx2 v[5:6], v[10:11], off
	v_add_co_u32_e32 v12, vcc, s2, v15
	v_addc_co_u32_e32 v13, vcc, v13, v16, vcc
	global_load_dwordx2 v[12:13], v[12:13], off
	v_mov_b32_e32 v17, s1
	v_mov_b32_e32 v16, s9
	;; [unrolled: 1-line block ×3, first 2 shown]
	s_waitcnt vmcnt(1)
	v_fma_f64 v[5:6], -v[0:1], v[7:8], v[5:6]
	v_add_u32_e32 v7, s6, v9
	v_ashrrev_i32_e32 v8, 31, v7
	v_add_u32_e32 v14, v7, v4
	v_lshlrev_b64 v[8:9], 3, v[7:8]
	v_ashrrev_i32_e32 v15, 31, v14
	v_lshlrev_b64 v[14:15], 3, v[14:15]
	s_waitcnt vmcnt(0)
	v_fma_f64 v[5:6], -v[2:3], v[12:13], v[5:6]
	v_add_co_u32_e32 v12, vcc, s0, v8
	v_addc_co_u32_e32 v13, vcc, v17, v9, vcc
	v_add_co_u32_e32 v14, vcc, s8, v14
	v_addc_co_u32_e32 v15, vcc, v16, v15, vcc
	global_store_dwordx2 v[10:11], v[5:6], off
	global_load_dwordx2 v[12:13], v[12:13], off
	v_mov_b32_e32 v10, s3
	global_load_dwordx2 v[5:6], v[14:15], off
	v_add_co_u32_e32 v8, vcc, s2, v8
	v_addc_co_u32_e32 v9, vcc, v10, v9, vcc
	global_load_dwordx2 v[8:9], v[8:9], off
	v_add_u32_e32 v10, s6, v7
	v_ashrrev_i32_e32 v11, 31, v10
	v_lshlrev_b64 v[16:17], 3, v[10:11]
	v_add_co_u32_e32 v7, vcc, s0, v16
	s_waitcnt vmcnt(1)
	v_fma_f64 v[5:6], -v[0:1], v[12:13], v[5:6]
	v_add_u32_e32 v12, v10, v4
	v_ashrrev_i32_e32 v13, 31, v12
	v_lshlrev_b64 v[11:12], 3, v[12:13]
	s_waitcnt vmcnt(0)
	v_fma_f64 v[5:6], -v[2:3], v[8:9], v[5:6]
	v_addc_co_u32_e32 v8, vcc, v19, v17, vcc
	v_add_co_u32_e32 v11, vcc, s8, v11
	v_addc_co_u32_e32 v12, vcc, v18, v12, vcc
	global_load_dwordx2 v[7:8], v[7:8], off
	v_mov_b32_e32 v9, s3
	global_store_dwordx2 v[14:15], v[5:6], off
	global_load_dwordx2 v[5:6], v[11:12], off
	v_add_co_u32_e32 v13, vcc, s2, v16
	v_addc_co_u32_e32 v14, vcc, v9, v17, vcc
	global_load_dwordx2 v[13:14], v[13:14], off
	v_mov_b32_e32 v16, s1
	v_mov_b32_e32 v15, s9
	s_waitcnt vmcnt(1)
	v_fma_f64 v[5:6], -v[0:1], v[7:8], v[5:6]
	v_add_u32_e32 v7, s6, v10
	v_add_u32_e32 v9, v7, v4
	v_ashrrev_i32_e32 v8, 31, v7
	v_lshlrev_b64 v[7:8], 3, v[7:8]
	v_ashrrev_i32_e32 v10, 31, v9
	v_lshlrev_b64 v[9:10], 3, v[9:10]
	s_waitcnt vmcnt(0)
	v_fma_f64 v[4:5], -v[2:3], v[13:14], v[5:6]
	v_add_co_u32_e32 v13, vcc, s0, v7
	v_addc_co_u32_e32 v14, vcc, v16, v8, vcc
	v_add_co_u32_e32 v9, vcc, s8, v9
	v_addc_co_u32_e32 v10, vcc, v15, v10, vcc
	global_store_dwordx2 v[11:12], v[4:5], off
	global_load_dwordx2 v[4:5], v[9:10], off
	s_nop 0
	global_load_dwordx2 v[11:12], v[13:14], off
	v_mov_b32_e32 v13, s3
	v_add_co_u32_e32 v6, vcc, s2, v7
	v_addc_co_u32_e32 v7, vcc, v13, v8, vcc
	global_load_dwordx2 v[6:7], v[6:7], off
	s_waitcnt vmcnt(1)
	v_fma_f64 v[0:1], -v[0:1], v[11:12], v[4:5]
	s_waitcnt vmcnt(0)
	v_fma_f64 v[0:1], -v[2:3], v[6:7], v[0:1]
	global_store_dwordx2 v[9:10], v[0:1], off
.LBB126_6:
	s_endpgm
	.section	.rodata,"a",@progbits
	.p2align	6, 0x0
	.amdhsa_kernel _ZN9rocsparseL39gtsv_spike_backward_substitution_kernelILj256ELj8EdEEviiiPT1_PKS1_S4_
		.amdhsa_group_segment_fixed_size 0
		.amdhsa_private_segment_fixed_size 0
		.amdhsa_kernarg_size 40
		.amdhsa_user_sgpr_count 6
		.amdhsa_user_sgpr_private_segment_buffer 1
		.amdhsa_user_sgpr_dispatch_ptr 0
		.amdhsa_user_sgpr_queue_ptr 0
		.amdhsa_user_sgpr_kernarg_segment_ptr 1
		.amdhsa_user_sgpr_dispatch_id 0
		.amdhsa_user_sgpr_flat_scratch_init 0
		.amdhsa_user_sgpr_private_segment_size 0
		.amdhsa_uses_dynamic_stack 0
		.amdhsa_system_sgpr_private_segment_wavefront_offset 0
		.amdhsa_system_sgpr_workgroup_id_x 1
		.amdhsa_system_sgpr_workgroup_id_y 1
		.amdhsa_system_sgpr_workgroup_id_z 0
		.amdhsa_system_sgpr_workgroup_info 0
		.amdhsa_system_vgpr_workitem_id 0
		.amdhsa_next_free_vgpr 20
		.amdhsa_next_free_sgpr 12
		.amdhsa_reserve_vcc 1
		.amdhsa_reserve_flat_scratch 0
		.amdhsa_float_round_mode_32 0
		.amdhsa_float_round_mode_16_64 0
		.amdhsa_float_denorm_mode_32 3
		.amdhsa_float_denorm_mode_16_64 3
		.amdhsa_dx10_clamp 1
		.amdhsa_ieee_mode 1
		.amdhsa_fp16_overflow 0
		.amdhsa_exception_fp_ieee_invalid_op 0
		.amdhsa_exception_fp_denorm_src 0
		.amdhsa_exception_fp_ieee_div_zero 0
		.amdhsa_exception_fp_ieee_overflow 0
		.amdhsa_exception_fp_ieee_underflow 0
		.amdhsa_exception_fp_ieee_inexact 0
		.amdhsa_exception_int_div_zero 0
	.end_amdhsa_kernel
	.section	.text._ZN9rocsparseL39gtsv_spike_backward_substitution_kernelILj256ELj8EdEEviiiPT1_PKS1_S4_,"axG",@progbits,_ZN9rocsparseL39gtsv_spike_backward_substitution_kernelILj256ELj8EdEEviiiPT1_PKS1_S4_,comdat
.Lfunc_end126:
	.size	_ZN9rocsparseL39gtsv_spike_backward_substitution_kernelILj256ELj8EdEEviiiPT1_PKS1_S4_, .Lfunc_end126-_ZN9rocsparseL39gtsv_spike_backward_substitution_kernelILj256ELj8EdEEviiiPT1_PKS1_S4_
                                        ; -- End function
	.set _ZN9rocsparseL39gtsv_spike_backward_substitution_kernelILj256ELj8EdEEviiiPT1_PKS1_S4_.num_vgpr, 20
	.set _ZN9rocsparseL39gtsv_spike_backward_substitution_kernelILj256ELj8EdEEviiiPT1_PKS1_S4_.num_agpr, 0
	.set _ZN9rocsparseL39gtsv_spike_backward_substitution_kernelILj256ELj8EdEEviiiPT1_PKS1_S4_.numbered_sgpr, 12
	.set _ZN9rocsparseL39gtsv_spike_backward_substitution_kernelILj256ELj8EdEEviiiPT1_PKS1_S4_.num_named_barrier, 0
	.set _ZN9rocsparseL39gtsv_spike_backward_substitution_kernelILj256ELj8EdEEviiiPT1_PKS1_S4_.private_seg_size, 0
	.set _ZN9rocsparseL39gtsv_spike_backward_substitution_kernelILj256ELj8EdEEviiiPT1_PKS1_S4_.uses_vcc, 1
	.set _ZN9rocsparseL39gtsv_spike_backward_substitution_kernelILj256ELj8EdEEviiiPT1_PKS1_S4_.uses_flat_scratch, 0
	.set _ZN9rocsparseL39gtsv_spike_backward_substitution_kernelILj256ELj8EdEEviiiPT1_PKS1_S4_.has_dyn_sized_stack, 0
	.set _ZN9rocsparseL39gtsv_spike_backward_substitution_kernelILj256ELj8EdEEviiiPT1_PKS1_S4_.has_recursion, 0
	.set _ZN9rocsparseL39gtsv_spike_backward_substitution_kernelILj256ELj8EdEEviiiPT1_PKS1_S4_.has_indirect_call, 0
	.section	.AMDGPU.csdata,"",@progbits
; Kernel info:
; codeLenInByte = 988
; TotalNumSgprs: 16
; NumVgprs: 20
; ScratchSize: 0
; MemoryBound: 0
; FloatMode: 240
; IeeeMode: 1
; LDSByteSize: 0 bytes/workgroup (compile time only)
; SGPRBlocks: 1
; VGPRBlocks: 4
; NumSGPRsForWavesPerEU: 16
; NumVGPRsForWavesPerEU: 20
; Occupancy: 10
; WaveLimiterHint : 0
; COMPUTE_PGM_RSRC2:SCRATCH_EN: 0
; COMPUTE_PGM_RSRC2:USER_SGPR: 6
; COMPUTE_PGM_RSRC2:TRAP_HANDLER: 0
; COMPUTE_PGM_RSRC2:TGID_X_EN: 1
; COMPUTE_PGM_RSRC2:TGID_Y_EN: 1
; COMPUTE_PGM_RSRC2:TGID_Z_EN: 0
; COMPUTE_PGM_RSRC2:TIDIG_COMP_CNT: 0
	.section	.text._ZN9rocsparseL32gtsv_transpose_back_array_kernelILj256ELj8EdEEviiiPKT1_PS1_,"axG",@progbits,_ZN9rocsparseL32gtsv_transpose_back_array_kernelILj256ELj8EdEEviiiPKT1_PS1_,comdat
	.globl	_ZN9rocsparseL32gtsv_transpose_back_array_kernelILj256ELj8EdEEviiiPKT1_PS1_ ; -- Begin function _ZN9rocsparseL32gtsv_transpose_back_array_kernelILj256ELj8EdEEviiiPKT1_PS1_
	.p2align	8
	.type	_ZN9rocsparseL32gtsv_transpose_back_array_kernelILj256ELj8EdEEviiiPKT1_PS1_,@function
_ZN9rocsparseL32gtsv_transpose_back_array_kernelILj256ELj8EdEEviiiPKT1_PS1_: ; @_ZN9rocsparseL32gtsv_transpose_back_array_kernelILj256ELj8EdEEviiiPKT1_PS1_
; %bb.0:
	s_load_dwordx4 s[0:3], s[4:5], 0x0
	v_lshl_or_b32 v0, s6, 8, v0
	v_lshlrev_b32_e32 v3, 3, v0
	s_waitcnt lgkmcnt(0)
	v_cvt_f32_u32_e32 v1, s1
	s_sub_i32 s3, 0, s1
	v_rcp_iflag_f32_e32 v1, v1
	v_mul_f32_e32 v1, 0x4f7ffffe, v1
	v_cvt_u32_f32_e32 v1, v1
	v_mul_lo_u32 v2, s3, v1
	v_mul_hi_u32 v2, v1, v2
	v_add_u32_e32 v1, v1, v2
	v_mul_hi_u32 v1, v3, v1
	v_mul_lo_u32 v2, v1, s1
	v_add_u32_e32 v4, 1, v1
	v_sub_u32_e32 v2, v3, v2
	v_cmp_le_u32_e32 vcc, s1, v2
	v_cndmask_b32_e32 v1, v1, v4, vcc
	v_subrev_u32_e32 v4, s1, v2
	v_cndmask_b32_e32 v2, v2, v4, vcc
	v_add_u32_e32 v4, 1, v1
	v_cmp_le_u32_e32 vcc, s1, v2
	v_cndmask_b32_e32 v1, v1, v4, vcc
	v_mul_lo_u32 v2, v1, s1
	v_sub_u32_e32 v2, v3, v2
	v_add_u32_e32 v1, v1, v2
	v_cmp_gt_i32_e32 vcc, s0, v1
	s_and_saveexec_b64 s[8:9], vcc
	s_cbranch_execz .LBB127_2
; %bb.1:
	s_load_dwordx4 s[8:11], s[4:5], 0x10
	s_mul_i32 s0, s1, s7
	v_add_u32_e32 v2, s0, v0
	v_ashrrev_i32_e32 v3, 31, v2
	v_lshlrev_b64 v[2:3], 3, v[2:3]
	s_waitcnt lgkmcnt(0)
	v_mov_b32_e32 v0, s9
	v_add_co_u32_e32 v2, vcc, s8, v2
	v_addc_co_u32_e32 v3, vcc, v0, v3, vcc
	global_load_dwordx2 v[2:3], v[2:3], off
	s_mul_i32 s0, s2, s7
	v_add_u32_e32 v0, s0, v1
	v_ashrrev_i32_e32 v1, 31, v0
	v_lshlrev_b64 v[0:1], 3, v[0:1]
	v_mov_b32_e32 v4, s11
	v_add_co_u32_e32 v0, vcc, s10, v0
	v_addc_co_u32_e32 v1, vcc, v4, v1, vcc
	s_waitcnt vmcnt(0)
	global_store_dwordx2 v[0:1], v[2:3], off
.LBB127_2:
	s_endpgm
	.section	.rodata,"a",@progbits
	.p2align	6, 0x0
	.amdhsa_kernel _ZN9rocsparseL32gtsv_transpose_back_array_kernelILj256ELj8EdEEviiiPKT1_PS1_
		.amdhsa_group_segment_fixed_size 0
		.amdhsa_private_segment_fixed_size 0
		.amdhsa_kernarg_size 32
		.amdhsa_user_sgpr_count 6
		.amdhsa_user_sgpr_private_segment_buffer 1
		.amdhsa_user_sgpr_dispatch_ptr 0
		.amdhsa_user_sgpr_queue_ptr 0
		.amdhsa_user_sgpr_kernarg_segment_ptr 1
		.amdhsa_user_sgpr_dispatch_id 0
		.amdhsa_user_sgpr_flat_scratch_init 0
		.amdhsa_user_sgpr_private_segment_size 0
		.amdhsa_uses_dynamic_stack 0
		.amdhsa_system_sgpr_private_segment_wavefront_offset 0
		.amdhsa_system_sgpr_workgroup_id_x 1
		.amdhsa_system_sgpr_workgroup_id_y 1
		.amdhsa_system_sgpr_workgroup_id_z 0
		.amdhsa_system_sgpr_workgroup_info 0
		.amdhsa_system_vgpr_workitem_id 0
		.amdhsa_next_free_vgpr 5
		.amdhsa_next_free_sgpr 12
		.amdhsa_reserve_vcc 1
		.amdhsa_reserve_flat_scratch 0
		.amdhsa_float_round_mode_32 0
		.amdhsa_float_round_mode_16_64 0
		.amdhsa_float_denorm_mode_32 3
		.amdhsa_float_denorm_mode_16_64 3
		.amdhsa_dx10_clamp 1
		.amdhsa_ieee_mode 1
		.amdhsa_fp16_overflow 0
		.amdhsa_exception_fp_ieee_invalid_op 0
		.amdhsa_exception_fp_denorm_src 0
		.amdhsa_exception_fp_ieee_div_zero 0
		.amdhsa_exception_fp_ieee_overflow 0
		.amdhsa_exception_fp_ieee_underflow 0
		.amdhsa_exception_fp_ieee_inexact 0
		.amdhsa_exception_int_div_zero 0
	.end_amdhsa_kernel
	.section	.text._ZN9rocsparseL32gtsv_transpose_back_array_kernelILj256ELj8EdEEviiiPKT1_PS1_,"axG",@progbits,_ZN9rocsparseL32gtsv_transpose_back_array_kernelILj256ELj8EdEEviiiPKT1_PS1_,comdat
.Lfunc_end127:
	.size	_ZN9rocsparseL32gtsv_transpose_back_array_kernelILj256ELj8EdEEviiiPKT1_PS1_, .Lfunc_end127-_ZN9rocsparseL32gtsv_transpose_back_array_kernelILj256ELj8EdEEviiiPKT1_PS1_
                                        ; -- End function
	.set _ZN9rocsparseL32gtsv_transpose_back_array_kernelILj256ELj8EdEEviiiPKT1_PS1_.num_vgpr, 5
	.set _ZN9rocsparseL32gtsv_transpose_back_array_kernelILj256ELj8EdEEviiiPKT1_PS1_.num_agpr, 0
	.set _ZN9rocsparseL32gtsv_transpose_back_array_kernelILj256ELj8EdEEviiiPKT1_PS1_.numbered_sgpr, 12
	.set _ZN9rocsparseL32gtsv_transpose_back_array_kernelILj256ELj8EdEEviiiPKT1_PS1_.num_named_barrier, 0
	.set _ZN9rocsparseL32gtsv_transpose_back_array_kernelILj256ELj8EdEEviiiPKT1_PS1_.private_seg_size, 0
	.set _ZN9rocsparseL32gtsv_transpose_back_array_kernelILj256ELj8EdEEviiiPKT1_PS1_.uses_vcc, 1
	.set _ZN9rocsparseL32gtsv_transpose_back_array_kernelILj256ELj8EdEEviiiPKT1_PS1_.uses_flat_scratch, 0
	.set _ZN9rocsparseL32gtsv_transpose_back_array_kernelILj256ELj8EdEEviiiPKT1_PS1_.has_dyn_sized_stack, 0
	.set _ZN9rocsparseL32gtsv_transpose_back_array_kernelILj256ELj8EdEEviiiPKT1_PS1_.has_recursion, 0
	.set _ZN9rocsparseL32gtsv_transpose_back_array_kernelILj256ELj8EdEEviiiPKT1_PS1_.has_indirect_call, 0
	.section	.AMDGPU.csdata,"",@progbits
; Kernel info:
; codeLenInByte = 248
; TotalNumSgprs: 16
; NumVgprs: 5
; ScratchSize: 0
; MemoryBound: 0
; FloatMode: 240
; IeeeMode: 1
; LDSByteSize: 0 bytes/workgroup (compile time only)
; SGPRBlocks: 1
; VGPRBlocks: 1
; NumSGPRsForWavesPerEU: 16
; NumVGPRsForWavesPerEU: 5
; Occupancy: 10
; WaveLimiterHint : 0
; COMPUTE_PGM_RSRC2:SCRATCH_EN: 0
; COMPUTE_PGM_RSRC2:USER_SGPR: 6
; COMPUTE_PGM_RSRC2:TRAP_HANDLER: 0
; COMPUTE_PGM_RSRC2:TGID_X_EN: 1
; COMPUTE_PGM_RSRC2:TGID_Y_EN: 1
; COMPUTE_PGM_RSRC2:TGID_Z_EN: 0
; COMPUTE_PGM_RSRC2:TIDIG_COMP_CNT: 0
	.section	.text._ZN9rocsparseL42gtsv_transpose_and_pad_array_shared_kernelILj256ELj16EdEEviiiPKT1_PS1_S1_,"axG",@progbits,_ZN9rocsparseL42gtsv_transpose_and_pad_array_shared_kernelILj256ELj16EdEEviiiPKT1_PS1_S1_,comdat
	.globl	_ZN9rocsparseL42gtsv_transpose_and_pad_array_shared_kernelILj256ELj16EdEEviiiPKT1_PS1_S1_ ; -- Begin function _ZN9rocsparseL42gtsv_transpose_and_pad_array_shared_kernelILj256ELj16EdEEviiiPKT1_PS1_S1_
	.p2align	8
	.type	_ZN9rocsparseL42gtsv_transpose_and_pad_array_shared_kernelILj256ELj16EdEEviiiPKT1_PS1_S1_,@function
_ZN9rocsparseL42gtsv_transpose_and_pad_array_shared_kernelILj256ELj16EdEEviiiPKT1_PS1_S1_: ; @_ZN9rocsparseL42gtsv_transpose_and_pad_array_shared_kernelILj256ELj16EdEEviiiPKT1_PS1_S1_
; %bb.0:
	s_load_dwordx4 s[0:3], s[4:5], 0x0
	s_load_dwordx2 s[8:9], s[4:5], 0x20
	v_lshl_or_b32 v3, s6, 8, v0
	s_waitcnt lgkmcnt(0)
	v_cmp_gt_i32_e32 vcc, s0, v3
	v_mov_b32_e32 v1, s8
	v_mov_b32_e32 v2, s9
	s_and_saveexec_b64 s[8:9], vcc
	s_cbranch_execz .LBB128_2
; %bb.1:
	s_load_dwordx2 s[10:11], s[4:5], 0x10
	s_mul_i32 s0, s2, s7
	v_add_u32_e32 v1, s0, v3
	v_ashrrev_i32_e32 v2, 31, v1
	v_lshlrev_b64 v[1:2], 3, v[1:2]
	s_waitcnt lgkmcnt(0)
	v_mov_b32_e32 v3, s11
	v_add_co_u32_e32 v1, vcc, s10, v1
	v_addc_co_u32_e32 v2, vcc, v3, v2, vcc
	global_load_dwordx2 v[1:2], v[1:2], off
.LBB128_2:
	s_or_b64 exec, exec, s[8:9]
	v_lshrrev_b32_e32 v3, 4, v0
	v_and_b32_e32 v4, 15, v0
	v_lshlrev_b32_e32 v0, 3, v0
	s_waitcnt vmcnt(0)
	ds_write_b64 v0, v[1:2]
	s_lshr_b32 s0, s1, 4
	v_lshl_or_b32 v0, s6, 4, v4
	v_mad_u64_u32 v[0:1], s[2:3], s0, v3, v[0:1]
	s_waitcnt lgkmcnt(0)
	s_barrier
	v_cmp_gt_i32_e32 vcc, s1, v0
	s_and_saveexec_b64 s[2:3], vcc
	s_cbranch_execz .LBB128_4
; %bb.3:
	s_load_dwordx2 s[2:3], s[4:5], 0x18
	v_lshlrev_b32_e32 v1, 3, v3
	s_mul_i32 s0, s1, s7
	v_lshl_or_b32 v1, v4, 7, v1
	v_add_u32_e32 v3, s0, v0
	ds_read_b64 v[1:2], v1
	v_ashrrev_i32_e32 v4, 31, v3
	v_lshlrev_b64 v[3:4], 3, v[3:4]
	s_waitcnt lgkmcnt(0)
	v_mov_b32_e32 v0, s3
	v_add_co_u32_e32 v3, vcc, s2, v3
	v_addc_co_u32_e32 v4, vcc, v0, v4, vcc
	global_store_dwordx2 v[3:4], v[1:2], off
.LBB128_4:
	s_endpgm
	.section	.rodata,"a",@progbits
	.p2align	6, 0x0
	.amdhsa_kernel _ZN9rocsparseL42gtsv_transpose_and_pad_array_shared_kernelILj256ELj16EdEEviiiPKT1_PS1_S1_
		.amdhsa_group_segment_fixed_size 2048
		.amdhsa_private_segment_fixed_size 0
		.amdhsa_kernarg_size 40
		.amdhsa_user_sgpr_count 6
		.amdhsa_user_sgpr_private_segment_buffer 1
		.amdhsa_user_sgpr_dispatch_ptr 0
		.amdhsa_user_sgpr_queue_ptr 0
		.amdhsa_user_sgpr_kernarg_segment_ptr 1
		.amdhsa_user_sgpr_dispatch_id 0
		.amdhsa_user_sgpr_flat_scratch_init 0
		.amdhsa_user_sgpr_private_segment_size 0
		.amdhsa_uses_dynamic_stack 0
		.amdhsa_system_sgpr_private_segment_wavefront_offset 0
		.amdhsa_system_sgpr_workgroup_id_x 1
		.amdhsa_system_sgpr_workgroup_id_y 1
		.amdhsa_system_sgpr_workgroup_id_z 0
		.amdhsa_system_sgpr_workgroup_info 0
		.amdhsa_system_vgpr_workitem_id 0
		.amdhsa_next_free_vgpr 5
		.amdhsa_next_free_sgpr 12
		.amdhsa_reserve_vcc 1
		.amdhsa_reserve_flat_scratch 0
		.amdhsa_float_round_mode_32 0
		.amdhsa_float_round_mode_16_64 0
		.amdhsa_float_denorm_mode_32 3
		.amdhsa_float_denorm_mode_16_64 3
		.amdhsa_dx10_clamp 1
		.amdhsa_ieee_mode 1
		.amdhsa_fp16_overflow 0
		.amdhsa_exception_fp_ieee_invalid_op 0
		.amdhsa_exception_fp_denorm_src 0
		.amdhsa_exception_fp_ieee_div_zero 0
		.amdhsa_exception_fp_ieee_overflow 0
		.amdhsa_exception_fp_ieee_underflow 0
		.amdhsa_exception_fp_ieee_inexact 0
		.amdhsa_exception_int_div_zero 0
	.end_amdhsa_kernel
	.section	.text._ZN9rocsparseL42gtsv_transpose_and_pad_array_shared_kernelILj256ELj16EdEEviiiPKT1_PS1_S1_,"axG",@progbits,_ZN9rocsparseL42gtsv_transpose_and_pad_array_shared_kernelILj256ELj16EdEEviiiPKT1_PS1_S1_,comdat
.Lfunc_end128:
	.size	_ZN9rocsparseL42gtsv_transpose_and_pad_array_shared_kernelILj256ELj16EdEEviiiPKT1_PS1_S1_, .Lfunc_end128-_ZN9rocsparseL42gtsv_transpose_and_pad_array_shared_kernelILj256ELj16EdEEviiiPKT1_PS1_S1_
                                        ; -- End function
	.set _ZN9rocsparseL42gtsv_transpose_and_pad_array_shared_kernelILj256ELj16EdEEviiiPKT1_PS1_S1_.num_vgpr, 5
	.set _ZN9rocsparseL42gtsv_transpose_and_pad_array_shared_kernelILj256ELj16EdEEviiiPKT1_PS1_S1_.num_agpr, 0
	.set _ZN9rocsparseL42gtsv_transpose_and_pad_array_shared_kernelILj256ELj16EdEEviiiPKT1_PS1_S1_.numbered_sgpr, 12
	.set _ZN9rocsparseL42gtsv_transpose_and_pad_array_shared_kernelILj256ELj16EdEEviiiPKT1_PS1_S1_.num_named_barrier, 0
	.set _ZN9rocsparseL42gtsv_transpose_and_pad_array_shared_kernelILj256ELj16EdEEviiiPKT1_PS1_S1_.private_seg_size, 0
	.set _ZN9rocsparseL42gtsv_transpose_and_pad_array_shared_kernelILj256ELj16EdEEviiiPKT1_PS1_S1_.uses_vcc, 1
	.set _ZN9rocsparseL42gtsv_transpose_and_pad_array_shared_kernelILj256ELj16EdEEviiiPKT1_PS1_S1_.uses_flat_scratch, 0
	.set _ZN9rocsparseL42gtsv_transpose_and_pad_array_shared_kernelILj256ELj16EdEEviiiPKT1_PS1_S1_.has_dyn_sized_stack, 0
	.set _ZN9rocsparseL42gtsv_transpose_and_pad_array_shared_kernelILj256ELj16EdEEviiiPKT1_PS1_S1_.has_recursion, 0
	.set _ZN9rocsparseL42gtsv_transpose_and_pad_array_shared_kernelILj256ELj16EdEEviiiPKT1_PS1_S1_.has_indirect_call, 0
	.section	.AMDGPU.csdata,"",@progbits
; Kernel info:
; codeLenInByte = 244
; TotalNumSgprs: 16
; NumVgprs: 5
; ScratchSize: 0
; MemoryBound: 0
; FloatMode: 240
; IeeeMode: 1
; LDSByteSize: 2048 bytes/workgroup (compile time only)
; SGPRBlocks: 1
; VGPRBlocks: 1
; NumSGPRsForWavesPerEU: 16
; NumVGPRsForWavesPerEU: 5
; Occupancy: 10
; WaveLimiterHint : 0
; COMPUTE_PGM_RSRC2:SCRATCH_EN: 0
; COMPUTE_PGM_RSRC2:USER_SGPR: 6
; COMPUTE_PGM_RSRC2:TRAP_HANDLER: 0
; COMPUTE_PGM_RSRC2:TGID_X_EN: 1
; COMPUTE_PGM_RSRC2:TGID_Y_EN: 1
; COMPUTE_PGM_RSRC2:TGID_Z_EN: 0
; COMPUTE_PGM_RSRC2:TIDIG_COMP_CNT: 0
	.section	.text._ZN9rocsparseL18gtsv_LBM_wv_kernelILj256ELj16EdEEviiiPKT1_S3_S3_PS1_S4_S4_Pi,"axG",@progbits,_ZN9rocsparseL18gtsv_LBM_wv_kernelILj256ELj16EdEEviiiPKT1_S3_S3_PS1_S4_S4_Pi,comdat
	.globl	_ZN9rocsparseL18gtsv_LBM_wv_kernelILj256ELj16EdEEviiiPKT1_S3_S3_PS1_S4_S4_Pi ; -- Begin function _ZN9rocsparseL18gtsv_LBM_wv_kernelILj256ELj16EdEEviiiPKT1_S3_S3_PS1_S4_S4_Pi
	.p2align	8
	.type	_ZN9rocsparseL18gtsv_LBM_wv_kernelILj256ELj16EdEEviiiPKT1_S3_S3_PS1_S4_S4_Pi,@function
_ZN9rocsparseL18gtsv_LBM_wv_kernelILj256ELj16EdEEviiiPKT1_S3_S3_PS1_S4_S4_Pi: ; @_ZN9rocsparseL18gtsv_LBM_wv_kernelILj256ELj16EdEEviiiPKT1_S3_S3_PS1_S4_S4_Pi
; %bb.0:
	s_load_dword s27, s[4:5], 0x0
	v_lshl_or_b32 v0, s6, 8, v0
	s_waitcnt lgkmcnt(0)
	s_lshr_b32 s26, s27, 4
	v_cmp_gt_i32_e32 vcc, s26, v0
	s_and_saveexec_b64 s[0:1], vcc
	s_cbranch_execz .LBB129_30
; %bb.1:
	s_load_dwordx2 s[16:17], s[4:5], 0x10
	s_load_dwordx8 s[8:15], s[4:5], 0x20
	v_ashrrev_i32_e32 v1, 31, v0
	v_lshlrev_b64 v[4:5], 3, v[0:1]
	s_mul_i32 s28, s26, 15
	s_waitcnt lgkmcnt(0)
	v_mov_b32_e32 v2, s17
	v_add_co_u32_e32 v1, vcc, s16, v4
	v_addc_co_u32_e32 v2, vcc, v2, v5, vcc
	global_load_dwordx2 v[6:7], v[1:2], off
	v_add_u32_e32 v2, s28, v0
	v_mov_b32_e32 v3, 0
	v_lshlrev_b64 v[8:9], 3, v[2:3]
	v_mov_b32_e32 v2, s9
	v_add_co_u32_e32 v1, vcc, s8, v8
	v_addc_co_u32_e32 v2, vcc, v2, v9, vcc
	global_load_dwordx2 v[10:11], v[1:2], off
	s_load_dwordx2 s[6:7], s[4:5], 0x40
	v_mov_b32_e32 v2, s11
	v_add_co_u32_e32 v1, vcc, s10, v4
	v_addc_co_u32_e32 v2, vcc, v2, v5, vcc
	s_cmp_lt_i32 s27, 1
	v_add_u32_e32 v39, s26, v0
	v_mov_b32_e32 v12, s13
	v_add_co_u32_e32 v8, vcc, s12, v8
	v_addc_co_u32_e32 v9, vcc, v12, v9, vcc
	s_waitcnt vmcnt(1)
	global_store_dwordx2 v[1:2], v[6:7], off
	s_waitcnt vmcnt(1)
	global_store_dwordx2 v[8:9], v[10:11], off
	s_cbranch_scc1 .LBB129_23
; %bb.2:
	s_load_dwordx2 s[18:19], s[4:5], 0x18
	s_mov_b32 s22, 0x372fe950
	s_mul_i32 s29, s26, 14
	s_lshl_b32 s30, s26, 1
	v_add_u32_e32 v40, s26, v39
	s_waitcnt lgkmcnt(0)
	v_mov_b32_e32 v6, s19
	v_add_co_u32_e32 v3, vcc, s18, v4
	v_addc_co_u32_e32 v4, vcc, v6, v5, vcc
	global_load_dwordx2 v[5:6], v[3:4], off
	v_mov_b32_e32 v3, 0
	s_mov_b64 s[20:21], 0
	s_mov_b32 s23, 0x3fe3c6ef
	v_mov_b32_e32 v41, 2
	v_mov_b32_e32 v42, 1
	;; [unrolled: 1-line block ×3, first 2 shown]
	s_branch .LBB129_5
.LBB129_3:                              ;   in Loop: Header=BB129_5 Depth=1
	s_or_b64 exec, exec, s[4:5]
	v_fma_f64 v[5:6], -v[4:5], v[21:22], v[9:10]
	v_mov_b32_e32 v4, s26
.LBB129_4:                              ;   in Loop: Header=BB129_5 Depth=1
	s_or_b64 exec, exec, s[2:3]
	v_add_u32_e32 v3, v4, v3
	v_cmp_le_i32_e32 vcc, s27, v3
	s_or_b64 s[20:21], vcc, s[20:21]
	s_andn2_b64 exec, exec, s[20:21]
	s_cbranch_execz .LBB129_22
.LBB129_5:                              ; =>This Inner Loop Header: Depth=1
	v_add_u32_e32 v13, v3, v0
	v_ashrrev_i32_e32 v14, 31, v13
	v_lshlrev_b64 v[11:12], 3, v[13:14]
	v_mov_b32_e32 v9, 0
	v_add_co_u32_e32 v7, vcc, s8, v11
	v_addc_co_u32_e32 v8, vcc, v43, v12, vcc
	global_load_dwordx2 v[15:16], v[7:8], off
	v_mov_b32_e32 v7, 0
	v_mov_b32_e32 v10, 0
	;; [unrolled: 1-line block ×3, first 2 shown]
	v_cmp_gt_u32_e64 s[0:1], s28, v3
	s_and_saveexec_b64 s[2:3], s[0:1]
	s_cbranch_execz .LBB129_7
; %bb.6:                                ;   in Loop: Header=BB129_5 Depth=1
	v_add_u32_e32 v7, v39, v3
	v_ashrrev_i32_e32 v8, 31, v7
	v_lshlrev_b64 v[7:8], 3, v[7:8]
	v_mov_b32_e32 v4, s17
	v_add_co_u32_e32 v7, vcc, s16, v7
	v_addc_co_u32_e32 v8, vcc, v4, v8, vcc
	global_load_dwordx2 v[7:8], v[7:8], off
.LBB129_7:                              ;   in Loop: Header=BB129_5 Depth=1
	s_or_b64 exec, exec, s[2:3]
	s_and_saveexec_b64 s[2:3], s[0:1]
	s_cbranch_execz .LBB129_9
; %bb.8:                                ;   in Loop: Header=BB129_5 Depth=1
	v_add_u32_e32 v9, v39, v3
	v_ashrrev_i32_e32 v10, 31, v9
	v_lshlrev_b64 v[9:10], 3, v[9:10]
	v_mov_b32_e32 v4, s19
	v_add_co_u32_e32 v9, vcc, s18, v9
	v_addc_co_u32_e32 v10, vcc, v4, v10, vcc
	global_load_dwordx2 v[9:10], v[9:10], off
.LBB129_9:                              ;   in Loop: Header=BB129_5 Depth=1
	s_or_b64 exec, exec, s[2:3]
	v_mov_b32_e32 v19, 0
	v_mov_b32_e32 v17, 0
	;; [unrolled: 1-line block ×4, first 2 shown]
	s_and_saveexec_b64 s[2:3], s[0:1]
	s_cbranch_execz .LBB129_11
; %bb.10:                               ;   in Loop: Header=BB129_5 Depth=1
	v_add_u32_e32 v17, v39, v3
	v_ashrrev_i32_e32 v18, 31, v17
	v_lshlrev_b64 v[17:18], 3, v[17:18]
	v_mov_b32_e32 v4, s9
	v_add_co_u32_e32 v17, vcc, s8, v17
	v_addc_co_u32_e32 v18, vcc, v4, v18, vcc
	global_load_dwordx2 v[17:18], v[17:18], off
.LBB129_11:                             ;   in Loop: Header=BB129_5 Depth=1
	s_or_b64 exec, exec, s[2:3]
	v_cmp_gt_u32_e64 s[2:3], s29, v3
	s_and_saveexec_b64 s[4:5], s[2:3]
	s_cbranch_execz .LBB129_13
; %bb.12:                               ;   in Loop: Header=BB129_5 Depth=1
	v_add_u32_e32 v19, v40, v3
	v_ashrrev_i32_e32 v20, 31, v19
	v_lshlrev_b64 v[19:20], 3, v[19:20]
	v_mov_b32_e32 v4, s17
	v_add_co_u32_e32 v19, vcc, s16, v19
	v_addc_co_u32_e32 v20, vcc, v4, v20, vcc
	global_load_dwordx2 v[19:20], v[19:20], off
.LBB129_13:                             ;   in Loop: Header=BB129_5 Depth=1
	s_or_b64 exec, exec, s[4:5]
	s_waitcnt vmcnt(0)
	v_cmp_gt_f64_e32 vcc, 0, v[7:8]
	v_xor_b32_e32 v4, 0x80000000, v8
	v_mov_b32_e32 v21, v7
	v_mov_b32_e32 v23, v19
	;; [unrolled: 1-line block ×3, first 2 shown]
	v_cmp_gt_f64_e64 s[4:5], 0, v[17:18]
	v_cndmask_b32_e32 v22, v8, v4, vcc
	v_cmp_gt_f64_e32 vcc, 0, v[19:20]
	v_xor_b32_e32 v4, 0x80000000, v20
	v_cndmask_b32_e32 v24, v20, v4, vcc
	v_cmp_lt_f64_e32 vcc, v[21:22], v[23:24]
	v_xor_b32_e32 v4, 0x80000000, v10
	v_mov_b32_e32 v23, v9
	v_cndmask_b32_e32 v22, v22, v24, vcc
	v_cndmask_b32_e32 v21, v7, v19, vcc
	v_cmp_gt_f64_e32 vcc, 0, v[9:10]
	v_cndmask_b32_e32 v24, v10, v4, vcc
	v_cmp_lt_f64_e32 vcc, v[23:24], v[21:22]
	v_xor_b32_e32 v4, 0x80000000, v16
	v_cndmask_b32_e32 v24, v24, v22, vcc
	v_cndmask_b32_e32 v23, v9, v21, vcc
	v_cmp_gt_f64_e32 vcc, 0, v[15:16]
	v_mul_f64 v[21:22], v[15:16], v[7:8]
	v_cndmask_b32_e32 v26, v16, v4, vcc
	v_cmp_lt_f64_e32 vcc, v[25:26], v[23:24]
	v_xor_b32_e32 v4, 0x80000000, v18
	v_cndmask_b32_e64 v25, v18, v4, s[4:5]
	v_cmp_gt_f64_e64 s[4:5], 0, v[5:6]
	v_xor_b32_e32 v4, 0x80000000, v6
	v_cndmask_b32_e32 v27, v26, v24, vcc
	v_cndmask_b32_e32 v26, v15, v23, vcc
	v_mov_b32_e32 v24, v17
	v_cmp_lt_f64_e32 vcc, v[24:25], v[26:27]
	v_mov_b32_e32 v23, v5
	v_cndmask_b32_e64 v24, v6, v4, s[4:5]
	v_xor_b32_e32 v4, 0x80000000, v22
	v_cmp_ne_u32_e64 s[4:5], s28, v3
	v_cndmask_b32_e32 v27, v25, v27, vcc
	v_cndmask_b32_e32 v26, v17, v26, vcc
	v_cmp_gt_f64_e32 vcc, 0, v[21:22]
	v_mul_f64 v[23:24], v[23:24], v[26:27]
	v_mov_b32_e32 v25, v21
	v_cndmask_b32_e32 v26, v22, v4, vcc
	v_mul_f64 v[25:26], v[25:26], s[22:23]
	v_cmp_nge_f64_e32 vcc, v[23:24], v[25:26]
	s_and_b64 s[4:5], s[4:5], vcc
	s_and_saveexec_b64 s[24:25], s[4:5]
	s_xor_b64 s[4:5], exec, s[24:25]
	s_cbranch_execz .LBB129_19
; %bb.14:                               ;   in Loop: Header=BB129_5 Depth=1
	v_fma_f64 v[27:28], v[5:6], v[9:10], -v[21:22]
	v_add_u32_e32 v21, v39, v3
	v_ashrrev_i32_e32 v22, 31, v21
	v_lshlrev_b64 v[29:30], 3, v[21:22]
	v_mov_b32_e32 v23, s11
	v_add_co_u32_e32 v31, vcc, s10, v29
	v_addc_co_u32_e32 v32, vcc, v23, v30, vcc
	v_div_scale_f64 v[44:45], s[24:25], v[27:28], v[27:28], 1.0
	v_mov_b32_e32 v24, s13
	v_add_co_u32_e32 v33, vcc, s12, v29
	v_addc_co_u32_e32 v34, vcc, v24, v30, vcc
	global_load_dwordx2 v[23:24], v[31:32], off
	global_load_dwordx2 v[35:36], v[33:34], off
	v_ashrrev_i32_e32 v4, 31, v3
	v_lshlrev_b64 v[25:26], 3, v[3:4]
	v_mov_b32_e32 v37, s13
	v_add_co_u32_e32 v48, vcc, v1, v25
	v_addc_co_u32_e32 v49, vcc, v2, v26, vcc
	v_add_co_u32_e32 v50, vcc, s12, v11
	v_rcp_f64_e32 v[46:47], v[44:45]
	global_load_dwordx2 v[25:26], v[48:49], off
	v_addc_co_u32_e32 v51, vcc, v37, v12, vcc
	global_load_dwordx2 v[37:38], v[50:51], off
	v_mov_b32_e32 v4, s15
	v_lshlrev_b64 v[13:14], 2, v[13:14]
	v_fma_f64 v[52:53], -v[44:45], v[46:47], 1.0
	v_fma_f64 v[46:47], v[46:47], v[52:53], v[46:47]
	v_div_scale_f64 v[52:53], vcc, 1.0, v[27:28], 1.0
	v_fma_f64 v[54:55], -v[44:45], v[46:47], 1.0
	v_fma_f64 v[46:47], v[46:47], v[54:55], v[46:47]
	v_mul_f64 v[54:55], v[52:53], v[46:47]
	v_fma_f64 v[44:45], -v[44:45], v[54:55], v[52:53]
	v_div_fmas_f64 v[44:45], v[44:45], v[46:47], v[54:55]
	v_add_co_u32_e32 v11, vcc, s14, v11
	v_addc_co_u32_e32 v12, vcc, v4, v12, vcc
	s_waitcnt vmcnt(3)
	v_mul_f64 v[46:47], v[15:16], v[23:24]
	s_waitcnt vmcnt(2)
	v_mul_f64 v[52:53], v[15:16], v[35:36]
	v_mul_f64 v[15:16], v[17:18], -v[15:16]
	v_add_co_u32_e32 v13, vcc, s6, v13
	v_div_fixup_f64 v[27:28], v[44:45], v[27:28], 1.0
	s_waitcnt vmcnt(1)
	v_fma_f64 v[46:47], v[9:10], v[25:26], -v[46:47]
	s_waitcnt vmcnt(0)
	v_fma_f64 v[9:10], v[9:10], v[37:38], -v[52:53]
	v_mov_b32_e32 v52, s7
	v_addc_co_u32_e32 v14, vcc, v52, v14, vcc
	v_mul_f64 v[15:16], v[27:28], v[15:16]
	v_mul_f64 v[44:45], v[27:28], v[46:47]
	;; [unrolled: 1-line block ×3, first 2 shown]
	global_store_dwordx2 v[48:49], v[44:45], off
	global_store_dwordx2 v[50:51], v[9:10], off
	;; [unrolled: 1-line block ×3, first 2 shown]
	global_store_dword v[13:14], v41, off
	s_and_saveexec_b64 s[24:25], s[0:1]
	s_cbranch_execz .LBB129_16
; %bb.15:                               ;   in Loop: Header=BB129_5 Depth=1
	v_mul_f64 v[9:10], v[7:8], v[25:26]
	v_mul_f64 v[11:12], v[7:8], v[37:38]
	;; [unrolled: 1-line block ×3, first 2 shown]
	v_mov_b32_e32 v4, s15
	v_lshlrev_b64 v[15:16], 2, v[21:22]
	v_add_co_u32_e32 v21, vcc, s14, v29
	v_addc_co_u32_e32 v22, vcc, v4, v30, vcc
	v_fma_f64 v[9:10], v[5:6], v[23:24], -v[9:10]
	v_fma_f64 v[11:12], v[5:6], v[35:36], -v[11:12]
	v_mul_f64 v[13:14], v[27:28], v[13:14]
	v_mov_b32_e32 v35, s7
	v_add_co_u32_e32 v15, vcc, s6, v15
	v_addc_co_u32_e32 v16, vcc, v35, v16, vcc
	v_mul_f64 v[9:10], v[27:28], v[9:10]
	v_mul_f64 v[11:12], v[27:28], v[11:12]
	global_store_dwordx2 v[21:22], v[13:14], off
	global_store_dwordx2 v[31:32], v[9:10], off
	;; [unrolled: 1-line block ×3, first 2 shown]
	global_store_dword v[15:16], v41, off
.LBB129_16:                             ;   in Loop: Header=BB129_5 Depth=1
	s_or_b64 exec, exec, s[24:25]
	v_mov_b32_e32 v9, 0
	v_mov_b32_e32 v10, 0
	s_and_saveexec_b64 s[24:25], s[2:3]
	s_cbranch_execz .LBB129_18
; %bb.17:                               ;   in Loop: Header=BB129_5 Depth=1
	v_add_u32_e32 v9, v40, v3
	v_ashrrev_i32_e32 v10, 31, v9
	v_lshlrev_b64 v[9:10], 3, v[9:10]
	v_mov_b32_e32 v4, s11
	v_add_co_u32_e32 v11, vcc, s10, v9
	v_addc_co_u32_e32 v12, vcc, v4, v10, vcc
	v_mov_b32_e32 v4, s19
	v_add_co_u32_e32 v9, vcc, s18, v9
	v_addc_co_u32_e32 v10, vcc, v4, v10, vcc
	global_load_dwordx2 v[13:14], v[11:12], off
	v_mul_f64 v[4:5], v[5:6], v[19:20]
	global_load_dwordx2 v[9:10], v[9:10], off
	v_mul_f64 v[6:7], v[19:20], v[7:8]
	v_mul_f64 v[15:16], v[27:28], v[4:5]
	;; [unrolled: 1-line block ×5, first 2 shown]
	v_fma_f64 v[6:7], v[6:7], v[25:26], -v[15:16]
	s_waitcnt vmcnt(1)
	v_add_f64 v[6:7], v[6:7], v[13:14]
	s_waitcnt vmcnt(0)
	v_fma_f64 v[9:10], -v[27:28], v[4:5], v[9:10]
	global_store_dwordx2 v[11:12], v[6:7], off
.LBB129_18:                             ;   in Loop: Header=BB129_5 Depth=1
	s_or_b64 exec, exec, s[24:25]
	v_mov_b32_e32 v5, v9
	v_mov_b32_e32 v6, v10
                                        ; implicit-def: $vgpr21_vgpr22
                                        ; implicit-def: $vgpr9_vgpr10
                                        ; implicit-def: $vgpr15_vgpr16
                                        ; implicit-def: $vgpr11_vgpr12
                                        ; implicit-def: $vgpr13_vgpr14
                                        ; implicit-def: $vgpr7_vgpr8
.LBB129_19:                             ;   in Loop: Header=BB129_5 Depth=1
	s_or_saveexec_b64 s[2:3], s[4:5]
	v_mov_b32_e32 v4, s30
	s_xor_b64 exec, exec, s[2:3]
	s_cbranch_execz .LBB129_4
; %bb.20:                               ;   in Loop: Header=BB129_5 Depth=1
	v_div_scale_f64 v[19:20], s[4:5], v[5:6], v[5:6], 1.0
	v_ashrrev_i32_e32 v4, 31, v3
	v_mov_b32_e32 v26, s13
	v_lshlrev_b64 v[17:18], 3, v[3:4]
	v_add_co_u32_e32 v25, vcc, s12, v11
	v_addc_co_u32_e32 v26, vcc, v26, v12, vcc
	v_add_co_u32_e32 v27, vcc, v1, v17
	v_addc_co_u32_e32 v28, vcc, v2, v18, vcc
	global_load_dwordx2 v[17:18], v[27:28], off
	global_load_dwordx2 v[29:30], v[25:26], off
	v_lshlrev_b64 v[13:14], 2, v[13:14]
	v_rcp_f64_e32 v[23:24], v[19:20]
	v_fma_f64 v[31:32], -v[19:20], v[23:24], 1.0
	v_fma_f64 v[23:24], v[23:24], v[31:32], v[23:24]
	v_div_scale_f64 v[31:32], vcc, 1.0, v[5:6], 1.0
	v_fma_f64 v[33:34], -v[19:20], v[23:24], 1.0
	v_fma_f64 v[23:24], v[23:24], v[33:34], v[23:24]
	v_mul_f64 v[33:34], v[31:32], v[23:24]
	v_fma_f64 v[19:20], -v[19:20], v[33:34], v[31:32]
	v_mov_b32_e32 v31, s7
	v_div_fmas_f64 v[19:20], v[19:20], v[23:24], v[33:34]
	v_add_co_u32_e32 v11, vcc, s14, v11
	v_div_fixup_f64 v[4:5], v[19:20], v[5:6], 1.0
	v_mov_b32_e32 v6, s15
	v_addc_co_u32_e32 v12, vcc, v6, v12, vcc
	v_add_co_u32_e32 v13, vcc, s6, v13
	v_addc_co_u32_e32 v14, vcc, v31, v14, vcc
	s_waitcnt vmcnt(1)
	v_mul_f64 v[19:20], v[4:5], v[17:18]
	s_waitcnt vmcnt(0)
	v_mul_f64 v[23:24], v[4:5], v[29:30]
	v_mul_f64 v[15:16], v[4:5], v[15:16]
	global_store_dwordx2 v[27:28], v[19:20], off
	global_store_dwordx2 v[25:26], v[23:24], off
	;; [unrolled: 1-line block ×3, first 2 shown]
	global_store_dword v[13:14], v42, off
	s_and_saveexec_b64 s[4:5], s[0:1]
	s_cbranch_execz .LBB129_3
; %bb.21:                               ;   in Loop: Header=BB129_5 Depth=1
	v_add_u32_e32 v11, v39, v3
	v_ashrrev_i32_e32 v12, 31, v11
	v_lshlrev_b64 v[11:12], 3, v[11:12]
	v_mov_b32_e32 v6, s11
	v_add_co_u32_e32 v11, vcc, s10, v11
	v_addc_co_u32_e32 v12, vcc, v6, v12, vcc
	global_load_dwordx2 v[13:14], v[11:12], off
	v_mul_f64 v[6:7], v[7:8], v[4:5]
	s_waitcnt vmcnt(0)
	v_fma_f64 v[6:7], -v[6:7], v[17:18], v[13:14]
	global_store_dwordx2 v[11:12], v[6:7], off
	s_branch .LBB129_3
.LBB129_22:
	s_or_b64 exec, exec, s[20:21]
.LBB129_23:
	v_subrev_u32_e32 v5, s26, v3
	v_add_u32_e32 v3, v5, v0
	v_ashrrev_i32_e32 v4, 31, v3
	v_lshlrev_b64 v[3:4], 2, v[3:4]
	s_waitcnt lgkmcnt(0)
	v_mov_b32_e32 v6, s7
	v_add_co_u32_e32 v3, vcc, s6, v3
	v_addc_co_u32_e32 v4, vcc, v6, v4, vcc
	s_waitcnt vmcnt(0)
	buffer_wbinvl1_vol
	global_load_dword v3, v[3:4], off
	s_waitcnt vmcnt(0)
	v_mul_lo_u32 v3, v3, s26
	v_sub_u32_e32 v3, v5, v3
	v_cmp_lt_i32_e32 vcc, -1, v3
	s_and_b64 exec, exec, vcc
	s_cbranch_execz .LBB129_30
; %bb.24:
	v_subrev_u32_e32 v9, s26, v0
	s_lshl_b32 s4, s26, 1
	s_mov_b64 s[0:1], 0
	v_mov_b32_e32 v10, s7
	v_mov_b32_e32 v11, s15
	s_branch .LBB129_26
.LBB129_25:                             ;   in Loop: Header=BB129_26 Depth=1
	s_or_b64 exec, exec, s[2:3]
	v_sub_u32_e32 v3, v3, v4
	v_cmp_gt_i32_e32 vcc, 0, v3
	s_or_b64 s[0:1], vcc, s[0:1]
	s_andn2_b64 exec, exec, s[0:1]
	s_cbranch_execz .LBB129_30
.LBB129_26:                             ; =>This Inner Loop Header: Depth=1
	v_add_u32_e32 v4, v3, v0
	s_waitcnt vmcnt(0)
	v_ashrrev_i32_e32 v5, 31, v4
	v_lshlrev_b64 v[6:7], 2, v[4:5]
	v_add_co_u32_e32 v6, vcc, s6, v6
	v_addc_co_u32_e32 v7, vcc, v10, v7, vcc
	global_load_dword v12, v[6:7], off
	v_lshlrev_b64 v[7:8], 3, v[4:5]
	v_add_co_u32_e32 v4, vcc, s14, v7
	v_addc_co_u32_e32 v5, vcc, v11, v8, vcc
	global_load_dwordx2 v[5:6], v[4:5], off
	s_waitcnt vmcnt(1)
	v_cmp_ne_u32_e32 vcc, 1, v12
	s_and_saveexec_b64 s[2:3], vcc
	s_xor_b64 s[2:3], exec, s[2:3]
	s_cbranch_execz .LBB129_28
; %bb.27:                               ;   in Loop: Header=BB129_26 Depth=1
	v_add_u32_e32 v12, v39, v3
	v_ashrrev_i32_e32 v13, 31, v12
	v_lshlrev_b64 v[12:13], 3, v[12:13]
	v_mov_b32_e32 v4, s11
	v_add_co_u32_e32 v14, vcc, s10, v12
	v_addc_co_u32_e32 v15, vcc, v4, v13, vcc
	v_ashrrev_i32_e32 v4, 31, v3
	v_lshlrev_b64 v[16:17], 3, v[3:4]
	v_mov_b32_e32 v4, s13
	v_add_co_u32_e32 v16, vcc, v1, v16
	v_addc_co_u32_e32 v17, vcc, v2, v17, vcc
	v_add_co_u32_e32 v12, vcc, s12, v12
	v_addc_co_u32_e32 v13, vcc, v4, v13, vcc
	global_load_dwordx2 v[18:19], v[14:15], off
	global_load_dwordx2 v[20:21], v[16:17], off
	v_add_co_u32_e32 v7, vcc, s12, v7
	v_addc_co_u32_e32 v8, vcc, v4, v8, vcc
	global_load_dwordx2 v[22:23], v[12:13], off
	global_load_dwordx2 v[24:25], v[7:8], off
	v_add_u32_e32 v26, v9, v3
	v_ashrrev_i32_e32 v27, 31, v26
	v_lshlrev_b64 v[26:27], 3, v[26:27]
	v_mov_b32_e32 v4, s15
	v_add_co_u32_e32 v28, vcc, s14, v26
	v_addc_co_u32_e32 v29, vcc, v4, v27, vcc
	v_mov_b32_e32 v30, s11
	v_mov_b32_e32 v31, s13
	s_waitcnt vmcnt(2)
	v_fma_f64 v[18:19], -v[5:6], v[18:19], v[20:21]
	v_add_co_u32_e32 v20, vcc, s10, v26
	v_addc_co_u32_e32 v21, vcc, v30, v27, vcc
	s_waitcnt vmcnt(0)
	v_fma_f64 v[4:5], -v[5:6], v[22:23], v[24:25]
	v_add_co_u32_e32 v22, vcc, s12, v26
	global_load_dwordx2 v[24:25], v[28:29], off
	s_nop 0
	global_store_dwordx2 v[16:17], v[18:19], off
	global_store_dwordx2 v[7:8], v[4:5], off
	v_addc_co_u32_e32 v23, vcc, v31, v27, vcc
	global_load_dwordx2 v[4:5], v[14:15], off
	global_load_dwordx2 v[6:7], v[20:21], off
	;; [unrolled: 1-line block ×4, first 2 shown]
	s_waitcnt vmcnt(2)
	v_fma_f64 v[4:5], -v[24:25], v[4:5], v[6:7]
	s_waitcnt vmcnt(0)
	v_fma_f64 v[6:7], -v[24:25], v[16:17], v[18:19]
	global_store_dwordx2 v[20:21], v[4:5], off
	global_store_dwordx2 v[22:23], v[6:7], off
                                        ; implicit-def: $vgpr5_vgpr6
                                        ; implicit-def: $vgpr7_vgpr8
.LBB129_28:                             ;   in Loop: Header=BB129_26 Depth=1
	s_or_saveexec_b64 s[2:3], s[2:3]
	v_mov_b32_e32 v4, s4
	s_xor_b64 exec, exec, s[2:3]
	s_cbranch_execz .LBB129_25
; %bb.29:                               ;   in Loop: Header=BB129_26 Depth=1
	v_add_u32_e32 v12, v39, v3
	v_ashrrev_i32_e32 v13, 31, v12
	v_lshlrev_b64 v[12:13], 3, v[12:13]
	v_mov_b32_e32 v4, s11
	v_add_co_u32_e32 v14, vcc, s10, v12
	v_addc_co_u32_e32 v15, vcc, v4, v13, vcc
	v_ashrrev_i32_e32 v4, 31, v3
	v_lshlrev_b64 v[16:17], 3, v[3:4]
	v_mov_b32_e32 v4, s13
	v_add_co_u32_e32 v16, vcc, v1, v16
	v_addc_co_u32_e32 v17, vcc, v2, v17, vcc
	v_add_co_u32_e32 v12, vcc, s12, v12
	v_addc_co_u32_e32 v13, vcc, v4, v13, vcc
	global_load_dwordx2 v[18:19], v[14:15], off
	global_load_dwordx2 v[20:21], v[16:17], off
	v_add_co_u32_e32 v7, vcc, s12, v7
	v_addc_co_u32_e32 v8, vcc, v4, v8, vcc
	global_load_dwordx2 v[14:15], v[12:13], off
	global_load_dwordx2 v[22:23], v[7:8], off
	s_waitcnt vmcnt(2)
	v_fma_f64 v[12:13], -v[5:6], v[18:19], v[20:21]
	s_waitcnt vmcnt(0)
	v_fma_f64 v[4:5], -v[5:6], v[14:15], v[22:23]
	global_store_dwordx2 v[16:17], v[12:13], off
	global_store_dwordx2 v[7:8], v[4:5], off
	v_mov_b32_e32 v4, s26
	s_branch .LBB129_25
.LBB129_30:
	s_endpgm
	.section	.rodata,"a",@progbits
	.p2align	6, 0x0
	.amdhsa_kernel _ZN9rocsparseL18gtsv_LBM_wv_kernelILj256ELj16EdEEviiiPKT1_S3_S3_PS1_S4_S4_Pi
		.amdhsa_group_segment_fixed_size 0
		.amdhsa_private_segment_fixed_size 0
		.amdhsa_kernarg_size 72
		.amdhsa_user_sgpr_count 6
		.amdhsa_user_sgpr_private_segment_buffer 1
		.amdhsa_user_sgpr_dispatch_ptr 0
		.amdhsa_user_sgpr_queue_ptr 0
		.amdhsa_user_sgpr_kernarg_segment_ptr 1
		.amdhsa_user_sgpr_dispatch_id 0
		.amdhsa_user_sgpr_flat_scratch_init 0
		.amdhsa_user_sgpr_private_segment_size 0
		.amdhsa_uses_dynamic_stack 0
		.amdhsa_system_sgpr_private_segment_wavefront_offset 0
		.amdhsa_system_sgpr_workgroup_id_x 1
		.amdhsa_system_sgpr_workgroup_id_y 0
		.amdhsa_system_sgpr_workgroup_id_z 0
		.amdhsa_system_sgpr_workgroup_info 0
		.amdhsa_system_vgpr_workitem_id 0
		.amdhsa_next_free_vgpr 56
		.amdhsa_next_free_sgpr 31
		.amdhsa_reserve_vcc 1
		.amdhsa_reserve_flat_scratch 0
		.amdhsa_float_round_mode_32 0
		.amdhsa_float_round_mode_16_64 0
		.amdhsa_float_denorm_mode_32 3
		.amdhsa_float_denorm_mode_16_64 3
		.amdhsa_dx10_clamp 1
		.amdhsa_ieee_mode 1
		.amdhsa_fp16_overflow 0
		.amdhsa_exception_fp_ieee_invalid_op 0
		.amdhsa_exception_fp_denorm_src 0
		.amdhsa_exception_fp_ieee_div_zero 0
		.amdhsa_exception_fp_ieee_overflow 0
		.amdhsa_exception_fp_ieee_underflow 0
		.amdhsa_exception_fp_ieee_inexact 0
		.amdhsa_exception_int_div_zero 0
	.end_amdhsa_kernel
	.section	.text._ZN9rocsparseL18gtsv_LBM_wv_kernelILj256ELj16EdEEviiiPKT1_S3_S3_PS1_S4_S4_Pi,"axG",@progbits,_ZN9rocsparseL18gtsv_LBM_wv_kernelILj256ELj16EdEEviiiPKT1_S3_S3_PS1_S4_S4_Pi,comdat
.Lfunc_end129:
	.size	_ZN9rocsparseL18gtsv_LBM_wv_kernelILj256ELj16EdEEviiiPKT1_S3_S3_PS1_S4_S4_Pi, .Lfunc_end129-_ZN9rocsparseL18gtsv_LBM_wv_kernelILj256ELj16EdEEviiiPKT1_S3_S3_PS1_S4_S4_Pi
                                        ; -- End function
	.set _ZN9rocsparseL18gtsv_LBM_wv_kernelILj256ELj16EdEEviiiPKT1_S3_S3_PS1_S4_S4_Pi.num_vgpr, 56
	.set _ZN9rocsparseL18gtsv_LBM_wv_kernelILj256ELj16EdEEviiiPKT1_S3_S3_PS1_S4_S4_Pi.num_agpr, 0
	.set _ZN9rocsparseL18gtsv_LBM_wv_kernelILj256ELj16EdEEviiiPKT1_S3_S3_PS1_S4_S4_Pi.numbered_sgpr, 31
	.set _ZN9rocsparseL18gtsv_LBM_wv_kernelILj256ELj16EdEEviiiPKT1_S3_S3_PS1_S4_S4_Pi.num_named_barrier, 0
	.set _ZN9rocsparseL18gtsv_LBM_wv_kernelILj256ELj16EdEEviiiPKT1_S3_S3_PS1_S4_S4_Pi.private_seg_size, 0
	.set _ZN9rocsparseL18gtsv_LBM_wv_kernelILj256ELj16EdEEviiiPKT1_S3_S3_PS1_S4_S4_Pi.uses_vcc, 1
	.set _ZN9rocsparseL18gtsv_LBM_wv_kernelILj256ELj16EdEEviiiPKT1_S3_S3_PS1_S4_S4_Pi.uses_flat_scratch, 0
	.set _ZN9rocsparseL18gtsv_LBM_wv_kernelILj256ELj16EdEEviiiPKT1_S3_S3_PS1_S4_S4_Pi.has_dyn_sized_stack, 0
	.set _ZN9rocsparseL18gtsv_LBM_wv_kernelILj256ELj16EdEEviiiPKT1_S3_S3_PS1_S4_S4_Pi.has_recursion, 0
	.set _ZN9rocsparseL18gtsv_LBM_wv_kernelILj256ELj16EdEEviiiPKT1_S3_S3_PS1_S4_S4_Pi.has_indirect_call, 0
	.section	.AMDGPU.csdata,"",@progbits
; Kernel info:
; codeLenInByte = 2484
; TotalNumSgprs: 35
; NumVgprs: 56
; ScratchSize: 0
; MemoryBound: 1
; FloatMode: 240
; IeeeMode: 1
; LDSByteSize: 0 bytes/workgroup (compile time only)
; SGPRBlocks: 4
; VGPRBlocks: 13
; NumSGPRsForWavesPerEU: 35
; NumVGPRsForWavesPerEU: 56
; Occupancy: 4
; WaveLimiterHint : 0
; COMPUTE_PGM_RSRC2:SCRATCH_EN: 0
; COMPUTE_PGM_RSRC2:USER_SGPR: 6
; COMPUTE_PGM_RSRC2:TRAP_HANDLER: 0
; COMPUTE_PGM_RSRC2:TGID_X_EN: 1
; COMPUTE_PGM_RSRC2:TGID_Y_EN: 0
; COMPUTE_PGM_RSRC2:TGID_Z_EN: 0
; COMPUTE_PGM_RSRC2:TIDIG_COMP_CNT: 0
	.section	.text._ZN9rocsparseL19gtsv_LBM_rhs_kernelILj256ELj16ELj8EdEEviiiPKT2_S3_S3_PS1_S3_PKi,"axG",@progbits,_ZN9rocsparseL19gtsv_LBM_rhs_kernelILj256ELj16ELj8EdEEviiiPKT2_S3_S3_PS1_S3_PKi,comdat
	.globl	_ZN9rocsparseL19gtsv_LBM_rhs_kernelILj256ELj16ELj8EdEEviiiPKT2_S3_S3_PS1_S3_PKi ; -- Begin function _ZN9rocsparseL19gtsv_LBM_rhs_kernelILj256ELj16ELj8EdEEviiiPKT2_S3_S3_PS1_S3_PKi
	.p2align	8
	.type	_ZN9rocsparseL19gtsv_LBM_rhs_kernelILj256ELj16ELj8EdEEviiiPKT2_S3_S3_PS1_S3_PKi,@function
_ZN9rocsparseL19gtsv_LBM_rhs_kernelILj256ELj16ELj8EdEEviiiPKT2_S3_S3_PS1_S3_PKi: ; @_ZN9rocsparseL19gtsv_LBM_rhs_kernelILj256ELj16ELj8EdEEviiiPKT2_S3_S3_PS1_S3_PKi
; %bb.0:
	s_load_dword s23, s[4:5], 0x0
	v_lshl_or_b32 v0, s6, 8, v0
	s_waitcnt lgkmcnt(0)
	s_lshr_b32 s22, s23, 4
	v_cmp_gt_i32_e32 vcc, s22, v0
	s_and_saveexec_b64 s[0:1], vcc
	s_cbranch_execz .LBB130_29
; %bb.1:
	s_load_dwordx4 s[8:11], s[4:5], 0x28
	s_load_dwordx2 s[16:17], s[4:5], 0x38
	s_cmp_lt_i32 s23, 1
	v_add_u32_e32 v71, s22, v0
	s_mul_i32 s24, s7, s23
	s_cbranch_scc1 .LBB130_21
; %bb.2:
	s_load_dwordx4 s[12:15], s[4:5], 0x10
	s_load_dwordx2 s[6:7], s[4:5], 0x20
	v_ashrrev_i32_e32 v1, 31, v0
	v_lshlrev_b64 v[1:2], 3, v[0:1]
	s_lshl_b32 s28, s24, 3
	s_waitcnt lgkmcnt(0)
	v_mov_b32_e32 v3, s15
	v_add_co_u32_e32 v1, vcc, s14, v1
	v_addc_co_u32_e32 v2, vcc, v3, v2, vcc
	global_load_dwordx2 v[7:8], v[1:2], off
	s_add_i32 s29, s28, s23
	s_add_i32 s30, s29, s23
	;; [unrolled: 1-line block ×6, first 2 shown]
	s_mul_i32 s25, s22, 15
	s_mul_i32 s26, s22, 14
	s_lshl_b32 s27, s22, 1
	v_add_u32_e32 v72, s22, v71
	s_add_i32 s36, s35, s23
	v_mov_b32_e32 v2, 0
	s_mov_b64 s[18:19], 0
	v_mov_b32_e32 v74, s7
	v_mov_b32_e32 v73, 0
	s_branch .LBB130_5
.LBB130_3:                              ;   in Loop: Header=BB130_5 Depth=1
	s_or_b64 exec, exec, s[4:5]
	v_fma_f64 v[7:8], -v[7:8], v[47:48], v[5:6]
	v_mov_b32_e32 v1, s22
.LBB130_4:                              ;   in Loop: Header=BB130_5 Depth=1
	s_or_b64 exec, exec, s[2:3]
	v_add_u32_e32 v73, v1, v73
	v_cmp_le_i32_e32 vcc, s23, v73
	s_or_b64 s[18:19], vcc, s[18:19]
	s_andn2_b64 exec, exec, s[18:19]
	s_cbranch_execz .LBB130_20
.LBB130_5:                              ; =>This Inner Loop Header: Depth=1
	v_add_u32_e32 v29, v73, v0
	v_ashrrev_i32_e32 v30, 31, v29
	v_lshlrev_b64 v[3:4], 3, v[29:30]
	v_mov_b32_e32 v5, 0
	v_add_co_u32_e32 v3, vcc, s6, v3
	v_addc_co_u32_e32 v4, vcc, v74, v4, vcc
	global_load_dwordx2 v[13:14], v[3:4], off
	v_mov_b32_e32 v3, 0
	v_mov_b32_e32 v6, 0
	;; [unrolled: 1-line block ×3, first 2 shown]
	v_cmp_gt_u32_e64 s[0:1], s25, v73
	s_and_saveexec_b64 s[2:3], s[0:1]
	s_cbranch_execz .LBB130_7
; %bb.6:                                ;   in Loop: Header=BB130_5 Depth=1
	v_add_u32_e32 v3, v71, v73
	v_ashrrev_i32_e32 v4, 31, v3
	v_lshlrev_b64 v[3:4], 3, v[3:4]
	v_mov_b32_e32 v1, s13
	v_add_co_u32_e32 v3, vcc, s12, v3
	v_addc_co_u32_e32 v4, vcc, v1, v4, vcc
	global_load_dwordx2 v[3:4], v[3:4], off
.LBB130_7:                              ;   in Loop: Header=BB130_5 Depth=1
	s_or_b64 exec, exec, s[2:3]
	s_and_saveexec_b64 s[2:3], s[0:1]
	s_cbranch_execz .LBB130_9
; %bb.8:                                ;   in Loop: Header=BB130_5 Depth=1
	v_add_u32_e32 v5, v71, v73
	v_ashrrev_i32_e32 v6, 31, v5
	v_lshlrev_b64 v[5:6], 3, v[5:6]
	v_mov_b32_e32 v1, s15
	v_add_co_u32_e32 v5, vcc, s14, v5
	v_addc_co_u32_e32 v6, vcc, v1, v6, vcc
	global_load_dwordx2 v[5:6], v[5:6], off
.LBB130_9:                              ;   in Loop: Header=BB130_5 Depth=1
	s_or_b64 exec, exec, s[2:3]
	v_mov_b32_e32 v11, 0
	v_mov_b32_e32 v9, 0
	;; [unrolled: 1-line block ×4, first 2 shown]
	s_and_saveexec_b64 s[2:3], s[0:1]
	s_cbranch_execz .LBB130_11
; %bb.10:                               ;   in Loop: Header=BB130_5 Depth=1
	v_add_u32_e32 v9, v71, v73
	v_ashrrev_i32_e32 v10, 31, v9
	v_lshlrev_b64 v[9:10], 3, v[9:10]
	v_mov_b32_e32 v1, s7
	v_add_co_u32_e32 v9, vcc, s6, v9
	v_addc_co_u32_e32 v10, vcc, v1, v10, vcc
	global_load_dwordx2 v[9:10], v[9:10], off
.LBB130_11:                             ;   in Loop: Header=BB130_5 Depth=1
	s_or_b64 exec, exec, s[2:3]
	v_cmp_gt_u32_e64 s[2:3], s26, v73
	s_and_saveexec_b64 s[4:5], s[2:3]
	s_cbranch_execz .LBB130_13
; %bb.12:                               ;   in Loop: Header=BB130_5 Depth=1
	v_add_u32_e32 v11, v72, v73
	v_ashrrev_i32_e32 v12, 31, v11
	v_lshlrev_b64 v[11:12], 3, v[11:12]
	v_mov_b32_e32 v1, s13
	v_add_co_u32_e32 v11, vcc, s12, v11
	v_addc_co_u32_e32 v12, vcc, v1, v12, vcc
	global_load_dwordx2 v[11:12], v[11:12], off
.LBB130_13:                             ;   in Loop: Header=BB130_5 Depth=1
	s_or_b64 exec, exec, s[4:5]
	v_lshlrev_b64 v[15:16], 2, v[29:30]
	v_mov_b32_e32 v1, s17
	v_add_co_u32_e32 v15, vcc, s16, v15
	v_addc_co_u32_e32 v16, vcc, v1, v16, vcc
	v_add_u32_e32 v1, s28, v29
	global_load_dword v49, v[15:16], off
	v_lshlrev_b64 v[15:16], 3, v[1:2]
	v_add_u32_e32 v1, s29, v29
	s_waitcnt vmcnt(4)
	v_mov_b32_e32 v39, s9
	v_add_co_u32_e32 v15, vcc, s8, v15
	v_lshlrev_b64 v[17:18], 3, v[1:2]
	v_addc_co_u32_e32 v16, vcc, v39, v16, vcc
	v_add_u32_e32 v1, s30, v29
	v_add_co_u32_e32 v17, vcc, s8, v17
	v_lshlrev_b64 v[19:20], 3, v[1:2]
	v_addc_co_u32_e32 v18, vcc, v39, v18, vcc
	v_add_u32_e32 v1, s31, v29
	;; [unrolled: 4-line block ×6, first 2 shown]
	v_add_co_u32_e32 v27, vcc, s8, v27
	v_lshlrev_b64 v[29:30], 3, v[1:2]
	v_addc_co_u32_e32 v28, vcc, v39, v28, vcc
	v_add_co_u32_e32 v29, vcc, s8, v29
	global_load_dwordx2 v[31:32], v[15:16], off
	global_load_dwordx2 v[33:34], v[17:18], off
	;; [unrolled: 1-line block ×4, first 2 shown]
	v_addc_co_u32_e32 v30, vcc, v39, v30, vcc
	global_load_dwordx2 v[43:44], v[23:24], off
	global_load_dwordx2 v[39:40], v[25:26], off
	;; [unrolled: 1-line block ×4, first 2 shown]
	s_waitcnt vmcnt(9)
	v_mul_f64 v[47:48], v[13:14], v[3:4]
	v_cmp_ne_u32_e64 s[4:5], s25, v73
	s_waitcnt vmcnt(8)
	v_cmp_ne_u32_e32 vcc, 1, v49
	s_and_b64 s[4:5], s[4:5], vcc
	s_and_saveexec_b64 s[20:21], s[4:5]
	s_xor_b64 s[4:5], exec, s[20:21]
	s_cbranch_execz .LBB130_17
; %bb.14:                               ;   in Loop: Header=BB130_5 Depth=1
	v_fma_f64 v[47:48], v[7:8], v[5:6], -v[47:48]
	v_add_u32_e32 v59, v71, v73
	v_add_u32_e32 v1, s28, v59
	v_lshlrev_b64 v[51:52], 3, v[1:2]
	v_add_u32_e32 v1, s29, v59
	v_mov_b32_e32 v65, s9
	v_lshlrev_b64 v[53:54], 3, v[1:2]
	v_add_co_u32_e32 v75, vcc, s8, v51
	v_div_scale_f64 v[49:50], s[20:21], v[47:48], v[47:48], 1.0
	v_add_u32_e32 v1, s30, v59
	v_addc_co_u32_e32 v76, vcc, v65, v52, vcc
	v_lshlrev_b64 v[51:52], 3, v[1:2]
	v_add_co_u32_e32 v77, vcc, s8, v53
	v_add_u32_e32 v1, s31, v59
	v_addc_co_u32_e32 v78, vcc, v65, v54, vcc
	v_lshlrev_b64 v[53:54], 3, v[1:2]
	v_add_co_u32_e32 v79, vcc, s8, v51
	v_add_u32_e32 v1, s33, v59
	v_addc_co_u32_e32 v80, vcc, v65, v52, vcc
	v_rcp_f64_e32 v[55:56], v[49:50]
	v_lshlrev_b64 v[51:52], 3, v[1:2]
	v_add_co_u32_e32 v81, vcc, s8, v53
	v_add_u32_e32 v1, s34, v59
	v_addc_co_u32_e32 v82, vcc, v65, v54, vcc
	v_lshlrev_b64 v[57:58], 3, v[1:2]
	v_add_co_u32_e32 v83, vcc, s8, v51
	v_add_u32_e32 v1, s35, v59
	v_addc_co_u32_e32 v84, vcc, v65, v52, vcc
	v_lshlrev_b64 v[53:54], 3, v[1:2]
	v_add_co_u32_e32 v89, vcc, s8, v57
	v_add_u32_e32 v1, s36, v59
	global_load_dwordx2 v[61:62], v[75:76], off
	global_load_dwordx2 v[63:64], v[77:78], off
	;; [unrolled: 1-line block ×4, first 2 shown]
	v_addc_co_u32_e32 v90, vcc, v65, v58, vcc
	v_lshlrev_b64 v[51:52], 3, v[1:2]
	v_add_co_u32_e32 v91, vcc, s8, v53
	global_load_dwordx2 v[93:94], v[83:84], off
	v_addc_co_u32_e32 v92, vcc, v65, v54, vcc
	v_add_co_u32_e32 v95, vcc, s8, v51
	v_addc_co_u32_e32 v96, vcc, v65, v52, vcc
	global_load_dwordx2 v[97:98], v[89:90], off
	global_load_dwordx2 v[99:100], v[91:92], off
	;; [unrolled: 1-line block ×3, first 2 shown]
	v_fma_f64 v[59:60], -v[49:50], v[55:56], 1.0
	v_div_scale_f64 v[53:54], vcc, 1.0, v[47:48], 1.0
	v_mov_b32_e32 v69, 0
	v_mov_b32_e32 v70, 0
	v_fma_f64 v[51:52], v[55:56], v[59:60], v[55:56]
	v_fma_f64 v[55:56], -v[49:50], v[51:52], 1.0
	v_fma_f64 v[51:52], v[51:52], v[55:56], v[51:52]
	v_mul_f64 v[55:56], v[53:54], v[51:52]
	v_fma_f64 v[49:50], -v[49:50], v[55:56], v[53:54]
	v_div_fmas_f64 v[49:50], v[49:50], v[51:52], v[55:56]
	v_div_fixup_f64 v[47:48], v[49:50], v[47:48], 1.0
	s_waitcnt vmcnt(7)
	v_mul_f64 v[67:68], v[47:48], v[61:62]
	s_waitcnt vmcnt(6)
	v_mul_f64 v[61:62], v[47:48], v[63:64]
	;; [unrolled: 2-line block ×5, first 2 shown]
	v_mul_f64 v[51:52], v[47:48], v[43:44]
	s_waitcnt vmcnt(2)
	v_mul_f64 v[43:44], v[47:48], v[97:98]
	v_mul_f64 v[57:58], v[47:48], v[35:36]
	s_waitcnt vmcnt(1)
	v_mul_f64 v[35:36], v[47:48], v[99:100]
	;; [unrolled: 3-line block ×3, first 2 shown]
	v_mul_f64 v[59:60], v[47:48], v[33:34]
	v_mul_f64 v[49:50], v[47:48], v[37:38]
	;; [unrolled: 1-line block ×21, first 2 shown]
	v_fma_f64 v[41:42], v[5:6], v[65:66], -v[41:42]
	v_fma_f64 v[45:46], v[5:6], v[59:60], -v[45:46]
	;; [unrolled: 1-line block ×16, first 2 shown]
	global_store_dwordx2 v[15:16], v[41:42], off
	global_store_dwordx2 v[17:18], v[45:46], off
	;; [unrolled: 1-line block ×16, first 2 shown]
	s_and_saveexec_b64 s[20:21], s[2:3]
	s_cbranch_execz .LBB130_16
; %bb.15:                               ;   in Loop: Header=BB130_5 Depth=1
	v_add_u32_e32 v5, v72, v73
	v_add_u32_e32 v1, s28, v5
	v_lshlrev_b64 v[13:14], 3, v[1:2]
	v_mov_b32_e32 v23, s9
	v_add_co_u32_e32 v13, vcc, s8, v13
	v_addc_co_u32_e32 v14, vcc, v23, v14, vcc
	global_load_dwordx2 v[15:16], v[13:14], off
	v_mul_f64 v[7:8], v[7:8], v[11:12]
	v_mul_f64 v[3:4], v[3:4], v[11:12]
	v_add_u32_e32 v1, s29, v5
	v_lshlrev_b64 v[17:18], 3, v[1:2]
	v_add_u32_e32 v1, s30, v5
	v_add_co_u32_e32 v17, vcc, s8, v17
	v_addc_co_u32_e32 v18, vcc, v23, v18, vcc
	v_mul_f64 v[11:12], v[7:8], v[67:68]
	global_load_dwordx2 v[19:20], v[17:18], off
	v_mul_f64 v[21:22], v[7:8], v[63:64]
	v_ashrrev_i32_e32 v6, 31, v5
	v_fma_f64 v[11:12], v[3:4], v[65:66], -v[11:12]
	s_waitcnt vmcnt(1)
	v_add_f64 v[11:12], v[11:12], v[15:16]
	v_lshlrev_b64 v[15:16], 3, v[1:2]
	v_add_u32_e32 v1, s31, v5
	v_add_co_u32_e32 v15, vcc, s8, v15
	v_addc_co_u32_e32 v16, vcc, v23, v16, vcc
	global_store_dwordx2 v[13:14], v[11:12], off
	global_load_dwordx2 v[11:12], v[15:16], off
	v_mul_f64 v[13:14], v[7:8], v[61:62]
	v_fma_f64 v[13:14], v[3:4], v[59:60], -v[13:14]
	s_waitcnt vmcnt(2)
	v_add_f64 v[13:14], v[13:14], v[19:20]
	v_fma_f64 v[19:20], v[3:4], v[57:58], -v[21:22]
	v_lshlrev_b64 v[21:22], 3, v[1:2]
	v_add_u32_e32 v1, s33, v5
	v_add_co_u32_e32 v21, vcc, s8, v21
	v_addc_co_u32_e32 v22, vcc, v23, v22, vcc
	global_store_dwordx2 v[17:18], v[13:14], off
	global_load_dwordx2 v[13:14], v[21:22], off
	v_lshlrev_b64 v[17:18], 3, v[1:2]
	v_add_u32_e32 v1, s34, v5
	v_add_co_u32_e32 v17, vcc, s8, v17
	v_addc_co_u32_e32 v18, vcc, v23, v18, vcc
	s_waitcnt vmcnt(2)
	v_add_f64 v[11:12], v[19:20], v[11:12]
	v_mul_f64 v[19:20], v[7:8], v[55:56]
	global_store_dwordx2 v[15:16], v[11:12], off
	global_load_dwordx2 v[11:12], v[17:18], off
	v_mul_f64 v[15:16], v[7:8], v[53:54]
	v_fma_f64 v[19:20], v[3:4], v[51:52], -v[19:20]
	v_fma_f64 v[15:16], v[3:4], v[49:50], -v[15:16]
	s_waitcnt vmcnt(2)
	v_add_f64 v[13:14], v[15:16], v[13:14]
	v_lshlrev_b64 v[15:16], 3, v[1:2]
	v_add_u32_e32 v1, s35, v5
	v_add_co_u32_e32 v15, vcc, s8, v15
	v_addc_co_u32_e32 v16, vcc, v23, v16, vcc
	s_waitcnt vmcnt(0)
	v_add_f64 v[11:12], v[19:20], v[11:12]
	global_store_dwordx2 v[21:22], v[13:14], off
	global_store_dwordx2 v[17:18], v[11:12], off
	global_load_dwordx2 v[11:12], v[15:16], off
	v_mul_f64 v[13:14], v[7:8], v[43:44]
	v_mov_b32_e32 v17, s15
	v_fma_f64 v[13:14], v[3:4], v[39:40], -v[13:14]
	s_waitcnt vmcnt(0)
	v_add_f64 v[11:12], v[13:14], v[11:12]
	v_lshlrev_b64 v[13:14], 3, v[1:2]
	v_add_u32_e32 v1, s36, v5
	v_add_co_u32_e32 v13, vcc, s8, v13
	v_addc_co_u32_e32 v14, vcc, v23, v14, vcc
	global_store_dwordx2 v[15:16], v[11:12], off
	global_load_dwordx2 v[11:12], v[13:14], off
	v_mul_f64 v[15:16], v[7:8], v[35:36]
	v_fma_f64 v[15:16], v[3:4], v[37:38], -v[15:16]
	s_waitcnt vmcnt(0)
	v_add_f64 v[11:12], v[15:16], v[11:12]
	v_lshlrev_b64 v[15:16], 3, v[5:6]
	v_lshlrev_b64 v[5:6], 3, v[1:2]
	v_add_co_u32_e32 v5, vcc, s8, v5
	v_addc_co_u32_e32 v6, vcc, v23, v6, vcc
	global_store_dwordx2 v[13:14], v[11:12], off
	v_add_co_u32_e32 v13, vcc, s14, v15
	v_addc_co_u32_e32 v14, vcc, v17, v16, vcc
	global_load_dwordx2 v[11:12], v[5:6], off
	v_mul_f64 v[15:16], v[7:8], v[31:32]
	global_load_dwordx2 v[13:14], v[13:14], off
	v_mul_f64 v[7:8], v[9:10], v[7:8]
	v_fma_f64 v[3:4], v[3:4], v[33:34], -v[15:16]
	s_waitcnt vmcnt(1)
	v_add_f64 v[3:4], v[3:4], v[11:12]
	s_waitcnt vmcnt(0)
	v_fma_f64 v[69:70], -v[47:48], v[7:8], v[13:14]
	global_store_dwordx2 v[5:6], v[3:4], off
.LBB130_16:                             ;   in Loop: Header=BB130_5 Depth=1
	s_or_b64 exec, exec, s[20:21]
	v_mov_b32_e32 v7, v69
	v_mov_b32_e32 v8, v70
                                        ; implicit-def: $vgpr3_vgpr4
                                        ; implicit-def: $vgpr5_vgpr6
                                        ; implicit-def: $vgpr47_vgpr48
                                        ; implicit-def: $vgpr15_vgpr16
                                        ; implicit-def: $vgpr31_vgpr32
                                        ; implicit-def: $vgpr17_vgpr18
                                        ; implicit-def: $vgpr33_vgpr34
                                        ; implicit-def: $vgpr19_vgpr20
                                        ; implicit-def: $vgpr35_vgpr36
                                        ; implicit-def: $vgpr21_vgpr22
                                        ; implicit-def: $vgpr37_vgpr38
                                        ; implicit-def: $vgpr23_vgpr24
                                        ; implicit-def: $vgpr43_vgpr44
                                        ; implicit-def: $vgpr25_vgpr26
                                        ; implicit-def: $vgpr39_vgpr40
                                        ; implicit-def: $vgpr27_vgpr28
                                        ; implicit-def: $vgpr41_vgpr42
                                        ; implicit-def: $vgpr29_vgpr30
                                        ; implicit-def: $vgpr45_vgpr46
.LBB130_17:                             ;   in Loop: Header=BB130_5 Depth=1
	s_or_saveexec_b64 s[2:3], s[4:5]
	v_mov_b32_e32 v1, s27
	s_xor_b64 exec, exec, s[2:3]
	s_cbranch_execz .LBB130_4
; %bb.18:                               ;   in Loop: Header=BB130_5 Depth=1
	v_div_scale_f64 v[9:10], s[4:5], v[7:8], v[7:8], 1.0
	v_rcp_f64_e32 v[11:12], v[9:10]
	v_fma_f64 v[13:14], -v[9:10], v[11:12], 1.0
	v_fma_f64 v[11:12], v[11:12], v[13:14], v[11:12]
	v_div_scale_f64 v[13:14], vcc, 1.0, v[7:8], 1.0
	v_fma_f64 v[49:50], -v[9:10], v[11:12], 1.0
	v_fma_f64 v[11:12], v[11:12], v[49:50], v[11:12]
	v_mul_f64 v[49:50], v[13:14], v[11:12]
	v_fma_f64 v[9:10], -v[9:10], v[49:50], v[13:14]
	v_div_fmas_f64 v[9:10], v[9:10], v[11:12], v[49:50]
	v_div_fixup_f64 v[7:8], v[9:10], v[7:8], 1.0
	s_waitcnt vmcnt(7)
	v_mul_f64 v[51:52], v[7:8], v[31:32]
	s_waitcnt vmcnt(6)
	v_mul_f64 v[49:50], v[7:8], v[33:34]
	;; [unrolled: 2-line block ×8, first 2 shown]
	global_store_dwordx2 v[15:16], v[51:52], off
	global_store_dwordx2 v[17:18], v[49:50], off
	;; [unrolled: 1-line block ×8, first 2 shown]
	s_and_saveexec_b64 s[4:5], s[0:1]
	s_cbranch_execz .LBB130_3
; %bb.19:                               ;   in Loop: Header=BB130_5 Depth=1
	v_add_u32_e32 v25, v71, v73
	v_add_u32_e32 v1, s28, v25
	v_lshlrev_b64 v[15:16], 3, v[1:2]
	v_mov_b32_e32 v26, s9
	v_add_co_u32_e32 v15, vcc, s8, v15
	v_addc_co_u32_e32 v16, vcc, v26, v16, vcc
	global_load_dwordx2 v[17:18], v[15:16], off
	v_add_u32_e32 v1, s29, v25
	v_lshlrev_b64 v[19:20], 3, v[1:2]
	v_add_u32_e32 v1, s30, v25
	v_add_co_u32_e32 v19, vcc, s8, v19
	v_addc_co_u32_e32 v20, vcc, v26, v20, vcc
	global_load_dwordx2 v[21:22], v[19:20], off
	v_lshlrev_b64 v[23:24], 3, v[1:2]
	v_add_u32_e32 v1, s31, v25
	v_add_co_u32_e32 v23, vcc, s8, v23
	v_addc_co_u32_e32 v24, vcc, v26, v24, vcc
	s_waitcnt vmcnt(1)
	v_fma_f64 v[17:18], -v[3:4], v[51:52], v[17:18]
	global_store_dwordx2 v[15:16], v[17:18], off
	global_load_dwordx2 v[15:16], v[23:24], off
	s_waitcnt vmcnt(2)
	v_fma_f64 v[17:18], -v[3:4], v[49:50], v[21:22]
	v_lshlrev_b64 v[21:22], 3, v[1:2]
	v_add_u32_e32 v1, s33, v25
	v_add_co_u32_e32 v21, vcc, s8, v21
	v_addc_co_u32_e32 v22, vcc, v26, v22, vcc
	global_store_dwordx2 v[19:20], v[17:18], off
	global_load_dwordx2 v[17:18], v[21:22], off
	v_lshlrev_b64 v[19:20], 3, v[1:2]
	v_add_u32_e32 v1, s34, v25
	v_add_co_u32_e32 v19, vcc, s8, v19
	v_addc_co_u32_e32 v20, vcc, v26, v20, vcc
	s_waitcnt vmcnt(2)
	v_fma_f64 v[15:16], -v[3:4], v[35:36], v[15:16]
	global_store_dwordx2 v[23:24], v[15:16], off
	global_load_dwordx2 v[15:16], v[19:20], off
	s_waitcnt vmcnt(2)
	v_fma_f64 v[17:18], -v[3:4], v[31:32], v[17:18]
	v_lshlrev_b64 v[23:24], 3, v[1:2]
	v_add_u32_e32 v1, s35, v25
	v_add_co_u32_e32 v23, vcc, s8, v23
	v_addc_co_u32_e32 v24, vcc, v26, v24, vcc
	s_waitcnt vmcnt(0)
	v_fma_f64 v[15:16], -v[3:4], v[33:34], v[15:16]
	global_store_dwordx2 v[21:22], v[17:18], off
	global_store_dwordx2 v[19:20], v[15:16], off
	global_load_dwordx2 v[15:16], v[23:24], off
	s_waitcnt vmcnt(0)
	v_fma_f64 v[13:14], -v[3:4], v[13:14], v[15:16]
	v_lshlrev_b64 v[15:16], 3, v[1:2]
	v_add_u32_e32 v1, s36, v25
	v_add_co_u32_e32 v15, vcc, s8, v15
	v_addc_co_u32_e32 v16, vcc, v26, v16, vcc
	global_store_dwordx2 v[23:24], v[13:14], off
	global_load_dwordx2 v[13:14], v[15:16], off
	s_waitcnt vmcnt(0)
	v_fma_f64 v[11:12], -v[3:4], v[11:12], v[13:14]
	v_lshlrev_b64 v[13:14], 3, v[1:2]
	global_store_dwordx2 v[15:16], v[11:12], off
	v_add_co_u32_e32 v11, vcc, s8, v13
	v_addc_co_u32_e32 v12, vcc, v26, v14, vcc
	global_load_dwordx2 v[13:14], v[11:12], off
	s_waitcnt vmcnt(0)
	v_fma_f64 v[3:4], -v[3:4], v[9:10], v[13:14]
	global_store_dwordx2 v[11:12], v[3:4], off
	s_branch .LBB130_3
.LBB130_20:
	s_or_b64 exec, exec, s[18:19]
	s_branch .LBB130_22
.LBB130_21:
	v_mov_b32_e32 v73, 0
.LBB130_22:
	v_subrev_u32_e32 v3, s22, v73
	v_add_u32_e32 v1, v3, v0
	v_ashrrev_i32_e32 v2, 31, v1
	v_lshlrev_b64 v[1:2], 2, v[1:2]
	s_waitcnt lgkmcnt(0)
	v_mov_b32_e32 v4, s17
	v_add_co_u32_e32 v1, vcc, s16, v1
	v_addc_co_u32_e32 v2, vcc, v4, v2, vcc
	s_waitcnt vmcnt(0)
	buffer_wbinvl1_vol
	global_load_dword v1, v[1:2], off
	s_waitcnt vmcnt(0)
	v_mul_lo_u32 v1, v1, s22
	v_sub_u32_e32 v7, v3, v1
	v_cmp_lt_i32_e32 vcc, -1, v7
	s_and_b64 exec, exec, vcc
	s_cbranch_execz .LBB130_29
; %bb.23:
	s_lshl_b32 s4, s24, 3
	s_add_i32 s5, s4, s23
	s_add_i32 s6, s5, s23
	;; [unrolled: 1-line block ×7, first 2 shown]
	s_lshl_b32 s18, s22, 1
	s_mov_b64 s[0:1], 0
	v_mov_b32_e32 v8, s17
	v_mov_b32_e32 v9, s11
	;; [unrolled: 1-line block ×3, first 2 shown]
	s_branch .LBB130_25
.LBB130_24:                             ;   in Loop: Header=BB130_25 Depth=1
	s_or_b64 exec, exec, s[2:3]
	v_sub_u32_e32 v7, v7, v1
	v_cmp_gt_i32_e32 vcc, 0, v7
	s_or_b64 s[0:1], vcc, s[0:1]
	s_andn2_b64 exec, exec, s[0:1]
	s_cbranch_execz .LBB130_29
.LBB130_25:                             ; =>This Inner Loop Header: Depth=1
	v_add_u32_e32 v5, v7, v0
	v_ashrrev_i32_e32 v6, 31, v5
	s_waitcnt vmcnt(0)
	v_lshlrev_b64 v[3:4], 2, v[5:6]
	v_add_co_u32_e32 v3, vcc, s16, v3
	v_addc_co_u32_e32 v4, vcc, v8, v4, vcc
	global_load_dword v1, v[3:4], off
	v_lshlrev_b64 v[3:4], 3, v[5:6]
	v_add_co_u32_e32 v3, vcc, s10, v3
	v_addc_co_u32_e32 v4, vcc, v9, v4, vcc
	global_load_dwordx2 v[3:4], v[3:4], off
	s_waitcnt vmcnt(1)
	v_cmp_ne_u32_e32 vcc, 1, v1
	s_and_saveexec_b64 s[2:3], vcc
	s_xor_b64 s[2:3], exec, s[2:3]
	s_cbranch_execz .LBB130_27
; %bb.26:                               ;   in Loop: Header=BB130_25 Depth=1
	v_add_u32_e32 v6, v71, v7
	v_add_u32_e32 v1, s4, v6
	v_lshlrev_b64 v[10:11], 3, v[1:2]
	v_mov_b32_e32 v1, s9
	v_add_co_u32_e32 v10, vcc, s8, v10
	v_addc_co_u32_e32 v11, vcc, v1, v11, vcc
	v_add_u32_e32 v1, s5, v6
	v_lshlrev_b64 v[12:13], 3, v[1:2]
	v_add_u32_e32 v1, s6, v6
	v_lshlrev_b64 v[14:15], 3, v[1:2]
	v_add_u32_e32 v1, s7, v6
	v_lshlrev_b64 v[16:17], 3, v[1:2]
	v_add_u32_e32 v1, s12, v6
	v_lshlrev_b64 v[18:19], 3, v[1:2]
	v_add_u32_e32 v1, s13, v6
	v_lshlrev_b64 v[20:21], 3, v[1:2]
	v_add_u32_e32 v1, s14, v6
	v_lshlrev_b64 v[22:23], 3, v[1:2]
	v_add_u32_e32 v1, s15, v6
	v_lshlrev_b64 v[24:25], 3, v[1:2]
	v_add_u32_e32 v1, s4, v5
	v_lshlrev_b64 v[26:27], 3, v[1:2]
	v_mov_b32_e32 v1, s9
	v_add_co_u32_e32 v26, vcc, s8, v26
	v_addc_co_u32_e32 v27, vcc, v1, v27, vcc
	global_load_dwordx2 v[10:11], v[10:11], off
	v_add_co_u32_e32 v12, vcc, s8, v12
	global_load_dwordx2 v[28:29], v[26:27], off
	v_addc_co_u32_e32 v13, vcc, v1, v13, vcc
	v_mov_b32_e32 v6, s9
	v_add_co_u32_e32 v14, vcc, s8, v14
	v_addc_co_u32_e32 v15, vcc, v6, v15, vcc
	v_mov_b32_e32 v30, s9
	v_add_co_u32_e32 v16, vcc, s8, v16
	v_addc_co_u32_e32 v17, vcc, v30, v17, vcc
	v_mov_b32_e32 v36, s9
	global_load_dwordx2 v[30:31], v[12:13], off
	global_load_dwordx2 v[32:33], v[14:15], off
	;; [unrolled: 1-line block ×3, first 2 shown]
	v_add_co_u32_e32 v12, vcc, s8, v18
	v_addc_co_u32_e32 v13, vcc, v36, v19, vcc
	v_mov_b32_e32 v37, s9
	v_add_co_u32_e32 v14, vcc, s8, v20
	v_addc_co_u32_e32 v15, vcc, v37, v21, vcc
	v_mov_b32_e32 v38, s9
	v_add_co_u32_e32 v16, vcc, s8, v22
	v_addc_co_u32_e32 v17, vcc, v38, v23, vcc
	v_add_u32_e32 v1, s5, v5
	v_mov_b32_e32 v39, s9
	v_add_co_u32_e32 v18, vcc, s8, v24
	v_lshlrev_b64 v[20:21], 3, v[1:2]
	v_addc_co_u32_e32 v19, vcc, v39, v25, vcc
	v_mov_b32_e32 v40, s9
	v_add_u32_e32 v1, s6, v5
	s_waitcnt vmcnt(3)
	v_fma_f64 v[22:23], -v[3:4], v[10:11], v[28:29]
	global_load_dwordx2 v[24:25], v[12:13], off
	global_load_dwordx2 v[28:29], v[14:15], off
	;; [unrolled: 1-line block ×4, first 2 shown]
	v_add_co_u32_e32 v12, vcc, s8, v20
	v_addc_co_u32_e32 v13, vcc, v40, v21, vcc
	v_lshlrev_b64 v[16:17], 3, v[1:2]
	v_add_u32_e32 v1, s7, v5
	global_store_dwordx2 v[26:27], v[22:23], off
	global_load_dwordx2 v[14:15], v[12:13], off
	v_add_co_u32_e32 v16, vcc, s8, v16
	v_addc_co_u32_e32 v17, vcc, v6, v17, vcc
	s_waitcnt vmcnt(0)
	v_fma_f64 v[14:15], -v[3:4], v[30:31], v[14:15]
	global_store_dwordx2 v[12:13], v[14:15], off
	global_load_dwordx2 v[12:13], v[16:17], off
	v_lshlrev_b64 v[14:15], 3, v[1:2]
	v_add_u32_e32 v1, s12, v5
	v_add_co_u32_e32 v14, vcc, s8, v14
	v_addc_co_u32_e32 v15, vcc, v6, v15, vcc
	s_waitcnt vmcnt(0)
	v_fma_f64 v[12:13], -v[3:4], v[32:33], v[12:13]
	global_store_dwordx2 v[16:17], v[12:13], off
	global_load_dwordx2 v[12:13], v[14:15], off
	v_lshlrev_b64 v[16:17], 3, v[1:2]
	v_add_u32_e32 v1, s13, v5
	;; [unrolled: 8-line block ×4, first 2 shown]
	v_add_co_u32_e32 v16, vcc, s8, v16
	v_addc_co_u32_e32 v17, vcc, v6, v17, vcc
	v_lshlrev_b64 v[5:6], 3, v[1:2]
	v_subrev_u32_e32 v1, s22, v7
	v_add_co_u32_e32 v5, vcc, s8, v5
	s_waitcnt vmcnt(0)
	v_fma_f64 v[12:13], -v[3:4], v[28:29], v[12:13]
	global_store_dwordx2 v[14:15], v[12:13], off
	global_load_dwordx2 v[12:13], v[16:17], off
	v_mov_b32_e32 v14, s9
	v_addc_co_u32_e32 v6, vcc, v14, v6, vcc
	v_add_u32_e32 v14, v1, v0
	v_ashrrev_i32_e32 v15, 31, v14
	v_add_u32_e32 v1, s4, v14
	s_waitcnt vmcnt(0)
	v_fma_f64 v[12:13], -v[3:4], v[36:37], v[12:13]
	global_store_dwordx2 v[16:17], v[12:13], off
	global_load_dwordx2 v[12:13], v[5:6], off
	v_lshlrev_b64 v[15:16], 3, v[14:15]
	v_mov_b32_e32 v17, s9
	v_add_co_u32_e32 v15, vcc, s10, v15
	v_addc_co_u32_e32 v16, vcc, v9, v16, vcc
	s_waitcnt vmcnt(0)
	v_fma_f64 v[3:4], -v[3:4], v[38:39], v[12:13]
	global_load_dwordx2 v[12:13], v[15:16], off
	v_lshlrev_b64 v[15:16], 3, v[1:2]
	v_add_u32_e32 v1, s5, v14
	v_add_co_u32_e32 v15, vcc, s8, v15
	v_addc_co_u32_e32 v16, vcc, v17, v16, vcc
	global_store_dwordx2 v[5:6], v[3:4], off
	global_load_dwordx2 v[3:4], v[15:16], off
	v_lshlrev_b64 v[5:6], 3, v[1:2]
	v_add_u32_e32 v1, s6, v14
	v_add_co_u32_e32 v5, vcc, s8, v5
	s_waitcnt vmcnt(0)
	v_fma_f64 v[3:4], -v[12:13], v[10:11], v[3:4]
	v_mov_b32_e32 v10, s9
	v_addc_co_u32_e32 v6, vcc, v10, v6, vcc
	v_lshlrev_b64 v[10:11], 3, v[1:2]
	v_add_u32_e32 v1, s7, v14
	v_add_co_u32_e32 v10, vcc, s8, v10
	global_store_dwordx2 v[15:16], v[3:4], off
	global_load_dwordx2 v[3:4], v[5:6], off
	v_mov_b32_e32 v15, s9
	v_addc_co_u32_e32 v11, vcc, v15, v11, vcc
	s_waitcnt vmcnt(0)
	v_fma_f64 v[3:4], -v[12:13], v[30:31], v[3:4]
	global_store_dwordx2 v[5:6], v[3:4], off
	global_load_dwordx2 v[3:4], v[10:11], off
	v_lshlrev_b64 v[5:6], 3, v[1:2]
	v_add_u32_e32 v1, s12, v14
	v_add_co_u32_e32 v5, vcc, s8, v5
	v_addc_co_u32_e32 v6, vcc, v15, v6, vcc
	s_waitcnt vmcnt(0)
	v_fma_f64 v[3:4], -v[12:13], v[32:33], v[3:4]
	global_store_dwordx2 v[10:11], v[3:4], off
	global_load_dwordx2 v[3:4], v[5:6], off
	v_lshlrev_b64 v[10:11], 3, v[1:2]
	v_add_u32_e32 v1, s13, v14
	v_add_co_u32_e32 v10, vcc, s8, v10
	;; [unrolled: 8-line block ×4, first 2 shown]
	v_addc_co_u32_e32 v11, vcc, v15, v11, vcc
	s_waitcnt vmcnt(0)
	v_fma_f64 v[3:4], -v[12:13], v[28:29], v[3:4]
	global_store_dwordx2 v[5:6], v[3:4], off
	global_load_dwordx2 v[3:4], v[10:11], off
	v_lshlrev_b64 v[5:6], 3, v[1:2]
	s_waitcnt vmcnt(0)
	v_fma_f64 v[3:4], -v[12:13], v[36:37], v[3:4]
	global_store_dwordx2 v[10:11], v[3:4], off
	v_add_co_u32_e32 v3, vcc, s8, v5
	v_addc_co_u32_e32 v4, vcc, v15, v6, vcc
	global_load_dwordx2 v[5:6], v[3:4], off
	s_waitcnt vmcnt(0)
	v_fma_f64 v[5:6], -v[12:13], v[38:39], v[5:6]
	global_store_dwordx2 v[3:4], v[5:6], off
                                        ; implicit-def: $vgpr5
                                        ; implicit-def: $vgpr3_vgpr4
.LBB130_27:                             ;   in Loop: Header=BB130_25 Depth=1
	s_or_saveexec_b64 s[2:3], s[2:3]
	v_mov_b32_e32 v1, s18
	s_xor_b64 exec, exec, s[2:3]
	s_cbranch_execz .LBB130_24
; %bb.28:                               ;   in Loop: Header=BB130_25 Depth=1
	v_add_u32_e32 v6, v71, v7
	v_add_u32_e32 v1, s4, v6
	v_lshlrev_b64 v[10:11], 3, v[1:2]
	v_mov_b32_e32 v1, s9
	v_add_co_u32_e32 v10, vcc, s8, v10
	v_addc_co_u32_e32 v11, vcc, v1, v11, vcc
	v_add_u32_e32 v1, s4, v5
	v_lshlrev_b64 v[12:13], 3, v[1:2]
	v_mov_b32_e32 v1, s9
	v_add_co_u32_e32 v12, vcc, s8, v12
	v_addc_co_u32_e32 v13, vcc, v1, v13, vcc
	global_load_dwordx2 v[14:15], v[10:11], off
	global_load_dwordx2 v[16:17], v[12:13], off
	v_add_u32_e32 v1, s5, v6
	v_lshlrev_b64 v[10:11], 3, v[1:2]
	v_add_u32_e32 v1, s5, v5
	v_mov_b32_e32 v20, s9
	v_lshlrev_b64 v[18:19], 3, v[1:2]
	v_add_co_u32_e32 v10, vcc, s8, v10
	v_addc_co_u32_e32 v11, vcc, v20, v11, vcc
	v_mov_b32_e32 v21, s9
	v_add_u32_e32 v1, s6, v6
	s_waitcnt vmcnt(0)
	v_fma_f64 v[14:15], -v[3:4], v[14:15], v[16:17]
	v_add_co_u32_e32 v16, vcc, s8, v18
	v_addc_co_u32_e32 v17, vcc, v21, v19, vcc
	global_store_dwordx2 v[12:13], v[14:15], off
	global_load_dwordx2 v[12:13], v[10:11], off
	s_nop 0
	global_load_dwordx2 v[14:15], v[16:17], off
	v_lshlrev_b64 v[10:11], 3, v[1:2]
	v_add_u32_e32 v1, s6, v5
	v_lshlrev_b64 v[18:19], 3, v[1:2]
	v_add_co_u32_e32 v10, vcc, s8, v10
	v_addc_co_u32_e32 v11, vcc, v20, v11, vcc
	v_add_u32_e32 v1, s7, v6
	s_waitcnt vmcnt(0)
	v_fma_f64 v[12:13], -v[3:4], v[12:13], v[14:15]
	v_add_co_u32_e32 v14, vcc, s8, v18
	v_addc_co_u32_e32 v15, vcc, v21, v19, vcc
	global_store_dwordx2 v[16:17], v[12:13], off
	global_load_dwordx2 v[12:13], v[10:11], off
	s_nop 0
	global_load_dwordx2 v[16:17], v[14:15], off
	v_lshlrev_b64 v[10:11], 3, v[1:2]
	v_add_u32_e32 v1, s7, v5
	v_lshlrev_b64 v[18:19], 3, v[1:2]
	v_add_co_u32_e32 v10, vcc, s8, v10
	v_addc_co_u32_e32 v11, vcc, v20, v11, vcc
	v_add_u32_e32 v1, s12, v6
	s_waitcnt vmcnt(0)
	v_fma_f64 v[12:13], -v[3:4], v[12:13], v[16:17]
	v_add_co_u32_e32 v16, vcc, s8, v18
	v_addc_co_u32_e32 v17, vcc, v21, v19, vcc
	global_store_dwordx2 v[14:15], v[12:13], off
	global_load_dwordx2 v[12:13], v[10:11], off
	s_nop 0
	global_load_dwordx2 v[14:15], v[16:17], off
	v_lshlrev_b64 v[10:11], 3, v[1:2]
	v_add_u32_e32 v1, s12, v5
	v_lshlrev_b64 v[18:19], 3, v[1:2]
	v_add_co_u32_e32 v10, vcc, s8, v10
	v_addc_co_u32_e32 v11, vcc, v20, v11, vcc
	v_add_u32_e32 v1, s13, v6
	s_waitcnt vmcnt(0)
	v_fma_f64 v[12:13], -v[3:4], v[12:13], v[14:15]
	v_add_co_u32_e32 v14, vcc, s8, v18
	v_addc_co_u32_e32 v15, vcc, v21, v19, vcc
	global_store_dwordx2 v[16:17], v[12:13], off
	global_load_dwordx2 v[12:13], v[10:11], off
	s_nop 0
	global_load_dwordx2 v[16:17], v[14:15], off
	v_lshlrev_b64 v[10:11], 3, v[1:2]
	v_add_u32_e32 v1, s13, v5
	v_lshlrev_b64 v[18:19], 3, v[1:2]
	v_add_co_u32_e32 v10, vcc, s8, v10
	v_addc_co_u32_e32 v11, vcc, v20, v11, vcc
	v_add_u32_e32 v1, s14, v6
	s_waitcnt vmcnt(0)
	v_fma_f64 v[12:13], -v[3:4], v[12:13], v[16:17]
	v_add_co_u32_e32 v16, vcc, s8, v18
	v_addc_co_u32_e32 v17, vcc, v21, v19, vcc
	global_store_dwordx2 v[14:15], v[12:13], off
	global_load_dwordx2 v[12:13], v[10:11], off
	s_nop 0
	global_load_dwordx2 v[14:15], v[16:17], off
	v_lshlrev_b64 v[10:11], 3, v[1:2]
	v_add_u32_e32 v1, s14, v5
	v_lshlrev_b64 v[18:19], 3, v[1:2]
	v_add_co_u32_e32 v10, vcc, s8, v10
	v_addc_co_u32_e32 v11, vcc, v20, v11, vcc
	v_add_u32_e32 v1, s15, v6
	s_waitcnt vmcnt(0)
	v_fma_f64 v[12:13], -v[3:4], v[12:13], v[14:15]
	v_add_co_u32_e32 v14, vcc, s8, v18
	v_addc_co_u32_e32 v15, vcc, v21, v19, vcc
	v_mov_b32_e32 v18, s9
	v_mov_b32_e32 v19, s9
	global_store_dwordx2 v[16:17], v[12:13], off
	global_load_dwordx2 v[12:13], v[10:11], off
	s_nop 0
	global_load_dwordx2 v[16:17], v[14:15], off
	v_lshlrev_b64 v[10:11], 3, v[1:2]
	v_add_u32_e32 v1, s15, v5
	v_lshlrev_b64 v[5:6], 3, v[1:2]
	v_add_co_u32_e32 v10, vcc, s8, v10
	v_addc_co_u32_e32 v11, vcc, v18, v11, vcc
	v_add_co_u32_e32 v5, vcc, s8, v5
	v_addc_co_u32_e32 v6, vcc, v19, v6, vcc
	v_mov_b32_e32 v1, s22
	s_waitcnt vmcnt(0)
	v_fma_f64 v[12:13], -v[3:4], v[12:13], v[16:17]
	global_store_dwordx2 v[14:15], v[12:13], off
	global_load_dwordx2 v[12:13], v[10:11], off
	s_nop 0
	global_load_dwordx2 v[14:15], v[5:6], off
	s_waitcnt vmcnt(0)
	v_fma_f64 v[3:4], -v[3:4], v[12:13], v[14:15]
	global_store_dwordx2 v[5:6], v[3:4], off
	s_branch .LBB130_24
.LBB130_29:
	s_endpgm
	.section	.rodata,"a",@progbits
	.p2align	6, 0x0
	.amdhsa_kernel _ZN9rocsparseL19gtsv_LBM_rhs_kernelILj256ELj16ELj8EdEEviiiPKT2_S3_S3_PS1_S3_PKi
		.amdhsa_group_segment_fixed_size 0
		.amdhsa_private_segment_fixed_size 0
		.amdhsa_kernarg_size 64
		.amdhsa_user_sgpr_count 6
		.amdhsa_user_sgpr_private_segment_buffer 1
		.amdhsa_user_sgpr_dispatch_ptr 0
		.amdhsa_user_sgpr_queue_ptr 0
		.amdhsa_user_sgpr_kernarg_segment_ptr 1
		.amdhsa_user_sgpr_dispatch_id 0
		.amdhsa_user_sgpr_flat_scratch_init 0
		.amdhsa_user_sgpr_private_segment_size 0
		.amdhsa_uses_dynamic_stack 0
		.amdhsa_system_sgpr_private_segment_wavefront_offset 0
		.amdhsa_system_sgpr_workgroup_id_x 1
		.amdhsa_system_sgpr_workgroup_id_y 1
		.amdhsa_system_sgpr_workgroup_id_z 0
		.amdhsa_system_sgpr_workgroup_info 0
		.amdhsa_system_vgpr_workitem_id 0
		.amdhsa_next_free_vgpr 117
		.amdhsa_next_free_sgpr 37
		.amdhsa_reserve_vcc 1
		.amdhsa_reserve_flat_scratch 0
		.amdhsa_float_round_mode_32 0
		.amdhsa_float_round_mode_16_64 0
		.amdhsa_float_denorm_mode_32 3
		.amdhsa_float_denorm_mode_16_64 3
		.amdhsa_dx10_clamp 1
		.amdhsa_ieee_mode 1
		.amdhsa_fp16_overflow 0
		.amdhsa_exception_fp_ieee_invalid_op 0
		.amdhsa_exception_fp_denorm_src 0
		.amdhsa_exception_fp_ieee_div_zero 0
		.amdhsa_exception_fp_ieee_overflow 0
		.amdhsa_exception_fp_ieee_underflow 0
		.amdhsa_exception_fp_ieee_inexact 0
		.amdhsa_exception_int_div_zero 0
	.end_amdhsa_kernel
	.section	.text._ZN9rocsparseL19gtsv_LBM_rhs_kernelILj256ELj16ELj8EdEEviiiPKT2_S3_S3_PS1_S3_PKi,"axG",@progbits,_ZN9rocsparseL19gtsv_LBM_rhs_kernelILj256ELj16ELj8EdEEviiiPKT2_S3_S3_PS1_S3_PKi,comdat
.Lfunc_end130:
	.size	_ZN9rocsparseL19gtsv_LBM_rhs_kernelILj256ELj16ELj8EdEEviiiPKT2_S3_S3_PS1_S3_PKi, .Lfunc_end130-_ZN9rocsparseL19gtsv_LBM_rhs_kernelILj256ELj16ELj8EdEEviiiPKT2_S3_S3_PS1_S3_PKi
                                        ; -- End function
	.set _ZN9rocsparseL19gtsv_LBM_rhs_kernelILj256ELj16ELj8EdEEviiiPKT2_S3_S3_PS1_S3_PKi.num_vgpr, 117
	.set _ZN9rocsparseL19gtsv_LBM_rhs_kernelILj256ELj16ELj8EdEEviiiPKT2_S3_S3_PS1_S3_PKi.num_agpr, 0
	.set _ZN9rocsparseL19gtsv_LBM_rhs_kernelILj256ELj16ELj8EdEEviiiPKT2_S3_S3_PS1_S3_PKi.numbered_sgpr, 37
	.set _ZN9rocsparseL19gtsv_LBM_rhs_kernelILj256ELj16ELj8EdEEviiiPKT2_S3_S3_PS1_S3_PKi.num_named_barrier, 0
	.set _ZN9rocsparseL19gtsv_LBM_rhs_kernelILj256ELj16ELj8EdEEviiiPKT2_S3_S3_PS1_S3_PKi.private_seg_size, 0
	.set _ZN9rocsparseL19gtsv_LBM_rhs_kernelILj256ELj16ELj8EdEEviiiPKT2_S3_S3_PS1_S3_PKi.uses_vcc, 1
	.set _ZN9rocsparseL19gtsv_LBM_rhs_kernelILj256ELj16ELj8EdEEviiiPKT2_S3_S3_PS1_S3_PKi.uses_flat_scratch, 0
	.set _ZN9rocsparseL19gtsv_LBM_rhs_kernelILj256ELj16ELj8EdEEviiiPKT2_S3_S3_PS1_S3_PKi.has_dyn_sized_stack, 0
	.set _ZN9rocsparseL19gtsv_LBM_rhs_kernelILj256ELj16ELj8EdEEviiiPKT2_S3_S3_PS1_S3_PKi.has_recursion, 0
	.set _ZN9rocsparseL19gtsv_LBM_rhs_kernelILj256ELj16ELj8EdEEviiiPKT2_S3_S3_PS1_S3_PKi.has_indirect_call, 0
	.section	.AMDGPU.csdata,"",@progbits
; Kernel info:
; codeLenInByte = 4984
; TotalNumSgprs: 41
; NumVgprs: 117
; ScratchSize: 0
; MemoryBound: 0
; FloatMode: 240
; IeeeMode: 1
; LDSByteSize: 0 bytes/workgroup (compile time only)
; SGPRBlocks: 5
; VGPRBlocks: 29
; NumSGPRsForWavesPerEU: 41
; NumVGPRsForWavesPerEU: 117
; Occupancy: 2
; WaveLimiterHint : 0
; COMPUTE_PGM_RSRC2:SCRATCH_EN: 0
; COMPUTE_PGM_RSRC2:USER_SGPR: 6
; COMPUTE_PGM_RSRC2:TRAP_HANDLER: 0
; COMPUTE_PGM_RSRC2:TGID_X_EN: 1
; COMPUTE_PGM_RSRC2:TGID_Y_EN: 1
; COMPUTE_PGM_RSRC2:TGID_Z_EN: 0
; COMPUTE_PGM_RSRC2:TIDIG_COMP_CNT: 0
	.section	.text._ZN9rocsparseL19gtsv_LBM_rhs_kernelILj256ELj16ELj4EdEEviiiPKT2_S3_S3_PS1_S3_PKi,"axG",@progbits,_ZN9rocsparseL19gtsv_LBM_rhs_kernelILj256ELj16ELj4EdEEviiiPKT2_S3_S3_PS1_S3_PKi,comdat
	.globl	_ZN9rocsparseL19gtsv_LBM_rhs_kernelILj256ELj16ELj4EdEEviiiPKT2_S3_S3_PS1_S3_PKi ; -- Begin function _ZN9rocsparseL19gtsv_LBM_rhs_kernelILj256ELj16ELj4EdEEviiiPKT2_S3_S3_PS1_S3_PKi
	.p2align	8
	.type	_ZN9rocsparseL19gtsv_LBM_rhs_kernelILj256ELj16ELj4EdEEviiiPKT2_S3_S3_PS1_S3_PKi,@function
_ZN9rocsparseL19gtsv_LBM_rhs_kernelILj256ELj16ELj4EdEEviiiPKT2_S3_S3_PS1_S3_PKi: ; @_ZN9rocsparseL19gtsv_LBM_rhs_kernelILj256ELj16ELj4EdEEviiiPKT2_S3_S3_PS1_S3_PKi
; %bb.0:
	s_load_dword s23, s[4:5], 0x0
	v_lshl_or_b32 v0, s6, 8, v0
	s_waitcnt lgkmcnt(0)
	s_lshr_b32 s22, s23, 4
	v_cmp_gt_i32_e32 vcc, s22, v0
	s_and_saveexec_b64 s[0:1], vcc
	s_cbranch_execz .LBB131_29
; %bb.1:
	s_load_dwordx4 s[8:11], s[4:5], 0x28
	s_load_dwordx2 s[16:17], s[4:5], 0x38
	s_cmp_lt_i32 s23, 1
	v_add_u32_e32 v39, s22, v0
	s_mul_i32 s24, s7, s23
	s_cbranch_scc1 .LBB131_21
; %bb.2:
	s_load_dwordx4 s[12:15], s[4:5], 0x10
	s_load_dwordx2 s[6:7], s[4:5], 0x20
	v_ashrrev_i32_e32 v1, 31, v0
	v_lshlrev_b64 v[1:2], 3, v[0:1]
	s_lshl_b32 s28, s24, 2
	s_waitcnt lgkmcnt(0)
	v_mov_b32_e32 v3, s15
	v_add_co_u32_e32 v1, vcc, s14, v1
	v_addc_co_u32_e32 v2, vcc, v3, v2, vcc
	global_load_dwordx2 v[5:6], v[1:2], off
	s_add_i32 s29, s28, s23
	s_add_i32 s30, s29, s23
	s_mul_i32 s25, s22, 15
	s_mul_i32 s26, s22, 14
	s_lshl_b32 s27, s22, 1
	v_add_u32_e32 v41, s22, v39
	s_add_i32 s31, s30, s23
	v_mov_b32_e32 v2, 0
	s_mov_b64 s[18:19], 0
	v_mov_b32_e32 v42, s7
	v_mov_b32_e32 v40, 0
	s_branch .LBB131_5
.LBB131_3:                              ;   in Loop: Header=BB131_5 Depth=1
	s_or_b64 exec, exec, s[4:5]
	v_fma_f64 v[5:6], -v[5:6], v[29:30], v[7:8]
	v_mov_b32_e32 v1, s22
.LBB131_4:                              ;   in Loop: Header=BB131_5 Depth=1
	s_or_b64 exec, exec, s[2:3]
	v_add_u32_e32 v40, v1, v40
	v_cmp_le_i32_e32 vcc, s23, v40
	s_or_b64 s[18:19], vcc, s[18:19]
	s_andn2_b64 exec, exec, s[18:19]
	s_cbranch_execz .LBB131_20
.LBB131_5:                              ; =>This Inner Loop Header: Depth=1
	v_add_u32_e32 v15, v40, v0
	v_ashrrev_i32_e32 v16, 31, v15
	v_lshlrev_b64 v[3:4], 3, v[15:16]
	v_mov_b32_e32 v7, 0
	v_add_co_u32_e32 v3, vcc, s6, v3
	v_addc_co_u32_e32 v4, vcc, v42, v4, vcc
	global_load_dwordx2 v[13:14], v[3:4], off
	v_mov_b32_e32 v3, 0
	v_mov_b32_e32 v8, 0
	;; [unrolled: 1-line block ×3, first 2 shown]
	v_cmp_gt_u32_e64 s[0:1], s25, v40
	s_and_saveexec_b64 s[2:3], s[0:1]
	s_cbranch_execz .LBB131_7
; %bb.6:                                ;   in Loop: Header=BB131_5 Depth=1
	v_add_u32_e32 v3, v39, v40
	v_ashrrev_i32_e32 v4, 31, v3
	v_lshlrev_b64 v[3:4], 3, v[3:4]
	v_mov_b32_e32 v1, s13
	v_add_co_u32_e32 v3, vcc, s12, v3
	v_addc_co_u32_e32 v4, vcc, v1, v4, vcc
	global_load_dwordx2 v[3:4], v[3:4], off
.LBB131_7:                              ;   in Loop: Header=BB131_5 Depth=1
	s_or_b64 exec, exec, s[2:3]
	s_and_saveexec_b64 s[2:3], s[0:1]
	s_cbranch_execz .LBB131_9
; %bb.8:                                ;   in Loop: Header=BB131_5 Depth=1
	v_add_u32_e32 v7, v39, v40
	v_ashrrev_i32_e32 v8, 31, v7
	v_lshlrev_b64 v[7:8], 3, v[7:8]
	v_mov_b32_e32 v1, s15
	v_add_co_u32_e32 v7, vcc, s14, v7
	v_addc_co_u32_e32 v8, vcc, v1, v8, vcc
	global_load_dwordx2 v[7:8], v[7:8], off
.LBB131_9:                              ;   in Loop: Header=BB131_5 Depth=1
	s_or_b64 exec, exec, s[2:3]
	v_mov_b32_e32 v11, 0
	v_mov_b32_e32 v9, 0
	;; [unrolled: 1-line block ×4, first 2 shown]
	s_and_saveexec_b64 s[2:3], s[0:1]
	s_cbranch_execz .LBB131_11
; %bb.10:                               ;   in Loop: Header=BB131_5 Depth=1
	v_add_u32_e32 v9, v39, v40
	v_ashrrev_i32_e32 v10, 31, v9
	v_lshlrev_b64 v[9:10], 3, v[9:10]
	v_mov_b32_e32 v1, s7
	v_add_co_u32_e32 v9, vcc, s6, v9
	v_addc_co_u32_e32 v10, vcc, v1, v10, vcc
	global_load_dwordx2 v[9:10], v[9:10], off
.LBB131_11:                             ;   in Loop: Header=BB131_5 Depth=1
	s_or_b64 exec, exec, s[2:3]
	v_cmp_gt_u32_e64 s[2:3], s26, v40
	s_and_saveexec_b64 s[4:5], s[2:3]
	s_cbranch_execz .LBB131_13
; %bb.12:                               ;   in Loop: Header=BB131_5 Depth=1
	v_add_u32_e32 v11, v41, v40
	v_ashrrev_i32_e32 v12, 31, v11
	v_lshlrev_b64 v[11:12], 3, v[11:12]
	v_mov_b32_e32 v1, s13
	v_add_co_u32_e32 v11, vcc, s12, v11
	v_addc_co_u32_e32 v12, vcc, v1, v12, vcc
	global_load_dwordx2 v[11:12], v[11:12], off
.LBB131_13:                             ;   in Loop: Header=BB131_5 Depth=1
	s_or_b64 exec, exec, s[4:5]
	v_lshlrev_b64 v[16:17], 2, v[15:16]
	v_mov_b32_e32 v1, s17
	v_add_co_u32_e32 v16, vcc, s16, v16
	v_addc_co_u32_e32 v17, vcc, v1, v17, vcc
	global_load_dword v1, v[16:17], off
	v_cmp_ne_u32_e64 s[4:5], s25, v40
	s_waitcnt vmcnt(2)
	v_mov_b32_e32 v27, s9
	s_waitcnt vmcnt(1)
	v_mul_f64 v[29:30], v[13:14], v[3:4]
	s_waitcnt vmcnt(0)
	v_cmp_ne_u32_e32 vcc, 1, v1
	v_add_u32_e32 v1, s28, v15
	v_lshlrev_b64 v[16:17], 3, v[1:2]
	s_and_b64 s[4:5], s[4:5], vcc
	v_add_co_u32_e32 v21, vcc, s8, v16
	v_add_u32_e32 v1, s29, v15
	v_addc_co_u32_e32 v22, vcc, v27, v17, vcc
	v_lshlrev_b64 v[17:18], 3, v[1:2]
	v_add_u32_e32 v1, s30, v15
	v_add_co_u32_e32 v17, vcc, s8, v17
	v_lshlrev_b64 v[19:20], 3, v[1:2]
	v_addc_co_u32_e32 v18, vcc, v27, v18, vcc
	v_add_u32_e32 v1, s31, v15
	v_add_co_u32_e32 v19, vcc, s8, v19
	v_lshlrev_b64 v[15:16], 3, v[1:2]
	v_addc_co_u32_e32 v20, vcc, v27, v20, vcc
	v_add_co_u32_e32 v15, vcc, s8, v15
	v_addc_co_u32_e32 v16, vcc, v27, v16, vcc
	global_load_dwordx2 v[31:32], v[21:22], off
	global_load_dwordx2 v[23:24], v[17:18], off
	;; [unrolled: 1-line block ×4, first 2 shown]
	s_and_saveexec_b64 s[20:21], s[4:5]
	s_xor_b64 s[4:5], exec, s[20:21]
	s_cbranch_execz .LBB131_17
; %bb.14:                               ;   in Loop: Header=BB131_5 Depth=1
	v_fma_f64 v[29:30], v[5:6], v[7:8], -v[29:30]
	v_div_scale_f64 v[33:34], s[20:21], v[29:30], v[29:30], 1.0
	v_rcp_f64_e32 v[35:36], v[33:34]
	v_fma_f64 v[37:38], -v[33:34], v[35:36], 1.0
	v_fma_f64 v[35:36], v[35:36], v[37:38], v[35:36]
	v_fma_f64 v[37:38], -v[33:34], v[35:36], 1.0
	v_fma_f64 v[35:36], v[35:36], v[37:38], v[35:36]
	v_div_scale_f64 v[37:38], vcc, 1.0, v[29:30], 1.0
	v_mul_f64 v[43:44], v[37:38], v[35:36]
	v_fma_f64 v[33:34], -v[33:34], v[43:44], v[37:38]
	v_add_u32_e32 v37, v39, v40
	v_add_u32_e32 v1, s28, v37
	v_mov_b32_e32 v38, s9
	v_div_fmas_f64 v[33:34], v[33:34], v[35:36], v[43:44]
	v_lshlrev_b64 v[35:36], 3, v[1:2]
	v_add_u32_e32 v1, s29, v37
	v_add_co_u32_e32 v43, vcc, s8, v35
	v_addc_co_u32_e32 v44, vcc, v38, v36, vcc
	v_lshlrev_b64 v[35:36], 3, v[1:2]
	v_add_u32_e32 v1, s30, v37
	v_add_co_u32_e32 v45, vcc, s8, v35
	v_addc_co_u32_e32 v46, vcc, v38, v36, vcc
	v_lshlrev_b64 v[35:36], 3, v[1:2]
	v_add_u32_e32 v1, s31, v37
	v_add_co_u32_e32 v47, vcc, s8, v35
	v_div_fixup_f64 v[29:30], v[33:34], v[29:30], 1.0
	global_load_dwordx2 v[33:34], v[43:44], off
	v_addc_co_u32_e32 v48, vcc, v38, v36, vcc
	v_lshlrev_b64 v[35:36], 3, v[1:2]
	v_add_co_u32_e32 v49, vcc, s8, v35
	v_addc_co_u32_e32 v50, vcc, v38, v36, vcc
	global_load_dwordx2 v[37:38], v[45:46], off
	global_load_dwordx2 v[51:52], v[47:48], off
	;; [unrolled: 1-line block ×3, first 2 shown]
	s_waitcnt vmcnt(7)
	v_mul_f64 v[31:32], v[29:30], v[31:32]
	s_waitcnt vmcnt(3)
	v_mul_f64 v[35:36], v[29:30], v[33:34]
	;; [unrolled: 2-line block ×3, first 2 shown]
	v_mul_f64 v[33:34], v[13:14], v[35:36]
	v_fma_f64 v[33:34], v[7:8], v[31:32], -v[33:34]
	global_store_dwordx2 v[21:22], v[33:34], off
	v_mul_f64 v[33:34], v[29:30], v[23:24]
	v_mul_f64 v[21:22], v[13:14], v[37:38]
	v_fma_f64 v[21:22], v[7:8], v[33:34], -v[21:22]
	global_store_dwordx2 v[17:18], v[21:22], off
	s_waitcnt vmcnt(3)
	v_mul_f64 v[21:22], v[29:30], v[51:52]
	v_mul_f64 v[17:18], v[29:30], v[25:26]
	;; [unrolled: 1-line block ×3, first 2 shown]
	v_fma_f64 v[23:24], v[7:8], v[17:18], -v[23:24]
	global_store_dwordx2 v[19:20], v[23:24], off
	s_waitcnt vmcnt(3)
	v_mul_f64 v[19:20], v[29:30], v[53:54]
	v_mul_f64 v[23:24], v[29:30], v[27:28]
	;; [unrolled: 1-line block ×3, first 2 shown]
	v_fma_f64 v[7:8], v[7:8], v[23:24], -v[13:14]
	v_mul_f64 v[13:14], v[3:4], v[17:18]
	global_store_dwordx2 v[15:16], v[7:8], off
	v_mul_f64 v[7:8], v[3:4], v[31:32]
	v_fma_f64 v[13:14], v[5:6], v[21:22], -v[13:14]
	v_fma_f64 v[7:8], v[5:6], v[35:36], -v[7:8]
	global_store_dwordx2 v[43:44], v[7:8], off
	v_mul_f64 v[7:8], v[3:4], v[33:34]
	v_fma_f64 v[7:8], v[5:6], v[37:38], -v[7:8]
	global_store_dwordx2 v[45:46], v[7:8], off
	v_mul_f64 v[7:8], v[3:4], v[23:24]
	v_fma_f64 v[15:16], v[5:6], v[19:20], -v[7:8]
	v_mov_b32_e32 v7, 0
	v_mov_b32_e32 v8, 0
	global_store_dwordx2 v[47:48], v[13:14], off
	global_store_dwordx2 v[49:50], v[15:16], off
	s_and_saveexec_b64 s[20:21], s[2:3]
	s_cbranch_execz .LBB131_16
; %bb.15:                               ;   in Loop: Header=BB131_5 Depth=1
	v_add_u32_e32 v7, v41, v40
	v_add_u32_e32 v1, s28, v7
	v_lshlrev_b64 v[13:14], 3, v[1:2]
	v_add_u32_e32 v1, s29, v7
	v_mov_b32_e32 v43, s9
	v_add_co_u32_e32 v13, vcc, s8, v13
	v_lshlrev_b64 v[15:16], 3, v[1:2]
	v_addc_co_u32_e32 v14, vcc, v43, v14, vcc
	v_add_co_u32_e32 v15, vcc, s8, v15
	v_addc_co_u32_e32 v16, vcc, v43, v16, vcc
	global_load_dwordx2 v[25:26], v[13:14], off
	global_load_dwordx2 v[27:28], v[15:16], off
	v_mul_f64 v[5:6], v[5:6], v[11:12]
	v_mul_f64 v[3:4], v[3:4], v[11:12]
	v_add_u32_e32 v1, s30, v7
	v_ashrrev_i32_e32 v8, 31, v7
	v_mul_f64 v[11:12], v[5:6], v[35:36]
	v_mul_f64 v[35:36], v[5:6], v[37:38]
	v_mov_b32_e32 v37, s15
	v_mul_f64 v[19:20], v[5:6], v[19:20]
	v_fma_f64 v[11:12], v[3:4], v[31:32], -v[11:12]
	v_fma_f64 v[31:32], v[3:4], v[33:34], -v[35:36]
	v_lshlrev_b64 v[35:36], 3, v[1:2]
	v_add_u32_e32 v1, s31, v7
	v_lshlrev_b64 v[33:34], 3, v[7:8]
	v_lshlrev_b64 v[7:8], 3, v[1:2]
	s_waitcnt vmcnt(1)
	v_add_f64 v[11:12], v[11:12], v[25:26]
	s_waitcnt vmcnt(0)
	v_add_f64 v[25:26], v[31:32], v[27:28]
	v_add_co_u32_e32 v27, vcc, s8, v35
	v_addc_co_u32_e32 v28, vcc, v43, v36, vcc
	v_add_co_u32_e32 v31, vcc, s8, v7
	v_addc_co_u32_e32 v32, vcc, v43, v8, vcc
	global_store_dwordx2 v[13:14], v[11:12], off
	global_store_dwordx2 v[15:16], v[25:26], off
	v_add_co_u32_e32 v13, vcc, s14, v33
	v_addc_co_u32_e32 v14, vcc, v37, v34, vcc
	global_load_dwordx2 v[7:8], v[27:28], off
	global_load_dwordx2 v[11:12], v[31:32], off
	v_mul_f64 v[15:16], v[5:6], v[21:22]
	global_load_dwordx2 v[13:14], v[13:14], off
	v_mul_f64 v[5:6], v[9:10], v[5:6]
	v_fma_f64 v[15:16], v[3:4], v[17:18], -v[15:16]
	v_fma_f64 v[3:4], v[3:4], v[23:24], -v[19:20]
	s_waitcnt vmcnt(2)
	v_add_f64 v[9:10], v[15:16], v[7:8]
	s_waitcnt vmcnt(1)
	v_add_f64 v[3:4], v[3:4], v[11:12]
	global_store_dwordx2 v[27:28], v[9:10], off
	global_store_dwordx2 v[31:32], v[3:4], off
	s_waitcnt vmcnt(2)
	v_fma_f64 v[7:8], -v[29:30], v[5:6], v[13:14]
.LBB131_16:                             ;   in Loop: Header=BB131_5 Depth=1
	s_or_b64 exec, exec, s[20:21]
	v_mov_b32_e32 v5, v7
	v_mov_b32_e32 v6, v8
                                        ; implicit-def: $vgpr3_vgpr4
                                        ; implicit-def: $vgpr7_vgpr8
                                        ; implicit-def: $vgpr29_vgpr30
                                        ; implicit-def: $vgpr21_vgpr22
                                        ; implicit-def: $vgpr31_vgpr32
                                        ; implicit-def: $vgpr17_vgpr18
                                        ; implicit-def: $vgpr23_vgpr24
                                        ; implicit-def: $vgpr19_vgpr20
                                        ; implicit-def: $vgpr25_vgpr26
                                        ; implicit-def: $vgpr15_vgpr16
                                        ; implicit-def: $vgpr27_vgpr28
.LBB131_17:                             ;   in Loop: Header=BB131_5 Depth=1
	s_or_saveexec_b64 s[2:3], s[4:5]
	v_mov_b32_e32 v1, s27
	s_xor_b64 exec, exec, s[2:3]
	s_cbranch_execz .LBB131_4
; %bb.18:                               ;   in Loop: Header=BB131_5 Depth=1
	v_div_scale_f64 v[9:10], s[4:5], v[5:6], v[5:6], 1.0
	v_rcp_f64_e32 v[11:12], v[9:10]
	v_fma_f64 v[13:14], -v[9:10], v[11:12], 1.0
	v_fma_f64 v[11:12], v[11:12], v[13:14], v[11:12]
	v_div_scale_f64 v[13:14], vcc, 1.0, v[5:6], 1.0
	v_fma_f64 v[33:34], -v[9:10], v[11:12], 1.0
	v_fma_f64 v[11:12], v[11:12], v[33:34], v[11:12]
	v_mul_f64 v[33:34], v[13:14], v[11:12]
	v_fma_f64 v[9:10], -v[9:10], v[33:34], v[13:14]
	v_div_fmas_f64 v[9:10], v[9:10], v[11:12], v[33:34]
	v_div_fixup_f64 v[5:6], v[9:10], v[5:6], 1.0
	s_waitcnt vmcnt(3)
	v_mul_f64 v[13:14], v[5:6], v[31:32]
	s_waitcnt vmcnt(2)
	v_mul_f64 v[23:24], v[5:6], v[23:24]
	;; [unrolled: 2-line block ×4, first 2 shown]
	global_store_dwordx2 v[21:22], v[13:14], off
	global_store_dwordx2 v[17:18], v[23:24], off
	;; [unrolled: 1-line block ×4, first 2 shown]
	s_and_saveexec_b64 s[4:5], s[0:1]
	s_cbranch_execz .LBB131_3
; %bb.19:                               ;   in Loop: Header=BB131_5 Depth=1
	v_add_u32_e32 v27, v39, v40
	v_add_u32_e32 v1, s28, v27
	v_lshlrev_b64 v[15:16], 3, v[1:2]
	v_add_u32_e32 v1, s29, v27
	v_mov_b32_e32 v31, s9
	v_add_co_u32_e32 v15, vcc, s8, v15
	v_lshlrev_b64 v[17:18], 3, v[1:2]
	v_addc_co_u32_e32 v16, vcc, v31, v16, vcc
	v_add_co_u32_e32 v17, vcc, s8, v17
	v_addc_co_u32_e32 v18, vcc, v31, v18, vcc
	global_load_dwordx2 v[19:20], v[15:16], off
	global_load_dwordx2 v[21:22], v[17:18], off
	v_add_u32_e32 v1, s30, v27
	v_lshlrev_b64 v[25:26], 3, v[1:2]
	v_add_u32_e32 v1, s31, v27
	v_lshlrev_b64 v[27:28], 3, v[1:2]
	s_waitcnt vmcnt(1)
	v_fma_f64 v[13:14], -v[3:4], v[13:14], v[19:20]
	s_waitcnt vmcnt(0)
	v_fma_f64 v[19:20], -v[3:4], v[23:24], v[21:22]
	v_add_co_u32_e32 v21, vcc, s8, v25
	v_addc_co_u32_e32 v22, vcc, v31, v26, vcc
	v_add_co_u32_e32 v23, vcc, s8, v27
	global_store_dwordx2 v[15:16], v[13:14], off
	global_store_dwordx2 v[17:18], v[19:20], off
	v_addc_co_u32_e32 v24, vcc, v31, v28, vcc
	global_load_dwordx2 v[13:14], v[21:22], off
	global_load_dwordx2 v[15:16], v[23:24], off
	s_waitcnt vmcnt(1)
	v_fma_f64 v[9:10], -v[3:4], v[9:10], v[13:14]
	s_waitcnt vmcnt(0)
	v_fma_f64 v[3:4], -v[3:4], v[11:12], v[15:16]
	global_store_dwordx2 v[21:22], v[9:10], off
	global_store_dwordx2 v[23:24], v[3:4], off
	s_branch .LBB131_3
.LBB131_20:
	s_or_b64 exec, exec, s[18:19]
	s_branch .LBB131_22
.LBB131_21:
	v_mov_b32_e32 v40, 0
.LBB131_22:
	v_subrev_u32_e32 v3, s22, v40
	v_add_u32_e32 v1, v3, v0
	v_ashrrev_i32_e32 v2, 31, v1
	v_lshlrev_b64 v[1:2], 2, v[1:2]
	s_waitcnt lgkmcnt(0)
	v_mov_b32_e32 v4, s17
	v_add_co_u32_e32 v1, vcc, s16, v1
	v_addc_co_u32_e32 v2, vcc, v4, v2, vcc
	s_waitcnt vmcnt(0)
	buffer_wbinvl1_vol
	global_load_dword v1, v[1:2], off
	s_waitcnt vmcnt(0)
	v_mul_lo_u32 v1, v1, s22
	v_sub_u32_e32 v7, v3, v1
	v_cmp_lt_i32_e32 vcc, -1, v7
	s_and_b64 exec, exec, vcc
	s_cbranch_execz .LBB131_29
; %bb.23:
	s_lshl_b32 s4, s24, 2
	s_add_i32 s5, s4, s23
	s_add_i32 s6, s5, s23
	;; [unrolled: 1-line block ×3, first 2 shown]
	s_lshl_b32 s12, s22, 1
	s_mov_b64 s[0:1], 0
	v_mov_b32_e32 v8, s17
	v_mov_b32_e32 v9, s11
	;; [unrolled: 1-line block ×3, first 2 shown]
	s_branch .LBB131_25
.LBB131_24:                             ;   in Loop: Header=BB131_25 Depth=1
	s_or_b64 exec, exec, s[2:3]
	v_sub_u32_e32 v7, v7, v1
	v_cmp_gt_i32_e32 vcc, 0, v7
	s_or_b64 s[0:1], vcc, s[0:1]
	s_andn2_b64 exec, exec, s[0:1]
	s_cbranch_execz .LBB131_29
.LBB131_25:                             ; =>This Inner Loop Header: Depth=1
	v_add_u32_e32 v5, v7, v0
	v_ashrrev_i32_e32 v6, 31, v5
	s_waitcnt vmcnt(0)
	v_lshlrev_b64 v[3:4], 2, v[5:6]
	v_add_co_u32_e32 v3, vcc, s16, v3
	v_addc_co_u32_e32 v4, vcc, v8, v4, vcc
	global_load_dword v1, v[3:4], off
	v_lshlrev_b64 v[3:4], 3, v[5:6]
	v_add_co_u32_e32 v3, vcc, s10, v3
	v_addc_co_u32_e32 v4, vcc, v9, v4, vcc
	global_load_dwordx2 v[3:4], v[3:4], off
	s_waitcnt vmcnt(1)
	v_cmp_ne_u32_e32 vcc, 1, v1
	s_and_saveexec_b64 s[2:3], vcc
	s_xor_b64 s[2:3], exec, s[2:3]
	s_cbranch_execz .LBB131_27
; %bb.26:                               ;   in Loop: Header=BB131_25 Depth=1
	v_add_u32_e32 v6, v39, v7
	v_add_u32_e32 v1, s4, v6
	v_lshlrev_b64 v[10:11], 3, v[1:2]
	v_mov_b32_e32 v1, s9
	v_add_co_u32_e32 v10, vcc, s8, v10
	v_addc_co_u32_e32 v11, vcc, v1, v11, vcc
	v_add_u32_e32 v1, s5, v6
	v_lshlrev_b64 v[12:13], 3, v[1:2]
	v_add_u32_e32 v1, s6, v6
	v_lshlrev_b64 v[14:15], 3, v[1:2]
	;; [unrolled: 2-line block ×4, first 2 shown]
	v_mov_b32_e32 v1, s9
	v_add_co_u32_e32 v18, vcc, s8, v18
	v_addc_co_u32_e32 v19, vcc, v1, v19, vcc
	global_load_dwordx2 v[10:11], v[10:11], off
	v_add_co_u32_e32 v12, vcc, s8, v12
	global_load_dwordx2 v[20:21], v[18:19], off
	v_addc_co_u32_e32 v13, vcc, v1, v13, vcc
	v_mov_b32_e32 v6, s9
	v_add_co_u32_e32 v14, vcc, s8, v14
	v_addc_co_u32_e32 v15, vcc, v6, v15, vcc
	v_mov_b32_e32 v22, s9
	v_add_co_u32_e32 v16, vcc, s8, v16
	v_addc_co_u32_e32 v17, vcc, v22, v17, vcc
	global_load_dwordx2 v[22:23], v[12:13], off
	global_load_dwordx2 v[24:25], v[14:15], off
	global_load_dwordx2 v[26:27], v[16:17], off
	v_add_u32_e32 v1, s5, v5
	v_lshlrev_b64 v[14:15], 3, v[1:2]
	v_add_u32_e32 v1, s6, v5
	v_add_co_u32_e32 v14, vcc, s8, v14
	v_addc_co_u32_e32 v15, vcc, v6, v15, vcc
	v_lshlrev_b64 v[16:17], 3, v[1:2]
	v_add_u32_e32 v1, s7, v5
	v_add_co_u32_e32 v16, vcc, s8, v16
	v_addc_co_u32_e32 v17, vcc, v6, v17, vcc
	v_lshlrev_b64 v[5:6], 3, v[1:2]
	v_subrev_u32_e32 v1, s22, v7
	v_add_co_u32_e32 v5, vcc, s8, v5
	s_waitcnt vmcnt(3)
	v_fma_f64 v[12:13], -v[3:4], v[10:11], v[20:21]
	global_store_dwordx2 v[18:19], v[12:13], off
	global_load_dwordx2 v[12:13], v[14:15], off
	s_waitcnt vmcnt(0)
	v_fma_f64 v[12:13], -v[3:4], v[22:23], v[12:13]
	global_store_dwordx2 v[14:15], v[12:13], off
	global_load_dwordx2 v[12:13], v[16:17], off
	v_mov_b32_e32 v14, s9
	v_addc_co_u32_e32 v6, vcc, v14, v6, vcc
	v_add_u32_e32 v14, v1, v0
	v_ashrrev_i32_e32 v15, 31, v14
	v_add_u32_e32 v1, s4, v14
	s_waitcnt vmcnt(0)
	v_fma_f64 v[12:13], -v[3:4], v[24:25], v[12:13]
	global_store_dwordx2 v[16:17], v[12:13], off
	global_load_dwordx2 v[12:13], v[5:6], off
	v_lshlrev_b64 v[15:16], 3, v[14:15]
	v_mov_b32_e32 v17, s9
	v_add_co_u32_e32 v15, vcc, s10, v15
	v_addc_co_u32_e32 v16, vcc, v9, v16, vcc
	s_waitcnt vmcnt(0)
	v_fma_f64 v[3:4], -v[3:4], v[26:27], v[12:13]
	global_load_dwordx2 v[12:13], v[15:16], off
	v_lshlrev_b64 v[15:16], 3, v[1:2]
	v_add_u32_e32 v1, s5, v14
	v_add_co_u32_e32 v15, vcc, s8, v15
	v_addc_co_u32_e32 v16, vcc, v17, v16, vcc
	global_store_dwordx2 v[5:6], v[3:4], off
	global_load_dwordx2 v[3:4], v[15:16], off
	v_lshlrev_b64 v[5:6], 3, v[1:2]
	v_add_u32_e32 v1, s6, v14
	v_add_co_u32_e32 v5, vcc, s8, v5
	s_waitcnt vmcnt(0)
	v_fma_f64 v[3:4], -v[12:13], v[10:11], v[3:4]
	v_mov_b32_e32 v10, s9
	v_addc_co_u32_e32 v6, vcc, v10, v6, vcc
	v_lshlrev_b64 v[10:11], 3, v[1:2]
	v_add_u32_e32 v1, s7, v14
	v_add_co_u32_e32 v10, vcc, s8, v10
	global_store_dwordx2 v[15:16], v[3:4], off
	global_load_dwordx2 v[3:4], v[5:6], off
	v_mov_b32_e32 v15, s9
	v_addc_co_u32_e32 v11, vcc, v15, v11, vcc
	s_waitcnt vmcnt(0)
	v_fma_f64 v[3:4], -v[12:13], v[22:23], v[3:4]
	global_store_dwordx2 v[5:6], v[3:4], off
	global_load_dwordx2 v[3:4], v[10:11], off
	v_lshlrev_b64 v[5:6], 3, v[1:2]
	s_waitcnt vmcnt(0)
	v_fma_f64 v[3:4], -v[12:13], v[24:25], v[3:4]
	global_store_dwordx2 v[10:11], v[3:4], off
	v_add_co_u32_e32 v3, vcc, s8, v5
	v_addc_co_u32_e32 v4, vcc, v15, v6, vcc
	global_load_dwordx2 v[5:6], v[3:4], off
	s_waitcnt vmcnt(0)
	v_fma_f64 v[5:6], -v[12:13], v[26:27], v[5:6]
	global_store_dwordx2 v[3:4], v[5:6], off
                                        ; implicit-def: $vgpr5
                                        ; implicit-def: $vgpr3_vgpr4
.LBB131_27:                             ;   in Loop: Header=BB131_25 Depth=1
	s_or_saveexec_b64 s[2:3], s[2:3]
	v_mov_b32_e32 v1, s12
	s_xor_b64 exec, exec, s[2:3]
	s_cbranch_execz .LBB131_24
; %bb.28:                               ;   in Loop: Header=BB131_25 Depth=1
	v_add_u32_e32 v6, v39, v7
	v_add_u32_e32 v1, s4, v6
	v_lshlrev_b64 v[10:11], 3, v[1:2]
	v_mov_b32_e32 v1, s9
	v_add_co_u32_e32 v10, vcc, s8, v10
	v_addc_co_u32_e32 v11, vcc, v1, v11, vcc
	v_add_u32_e32 v1, s4, v5
	v_lshlrev_b64 v[12:13], 3, v[1:2]
	v_mov_b32_e32 v1, s9
	v_add_co_u32_e32 v12, vcc, s8, v12
	v_addc_co_u32_e32 v13, vcc, v1, v13, vcc
	global_load_dwordx2 v[14:15], v[10:11], off
	global_load_dwordx2 v[16:17], v[12:13], off
	v_add_u32_e32 v1, s5, v6
	v_lshlrev_b64 v[10:11], 3, v[1:2]
	v_add_u32_e32 v1, s5, v5
	v_mov_b32_e32 v20, s9
	v_lshlrev_b64 v[18:19], 3, v[1:2]
	v_add_co_u32_e32 v10, vcc, s8, v10
	v_addc_co_u32_e32 v11, vcc, v20, v11, vcc
	v_mov_b32_e32 v21, s9
	v_add_u32_e32 v1, s6, v6
	s_waitcnt vmcnt(0)
	v_fma_f64 v[14:15], -v[3:4], v[14:15], v[16:17]
	v_add_co_u32_e32 v16, vcc, s8, v18
	v_addc_co_u32_e32 v17, vcc, v21, v19, vcc
	global_store_dwordx2 v[12:13], v[14:15], off
	global_load_dwordx2 v[12:13], v[10:11], off
	s_nop 0
	global_load_dwordx2 v[14:15], v[16:17], off
	v_lshlrev_b64 v[10:11], 3, v[1:2]
	v_add_u32_e32 v1, s6, v5
	v_lshlrev_b64 v[18:19], 3, v[1:2]
	v_add_co_u32_e32 v10, vcc, s8, v10
	v_addc_co_u32_e32 v11, vcc, v20, v11, vcc
	v_add_u32_e32 v1, s7, v6
	s_waitcnt vmcnt(0)
	v_fma_f64 v[12:13], -v[3:4], v[12:13], v[14:15]
	v_add_co_u32_e32 v14, vcc, s8, v18
	v_addc_co_u32_e32 v15, vcc, v21, v19, vcc
	v_mov_b32_e32 v18, s9
	v_mov_b32_e32 v19, s9
	global_store_dwordx2 v[16:17], v[12:13], off
	global_load_dwordx2 v[12:13], v[10:11], off
	s_nop 0
	global_load_dwordx2 v[16:17], v[14:15], off
	v_lshlrev_b64 v[10:11], 3, v[1:2]
	v_add_u32_e32 v1, s7, v5
	v_lshlrev_b64 v[5:6], 3, v[1:2]
	v_add_co_u32_e32 v10, vcc, s8, v10
	v_addc_co_u32_e32 v11, vcc, v18, v11, vcc
	v_add_co_u32_e32 v5, vcc, s8, v5
	v_addc_co_u32_e32 v6, vcc, v19, v6, vcc
	v_mov_b32_e32 v1, s22
	s_waitcnt vmcnt(0)
	v_fma_f64 v[12:13], -v[3:4], v[12:13], v[16:17]
	global_store_dwordx2 v[14:15], v[12:13], off
	global_load_dwordx2 v[12:13], v[10:11], off
	s_nop 0
	global_load_dwordx2 v[14:15], v[5:6], off
	s_waitcnt vmcnt(0)
	v_fma_f64 v[3:4], -v[3:4], v[12:13], v[14:15]
	global_store_dwordx2 v[5:6], v[3:4], off
	s_branch .LBB131_24
.LBB131_29:
	s_endpgm
	.section	.rodata,"a",@progbits
	.p2align	6, 0x0
	.amdhsa_kernel _ZN9rocsparseL19gtsv_LBM_rhs_kernelILj256ELj16ELj4EdEEviiiPKT2_S3_S3_PS1_S3_PKi
		.amdhsa_group_segment_fixed_size 0
		.amdhsa_private_segment_fixed_size 0
		.amdhsa_kernarg_size 64
		.amdhsa_user_sgpr_count 6
		.amdhsa_user_sgpr_private_segment_buffer 1
		.amdhsa_user_sgpr_dispatch_ptr 0
		.amdhsa_user_sgpr_queue_ptr 0
		.amdhsa_user_sgpr_kernarg_segment_ptr 1
		.amdhsa_user_sgpr_dispatch_id 0
		.amdhsa_user_sgpr_flat_scratch_init 0
		.amdhsa_user_sgpr_private_segment_size 0
		.amdhsa_uses_dynamic_stack 0
		.amdhsa_system_sgpr_private_segment_wavefront_offset 0
		.amdhsa_system_sgpr_workgroup_id_x 1
		.amdhsa_system_sgpr_workgroup_id_y 1
		.amdhsa_system_sgpr_workgroup_id_z 0
		.amdhsa_system_sgpr_workgroup_info 0
		.amdhsa_system_vgpr_workitem_id 0
		.amdhsa_next_free_vgpr 55
		.amdhsa_next_free_sgpr 32
		.amdhsa_reserve_vcc 1
		.amdhsa_reserve_flat_scratch 0
		.amdhsa_float_round_mode_32 0
		.amdhsa_float_round_mode_16_64 0
		.amdhsa_float_denorm_mode_32 3
		.amdhsa_float_denorm_mode_16_64 3
		.amdhsa_dx10_clamp 1
		.amdhsa_ieee_mode 1
		.amdhsa_fp16_overflow 0
		.amdhsa_exception_fp_ieee_invalid_op 0
		.amdhsa_exception_fp_denorm_src 0
		.amdhsa_exception_fp_ieee_div_zero 0
		.amdhsa_exception_fp_ieee_overflow 0
		.amdhsa_exception_fp_ieee_underflow 0
		.amdhsa_exception_fp_ieee_inexact 0
		.amdhsa_exception_int_div_zero 0
	.end_amdhsa_kernel
	.section	.text._ZN9rocsparseL19gtsv_LBM_rhs_kernelILj256ELj16ELj4EdEEviiiPKT2_S3_S3_PS1_S3_PKi,"axG",@progbits,_ZN9rocsparseL19gtsv_LBM_rhs_kernelILj256ELj16ELj4EdEEviiiPKT2_S3_S3_PS1_S3_PKi,comdat
.Lfunc_end131:
	.size	_ZN9rocsparseL19gtsv_LBM_rhs_kernelILj256ELj16ELj4EdEEviiiPKT2_S3_S3_PS1_S3_PKi, .Lfunc_end131-_ZN9rocsparseL19gtsv_LBM_rhs_kernelILj256ELj16ELj4EdEEviiiPKT2_S3_S3_PS1_S3_PKi
                                        ; -- End function
	.set _ZN9rocsparseL19gtsv_LBM_rhs_kernelILj256ELj16ELj4EdEEviiiPKT2_S3_S3_PS1_S3_PKi.num_vgpr, 55
	.set _ZN9rocsparseL19gtsv_LBM_rhs_kernelILj256ELj16ELj4EdEEviiiPKT2_S3_S3_PS1_S3_PKi.num_agpr, 0
	.set _ZN9rocsparseL19gtsv_LBM_rhs_kernelILj256ELj16ELj4EdEEviiiPKT2_S3_S3_PS1_S3_PKi.numbered_sgpr, 32
	.set _ZN9rocsparseL19gtsv_LBM_rhs_kernelILj256ELj16ELj4EdEEviiiPKT2_S3_S3_PS1_S3_PKi.num_named_barrier, 0
	.set _ZN9rocsparseL19gtsv_LBM_rhs_kernelILj256ELj16ELj4EdEEviiiPKT2_S3_S3_PS1_S3_PKi.private_seg_size, 0
	.set _ZN9rocsparseL19gtsv_LBM_rhs_kernelILj256ELj16ELj4EdEEviiiPKT2_S3_S3_PS1_S3_PKi.uses_vcc, 1
	.set _ZN9rocsparseL19gtsv_LBM_rhs_kernelILj256ELj16ELj4EdEEviiiPKT2_S3_S3_PS1_S3_PKi.uses_flat_scratch, 0
	.set _ZN9rocsparseL19gtsv_LBM_rhs_kernelILj256ELj16ELj4EdEEviiiPKT2_S3_S3_PS1_S3_PKi.has_dyn_sized_stack, 0
	.set _ZN9rocsparseL19gtsv_LBM_rhs_kernelILj256ELj16ELj4EdEEviiiPKT2_S3_S3_PS1_S3_PKi.has_recursion, 0
	.set _ZN9rocsparseL19gtsv_LBM_rhs_kernelILj256ELj16ELj4EdEEviiiPKT2_S3_S3_PS1_S3_PKi.has_indirect_call, 0
	.section	.AMDGPU.csdata,"",@progbits
; Kernel info:
; codeLenInByte = 3096
; TotalNumSgprs: 36
; NumVgprs: 55
; ScratchSize: 0
; MemoryBound: 0
; FloatMode: 240
; IeeeMode: 1
; LDSByteSize: 0 bytes/workgroup (compile time only)
; SGPRBlocks: 4
; VGPRBlocks: 13
; NumSGPRsForWavesPerEU: 36
; NumVGPRsForWavesPerEU: 55
; Occupancy: 4
; WaveLimiterHint : 0
; COMPUTE_PGM_RSRC2:SCRATCH_EN: 0
; COMPUTE_PGM_RSRC2:USER_SGPR: 6
; COMPUTE_PGM_RSRC2:TRAP_HANDLER: 0
; COMPUTE_PGM_RSRC2:TGID_X_EN: 1
; COMPUTE_PGM_RSRC2:TGID_Y_EN: 1
; COMPUTE_PGM_RSRC2:TGID_Z_EN: 0
; COMPUTE_PGM_RSRC2:TIDIG_COMP_CNT: 0
	.section	.text._ZN9rocsparseL19gtsv_LBM_rhs_kernelILj256ELj16ELj2EdEEviiiPKT2_S3_S3_PS1_S3_PKi,"axG",@progbits,_ZN9rocsparseL19gtsv_LBM_rhs_kernelILj256ELj16ELj2EdEEviiiPKT2_S3_S3_PS1_S3_PKi,comdat
	.globl	_ZN9rocsparseL19gtsv_LBM_rhs_kernelILj256ELj16ELj2EdEEviiiPKT2_S3_S3_PS1_S3_PKi ; -- Begin function _ZN9rocsparseL19gtsv_LBM_rhs_kernelILj256ELj16ELj2EdEEviiiPKT2_S3_S3_PS1_S3_PKi
	.p2align	8
	.type	_ZN9rocsparseL19gtsv_LBM_rhs_kernelILj256ELj16ELj2EdEEviiiPKT2_S3_S3_PS1_S3_PKi,@function
_ZN9rocsparseL19gtsv_LBM_rhs_kernelILj256ELj16ELj2EdEEviiiPKT2_S3_S3_PS1_S3_PKi: ; @_ZN9rocsparseL19gtsv_LBM_rhs_kernelILj256ELj16ELj2EdEEviiiPKT2_S3_S3_PS1_S3_PKi
; %bb.0:
	s_load_dword s23, s[4:5], 0x0
	v_lshl_or_b32 v0, s6, 8, v0
	s_waitcnt lgkmcnt(0)
	s_lshr_b32 s22, s23, 4
	v_cmp_gt_i32_e32 vcc, s22, v0
	s_and_saveexec_b64 s[0:1], vcc
	s_cbranch_execz .LBB132_29
; %bb.1:
	s_load_dwordx4 s[8:11], s[4:5], 0x28
	s_load_dwordx2 s[16:17], s[4:5], 0x38
	s_cmp_lt_i32 s23, 1
	v_add_u32_e32 v29, s22, v0
	s_mul_i32 s24, s7, s23
	s_cbranch_scc1 .LBB132_21
; %bb.2:
	s_load_dwordx4 s[12:15], s[4:5], 0x10
	s_load_dwordx2 s[6:7], s[4:5], 0x20
	v_ashrrev_i32_e32 v1, 31, v0
	v_lshlrev_b64 v[1:2], 3, v[0:1]
	s_lshl_b32 s28, s24, 1
	s_waitcnt lgkmcnt(0)
	v_mov_b32_e32 v3, s15
	v_add_co_u32_e32 v1, vcc, s14, v1
	v_addc_co_u32_e32 v2, vcc, v3, v2, vcc
	global_load_dwordx2 v[3:4], v[1:2], off
	s_mul_i32 s25, s22, 15
	s_mul_i32 s26, s22, 14
	s_lshl_b32 s27, s22, 1
	v_add_u32_e32 v31, s22, v29
	s_add_i32 s29, s28, s23
	v_mov_b32_e32 v2, 0
	s_mov_b64 s[18:19], 0
	v_mov_b32_e32 v32, s7
	v_mov_b32_e32 v30, 0
	s_branch .LBB132_5
.LBB132_3:                              ;   in Loop: Header=BB132_5 Depth=1
	s_or_b64 exec, exec, s[4:5]
	v_fma_f64 v[3:4], -v[3:4], v[21:22], v[7:8]
	v_mov_b32_e32 v1, s22
.LBB132_4:                              ;   in Loop: Header=BB132_5 Depth=1
	s_or_b64 exec, exec, s[2:3]
	v_add_u32_e32 v30, v1, v30
	v_cmp_le_i32_e32 vcc, s23, v30
	s_or_b64 s[18:19], vcc, s[18:19]
	s_andn2_b64 exec, exec, s[18:19]
	s_cbranch_execz .LBB132_20
.LBB132_5:                              ; =>This Inner Loop Header: Depth=1
	v_add_u32_e32 v17, v30, v0
	v_ashrrev_i32_e32 v18, 31, v17
	v_lshlrev_b64 v[5:6], 3, v[17:18]
	v_mov_b32_e32 v7, 0
	v_add_co_u32_e32 v5, vcc, s6, v5
	v_addc_co_u32_e32 v6, vcc, v32, v6, vcc
	global_load_dwordx2 v[13:14], v[5:6], off
	v_mov_b32_e32 v5, 0
	v_mov_b32_e32 v8, 0
	;; [unrolled: 1-line block ×3, first 2 shown]
	v_cmp_gt_u32_e64 s[0:1], s25, v30
	s_and_saveexec_b64 s[2:3], s[0:1]
	s_cbranch_execz .LBB132_7
; %bb.6:                                ;   in Loop: Header=BB132_5 Depth=1
	v_add_u32_e32 v5, v29, v30
	v_ashrrev_i32_e32 v6, 31, v5
	v_lshlrev_b64 v[5:6], 3, v[5:6]
	v_mov_b32_e32 v1, s13
	v_add_co_u32_e32 v5, vcc, s12, v5
	v_addc_co_u32_e32 v6, vcc, v1, v6, vcc
	global_load_dwordx2 v[5:6], v[5:6], off
.LBB132_7:                              ;   in Loop: Header=BB132_5 Depth=1
	s_or_b64 exec, exec, s[2:3]
	s_and_saveexec_b64 s[2:3], s[0:1]
	s_cbranch_execz .LBB132_9
; %bb.8:                                ;   in Loop: Header=BB132_5 Depth=1
	v_add_u32_e32 v7, v29, v30
	v_ashrrev_i32_e32 v8, 31, v7
	v_lshlrev_b64 v[7:8], 3, v[7:8]
	v_mov_b32_e32 v1, s15
	v_add_co_u32_e32 v7, vcc, s14, v7
	v_addc_co_u32_e32 v8, vcc, v1, v8, vcc
	global_load_dwordx2 v[7:8], v[7:8], off
.LBB132_9:                              ;   in Loop: Header=BB132_5 Depth=1
	s_or_b64 exec, exec, s[2:3]
	v_mov_b32_e32 v11, 0
	v_mov_b32_e32 v9, 0
	;; [unrolled: 1-line block ×4, first 2 shown]
	s_and_saveexec_b64 s[2:3], s[0:1]
	s_cbranch_execz .LBB132_11
; %bb.10:                               ;   in Loop: Header=BB132_5 Depth=1
	v_add_u32_e32 v9, v29, v30
	v_ashrrev_i32_e32 v10, 31, v9
	v_lshlrev_b64 v[9:10], 3, v[9:10]
	v_mov_b32_e32 v1, s7
	v_add_co_u32_e32 v9, vcc, s6, v9
	v_addc_co_u32_e32 v10, vcc, v1, v10, vcc
	global_load_dwordx2 v[9:10], v[9:10], off
.LBB132_11:                             ;   in Loop: Header=BB132_5 Depth=1
	s_or_b64 exec, exec, s[2:3]
	v_cmp_gt_u32_e64 s[2:3], s26, v30
	s_and_saveexec_b64 s[4:5], s[2:3]
	s_cbranch_execz .LBB132_13
; %bb.12:                               ;   in Loop: Header=BB132_5 Depth=1
	v_add_u32_e32 v11, v31, v30
	v_ashrrev_i32_e32 v12, 31, v11
	v_lshlrev_b64 v[11:12], 3, v[11:12]
	v_mov_b32_e32 v1, s13
	v_add_co_u32_e32 v11, vcc, s12, v11
	v_addc_co_u32_e32 v12, vcc, v1, v12, vcc
	global_load_dwordx2 v[11:12], v[11:12], off
.LBB132_13:                             ;   in Loop: Header=BB132_5 Depth=1
	s_or_b64 exec, exec, s[4:5]
	v_lshlrev_b64 v[15:16], 2, v[17:18]
	v_mov_b32_e32 v1, s17
	v_add_co_u32_e32 v15, vcc, s16, v15
	v_addc_co_u32_e32 v16, vcc, v1, v16, vcc
	global_load_dword v1, v[15:16], off
	v_cmp_ne_u32_e64 s[4:5], s25, v30
	s_waitcnt vmcnt(2)
	v_mov_b32_e32 v19, s9
	s_waitcnt vmcnt(1)
	v_mul_f64 v[21:22], v[13:14], v[5:6]
	s_waitcnt vmcnt(0)
	v_cmp_ne_u32_e32 vcc, 1, v1
	v_add_u32_e32 v1, s28, v17
	v_lshlrev_b64 v[15:16], 3, v[1:2]
	v_add_u32_e32 v1, s29, v17
	s_and_b64 s[4:5], s[4:5], vcc
	v_add_co_u32_e32 v15, vcc, s8, v15
	v_lshlrev_b64 v[17:18], 3, v[1:2]
	v_addc_co_u32_e32 v16, vcc, v19, v16, vcc
	v_add_co_u32_e32 v17, vcc, s8, v17
	v_addc_co_u32_e32 v18, vcc, v19, v18, vcc
	global_load_dwordx2 v[23:24], v[15:16], off
	global_load_dwordx2 v[19:20], v[17:18], off
	s_and_saveexec_b64 s[20:21], s[4:5]
	s_xor_b64 s[4:5], exec, s[20:21]
	s_cbranch_execz .LBB132_17
; %bb.14:                               ;   in Loop: Header=BB132_5 Depth=1
	v_fma_f64 v[21:22], v[3:4], v[7:8], -v[21:22]
	v_div_scale_f64 v[25:26], s[20:21], v[21:22], v[21:22], 1.0
	v_rcp_f64_e32 v[27:28], v[25:26]
	v_fma_f64 v[33:34], -v[25:26], v[27:28], 1.0
	v_fma_f64 v[27:28], v[27:28], v[33:34], v[27:28]
	v_fma_f64 v[33:34], -v[25:26], v[27:28], 1.0
	v_fma_f64 v[27:28], v[27:28], v[33:34], v[27:28]
	v_div_scale_f64 v[33:34], vcc, 1.0, v[21:22], 1.0
	v_mul_f64 v[35:36], v[33:34], v[27:28]
	v_fma_f64 v[25:26], -v[25:26], v[35:36], v[33:34]
	s_nop 1
	v_div_fmas_f64 v[25:26], v[25:26], v[27:28], v[35:36]
	v_add_u32_e32 v35, v29, v30
	v_add_u32_e32 v1, s28, v35
	v_lshlrev_b64 v[27:28], 3, v[1:2]
	v_mov_b32_e32 v36, s9
	v_add_co_u32_e32 v33, vcc, s8, v27
	v_addc_co_u32_e32 v34, vcc, v36, v28, vcc
	v_add_u32_e32 v1, s29, v35
	v_lshlrev_b64 v[27:28], 3, v[1:2]
	v_add_co_u32_e32 v35, vcc, s8, v27
	v_addc_co_u32_e32 v36, vcc, v36, v28, vcc
	v_div_fixup_f64 v[21:22], v[25:26], v[21:22], 1.0
	global_load_dwordx2 v[25:26], v[33:34], off
	global_load_dwordx2 v[37:38], v[35:36], off
	s_waitcnt vmcnt(3)
	v_mul_f64 v[23:24], v[21:22], v[23:24]
	s_waitcnt vmcnt(1)
	v_mul_f64 v[25:26], v[21:22], v[25:26]
	v_mul_f64 v[27:28], v[13:14], v[25:26]
	v_fma_f64 v[27:28], v[7:8], v[23:24], -v[27:28]
	global_store_dwordx2 v[15:16], v[27:28], off
	s_waitcnt vmcnt(1)
	v_mul_f64 v[27:28], v[21:22], v[37:38]
	v_mul_f64 v[15:16], v[21:22], v[19:20]
	;; [unrolled: 1-line block ×3, first 2 shown]
	v_fma_f64 v[7:8], v[7:8], v[15:16], -v[13:14]
	global_store_dwordx2 v[17:18], v[7:8], off
	v_mul_f64 v[7:8], v[5:6], v[23:24]
	v_fma_f64 v[7:8], v[3:4], v[25:26], -v[7:8]
	global_store_dwordx2 v[33:34], v[7:8], off
	v_mul_f64 v[7:8], v[5:6], v[15:16]
	v_fma_f64 v[13:14], v[3:4], v[27:28], -v[7:8]
	v_mov_b32_e32 v7, 0
	v_mov_b32_e32 v8, 0
	global_store_dwordx2 v[35:36], v[13:14], off
	s_and_saveexec_b64 s[20:21], s[2:3]
	s_cbranch_execz .LBB132_16
; %bb.15:                               ;   in Loop: Header=BB132_5 Depth=1
	v_add_u32_e32 v7, v31, v30
	v_add_u32_e32 v1, s28, v7
	v_lshlrev_b64 v[13:14], 3, v[1:2]
	v_add_u32_e32 v1, s29, v7
	v_mov_b32_e32 v8, s9
	v_add_co_u32_e32 v13, vcc, s8, v13
	v_lshlrev_b64 v[17:18], 3, v[1:2]
	v_addc_co_u32_e32 v14, vcc, v8, v14, vcc
	v_add_co_u32_e32 v17, vcc, s8, v17
	v_addc_co_u32_e32 v18, vcc, v8, v18, vcc
	v_ashrrev_i32_e32 v8, 31, v7
	v_lshlrev_b64 v[7:8], 3, v[7:8]
	v_mov_b32_e32 v1, s15
	v_add_co_u32_e32 v7, vcc, s14, v7
	v_addc_co_u32_e32 v8, vcc, v1, v8, vcc
	global_load_dwordx2 v[19:20], v[13:14], off
	global_load_dwordx2 v[33:34], v[17:18], off
	v_mul_f64 v[3:4], v[3:4], v[11:12]
	global_load_dwordx2 v[7:8], v[7:8], off
	v_mul_f64 v[5:6], v[5:6], v[11:12]
	v_mul_f64 v[11:12], v[3:4], v[25:26]
	;; [unrolled: 1-line block ×4, first 2 shown]
	v_fma_f64 v[11:12], v[5:6], v[23:24], -v[11:12]
	v_fma_f64 v[5:6], v[5:6], v[15:16], -v[25:26]
	s_waitcnt vmcnt(2)
	v_add_f64 v[9:10], v[11:12], v[19:20]
	s_waitcnt vmcnt(1)
	v_add_f64 v[5:6], v[5:6], v[33:34]
	global_store_dwordx2 v[13:14], v[9:10], off
	global_store_dwordx2 v[17:18], v[5:6], off
	s_waitcnt vmcnt(2)
	v_fma_f64 v[7:8], -v[21:22], v[3:4], v[7:8]
.LBB132_16:                             ;   in Loop: Header=BB132_5 Depth=1
	s_or_b64 exec, exec, s[20:21]
	v_mov_b32_e32 v3, v7
	v_mov_b32_e32 v4, v8
                                        ; implicit-def: $vgpr21_vgpr22
                                        ; implicit-def: $vgpr7_vgpr8
                                        ; implicit-def: $vgpr23_vgpr24
                                        ; implicit-def: $vgpr19_vgpr20
                                        ; implicit-def: $vgpr15_vgpr16
                                        ; implicit-def: $vgpr17_vgpr18
                                        ; implicit-def: $vgpr5_vgpr6
.LBB132_17:                             ;   in Loop: Header=BB132_5 Depth=1
	s_or_saveexec_b64 s[2:3], s[4:5]
	v_mov_b32_e32 v1, s27
	s_xor_b64 exec, exec, s[2:3]
	s_cbranch_execz .LBB132_4
; %bb.18:                               ;   in Loop: Header=BB132_5 Depth=1
	v_div_scale_f64 v[9:10], s[4:5], v[3:4], v[3:4], 1.0
	v_rcp_f64_e32 v[11:12], v[9:10]
	v_fma_f64 v[13:14], -v[9:10], v[11:12], 1.0
	v_fma_f64 v[11:12], v[11:12], v[13:14], v[11:12]
	v_div_scale_f64 v[13:14], vcc, 1.0, v[3:4], 1.0
	v_fma_f64 v[25:26], -v[9:10], v[11:12], 1.0
	v_fma_f64 v[11:12], v[11:12], v[25:26], v[11:12]
	v_mul_f64 v[25:26], v[13:14], v[11:12]
	v_fma_f64 v[9:10], -v[9:10], v[25:26], v[13:14]
	v_div_fmas_f64 v[9:10], v[9:10], v[11:12], v[25:26]
	v_div_fixup_f64 v[3:4], v[9:10], v[3:4], 1.0
	s_waitcnt vmcnt(1)
	v_mul_f64 v[9:10], v[3:4], v[23:24]
	s_waitcnt vmcnt(0)
	v_mul_f64 v[11:12], v[3:4], v[19:20]
	global_store_dwordx2 v[15:16], v[9:10], off
	global_store_dwordx2 v[17:18], v[11:12], off
	s_and_saveexec_b64 s[4:5], s[0:1]
	s_cbranch_execz .LBB132_3
; %bb.19:                               ;   in Loop: Header=BB132_5 Depth=1
	v_add_u32_e32 v15, v29, v30
	v_add_u32_e32 v1, s28, v15
	v_lshlrev_b64 v[13:14], 3, v[1:2]
	v_add_u32_e32 v1, s29, v15
	v_mov_b32_e32 v17, s9
	v_add_co_u32_e32 v13, vcc, s8, v13
	v_lshlrev_b64 v[15:16], 3, v[1:2]
	v_addc_co_u32_e32 v14, vcc, v17, v14, vcc
	v_add_co_u32_e32 v15, vcc, s8, v15
	v_addc_co_u32_e32 v16, vcc, v17, v16, vcc
	global_load_dwordx2 v[17:18], v[13:14], off
	global_load_dwordx2 v[19:20], v[15:16], off
	s_waitcnt vmcnt(1)
	v_fma_f64 v[9:10], -v[5:6], v[9:10], v[17:18]
	s_waitcnt vmcnt(0)
	v_fma_f64 v[5:6], -v[5:6], v[11:12], v[19:20]
	global_store_dwordx2 v[13:14], v[9:10], off
	global_store_dwordx2 v[15:16], v[5:6], off
	s_branch .LBB132_3
.LBB132_20:
	s_or_b64 exec, exec, s[18:19]
	s_branch .LBB132_22
.LBB132_21:
	v_mov_b32_e32 v30, 0
.LBB132_22:
	v_subrev_u32_e32 v3, s22, v30
	v_add_u32_e32 v1, v3, v0
	v_ashrrev_i32_e32 v2, 31, v1
	v_lshlrev_b64 v[1:2], 2, v[1:2]
	s_waitcnt lgkmcnt(0)
	v_mov_b32_e32 v4, s17
	v_add_co_u32_e32 v1, vcc, s16, v1
	v_addc_co_u32_e32 v2, vcc, v4, v2, vcc
	s_waitcnt vmcnt(0)
	buffer_wbinvl1_vol
	global_load_dword v1, v[1:2], off
	s_waitcnt vmcnt(0)
	v_mul_lo_u32 v1, v1, s22
	v_sub_u32_e32 v7, v3, v1
	v_cmp_lt_i32_e32 vcc, -1, v7
	s_and_b64 exec, exec, vcc
	s_cbranch_execz .LBB132_29
; %bb.23:
	s_lshl_b32 s4, s24, 1
	s_add_i32 s5, s4, s23
	s_lshl_b32 s6, s22, 1
	s_mov_b64 s[0:1], 0
	v_mov_b32_e32 v8, s17
	v_mov_b32_e32 v9, s11
	;; [unrolled: 1-line block ×3, first 2 shown]
	s_branch .LBB132_25
.LBB132_24:                             ;   in Loop: Header=BB132_25 Depth=1
	s_or_b64 exec, exec, s[2:3]
	v_sub_u32_e32 v7, v7, v1
	v_cmp_gt_i32_e32 vcc, 0, v7
	s_or_b64 s[0:1], vcc, s[0:1]
	s_andn2_b64 exec, exec, s[0:1]
	s_cbranch_execz .LBB132_29
.LBB132_25:                             ; =>This Inner Loop Header: Depth=1
	v_add_u32_e32 v5, v7, v0
	v_ashrrev_i32_e32 v6, 31, v5
	s_waitcnt vmcnt(0)
	v_lshlrev_b64 v[3:4], 2, v[5:6]
	v_add_co_u32_e32 v3, vcc, s16, v3
	v_addc_co_u32_e32 v4, vcc, v8, v4, vcc
	global_load_dword v1, v[3:4], off
	v_lshlrev_b64 v[3:4], 3, v[5:6]
	v_add_co_u32_e32 v3, vcc, s10, v3
	v_addc_co_u32_e32 v4, vcc, v9, v4, vcc
	global_load_dwordx2 v[3:4], v[3:4], off
	s_waitcnt vmcnt(1)
	v_cmp_ne_u32_e32 vcc, 1, v1
	s_and_saveexec_b64 s[2:3], vcc
	s_xor_b64 s[2:3], exec, s[2:3]
	s_cbranch_execz .LBB132_27
; %bb.26:                               ;   in Loop: Header=BB132_25 Depth=1
	v_add_u32_e32 v6, v29, v7
	v_add_u32_e32 v1, s4, v6
	v_lshlrev_b64 v[10:11], 3, v[1:2]
	v_mov_b32_e32 v1, s9
	v_add_co_u32_e32 v10, vcc, s8, v10
	v_addc_co_u32_e32 v11, vcc, v1, v11, vcc
	v_add_u32_e32 v1, s5, v6
	v_lshlrev_b64 v[12:13], 3, v[1:2]
	v_add_u32_e32 v1, s4, v5
	v_lshlrev_b64 v[14:15], 3, v[1:2]
	v_mov_b32_e32 v1, s9
	v_add_co_u32_e32 v14, vcc, s8, v14
	v_addc_co_u32_e32 v15, vcc, v1, v15, vcc
	global_load_dwordx2 v[16:17], v[10:11], off
	global_load_dwordx2 v[18:19], v[14:15], off
	v_add_co_u32_e32 v10, vcc, s8, v12
	v_addc_co_u32_e32 v11, vcc, v1, v13, vcc
	v_add_u32_e32 v1, s5, v5
	v_lshlrev_b64 v[5:6], 3, v[1:2]
	global_load_dwordx2 v[10:11], v[10:11], off
	v_add_co_u32_e32 v5, vcc, s8, v5
	v_subrev_u32_e32 v1, s22, v7
	v_mov_b32_e32 v20, s9
	s_waitcnt vmcnt(1)
	v_fma_f64 v[12:13], -v[3:4], v[16:17], v[18:19]
	v_mov_b32_e32 v18, s9
	v_addc_co_u32_e32 v6, vcc, v18, v6, vcc
	global_store_dwordx2 v[14:15], v[12:13], off
	global_load_dwordx2 v[12:13], v[5:6], off
	v_add_u32_e32 v14, v1, v0
	v_ashrrev_i32_e32 v15, 31, v14
	v_lshlrev_b64 v[18:19], 3, v[14:15]
	v_add_u32_e32 v1, s4, v14
	v_add_co_u32_e32 v18, vcc, s10, v18
	v_addc_co_u32_e32 v19, vcc, v9, v19, vcc
	v_mov_b32_e32 v15, s9
	s_waitcnt vmcnt(0)
	v_fma_f64 v[3:4], -v[3:4], v[10:11], v[12:13]
	global_load_dwordx2 v[12:13], v[18:19], off
	v_lshlrev_b64 v[18:19], 3, v[1:2]
	v_add_u32_e32 v1, s5, v14
	v_add_co_u32_e32 v18, vcc, s8, v18
	v_addc_co_u32_e32 v19, vcc, v20, v19, vcc
	global_store_dwordx2 v[5:6], v[3:4], off
	global_load_dwordx2 v[3:4], v[18:19], off
	v_lshlrev_b64 v[5:6], 3, v[1:2]
	s_waitcnt vmcnt(0)
	v_fma_f64 v[3:4], -v[12:13], v[16:17], v[3:4]
	global_store_dwordx2 v[18:19], v[3:4], off
	v_add_co_u32_e32 v3, vcc, s8, v5
	v_addc_co_u32_e32 v4, vcc, v15, v6, vcc
	global_load_dwordx2 v[5:6], v[3:4], off
	s_waitcnt vmcnt(0)
	v_fma_f64 v[5:6], -v[12:13], v[10:11], v[5:6]
	global_store_dwordx2 v[3:4], v[5:6], off
                                        ; implicit-def: $vgpr5
                                        ; implicit-def: $vgpr3_vgpr4
.LBB132_27:                             ;   in Loop: Header=BB132_25 Depth=1
	s_or_saveexec_b64 s[2:3], s[2:3]
	v_mov_b32_e32 v1, s6
	s_xor_b64 exec, exec, s[2:3]
	s_cbranch_execz .LBB132_24
; %bb.28:                               ;   in Loop: Header=BB132_25 Depth=1
	v_add_u32_e32 v6, v29, v7
	v_add_u32_e32 v1, s4, v6
	v_lshlrev_b64 v[10:11], 3, v[1:2]
	v_mov_b32_e32 v1, s9
	v_add_co_u32_e32 v10, vcc, s8, v10
	v_addc_co_u32_e32 v11, vcc, v1, v11, vcc
	v_add_u32_e32 v1, s4, v5
	v_lshlrev_b64 v[12:13], 3, v[1:2]
	v_mov_b32_e32 v1, s9
	v_add_co_u32_e32 v12, vcc, s8, v12
	v_addc_co_u32_e32 v13, vcc, v1, v13, vcc
	global_load_dwordx2 v[14:15], v[10:11], off
	global_load_dwordx2 v[16:17], v[12:13], off
	v_add_u32_e32 v1, s5, v6
	v_lshlrev_b64 v[10:11], 3, v[1:2]
	v_add_u32_e32 v1, s5, v5
	v_mov_b32_e32 v18, s9
	v_lshlrev_b64 v[5:6], 3, v[1:2]
	v_add_co_u32_e32 v10, vcc, s8, v10
	v_addc_co_u32_e32 v11, vcc, v18, v11, vcc
	v_mov_b32_e32 v19, s9
	v_add_co_u32_e32 v5, vcc, s8, v5
	v_addc_co_u32_e32 v6, vcc, v19, v6, vcc
	v_mov_b32_e32 v1, s22
	s_waitcnt vmcnt(0)
	v_fma_f64 v[14:15], -v[3:4], v[14:15], v[16:17]
	global_store_dwordx2 v[12:13], v[14:15], off
	global_load_dwordx2 v[12:13], v[10:11], off
	s_nop 0
	global_load_dwordx2 v[14:15], v[5:6], off
	s_waitcnt vmcnt(0)
	v_fma_f64 v[3:4], -v[3:4], v[12:13], v[14:15]
	global_store_dwordx2 v[5:6], v[3:4], off
	s_branch .LBB132_24
.LBB132_29:
	s_endpgm
	.section	.rodata,"a",@progbits
	.p2align	6, 0x0
	.amdhsa_kernel _ZN9rocsparseL19gtsv_LBM_rhs_kernelILj256ELj16ELj2EdEEviiiPKT2_S3_S3_PS1_S3_PKi
		.amdhsa_group_segment_fixed_size 0
		.amdhsa_private_segment_fixed_size 0
		.amdhsa_kernarg_size 64
		.amdhsa_user_sgpr_count 6
		.amdhsa_user_sgpr_private_segment_buffer 1
		.amdhsa_user_sgpr_dispatch_ptr 0
		.amdhsa_user_sgpr_queue_ptr 0
		.amdhsa_user_sgpr_kernarg_segment_ptr 1
		.amdhsa_user_sgpr_dispatch_id 0
		.amdhsa_user_sgpr_flat_scratch_init 0
		.amdhsa_user_sgpr_private_segment_size 0
		.amdhsa_uses_dynamic_stack 0
		.amdhsa_system_sgpr_private_segment_wavefront_offset 0
		.amdhsa_system_sgpr_workgroup_id_x 1
		.amdhsa_system_sgpr_workgroup_id_y 1
		.amdhsa_system_sgpr_workgroup_id_z 0
		.amdhsa_system_sgpr_workgroup_info 0
		.amdhsa_system_vgpr_workitem_id 0
		.amdhsa_next_free_vgpr 39
		.amdhsa_next_free_sgpr 30
		.amdhsa_reserve_vcc 1
		.amdhsa_reserve_flat_scratch 0
		.amdhsa_float_round_mode_32 0
		.amdhsa_float_round_mode_16_64 0
		.amdhsa_float_denorm_mode_32 3
		.amdhsa_float_denorm_mode_16_64 3
		.amdhsa_dx10_clamp 1
		.amdhsa_ieee_mode 1
		.amdhsa_fp16_overflow 0
		.amdhsa_exception_fp_ieee_invalid_op 0
		.amdhsa_exception_fp_denorm_src 0
		.amdhsa_exception_fp_ieee_div_zero 0
		.amdhsa_exception_fp_ieee_overflow 0
		.amdhsa_exception_fp_ieee_underflow 0
		.amdhsa_exception_fp_ieee_inexact 0
		.amdhsa_exception_int_div_zero 0
	.end_amdhsa_kernel
	.section	.text._ZN9rocsparseL19gtsv_LBM_rhs_kernelILj256ELj16ELj2EdEEviiiPKT2_S3_S3_PS1_S3_PKi,"axG",@progbits,_ZN9rocsparseL19gtsv_LBM_rhs_kernelILj256ELj16ELj2EdEEviiiPKT2_S3_S3_PS1_S3_PKi,comdat
.Lfunc_end132:
	.size	_ZN9rocsparseL19gtsv_LBM_rhs_kernelILj256ELj16ELj2EdEEviiiPKT2_S3_S3_PS1_S3_PKi, .Lfunc_end132-_ZN9rocsparseL19gtsv_LBM_rhs_kernelILj256ELj16ELj2EdEEviiiPKT2_S3_S3_PS1_S3_PKi
                                        ; -- End function
	.set _ZN9rocsparseL19gtsv_LBM_rhs_kernelILj256ELj16ELj2EdEEviiiPKT2_S3_S3_PS1_S3_PKi.num_vgpr, 39
	.set _ZN9rocsparseL19gtsv_LBM_rhs_kernelILj256ELj16ELj2EdEEviiiPKT2_S3_S3_PS1_S3_PKi.num_agpr, 0
	.set _ZN9rocsparseL19gtsv_LBM_rhs_kernelILj256ELj16ELj2EdEEviiiPKT2_S3_S3_PS1_S3_PKi.numbered_sgpr, 30
	.set _ZN9rocsparseL19gtsv_LBM_rhs_kernelILj256ELj16ELj2EdEEviiiPKT2_S3_S3_PS1_S3_PKi.num_named_barrier, 0
	.set _ZN9rocsparseL19gtsv_LBM_rhs_kernelILj256ELj16ELj2EdEEviiiPKT2_S3_S3_PS1_S3_PKi.private_seg_size, 0
	.set _ZN9rocsparseL19gtsv_LBM_rhs_kernelILj256ELj16ELj2EdEEviiiPKT2_S3_S3_PS1_S3_PKi.uses_vcc, 1
	.set _ZN9rocsparseL19gtsv_LBM_rhs_kernelILj256ELj16ELj2EdEEviiiPKT2_S3_S3_PS1_S3_PKi.uses_flat_scratch, 0
	.set _ZN9rocsparseL19gtsv_LBM_rhs_kernelILj256ELj16ELj2EdEEviiiPKT2_S3_S3_PS1_S3_PKi.has_dyn_sized_stack, 0
	.set _ZN9rocsparseL19gtsv_LBM_rhs_kernelILj256ELj16ELj2EdEEviiiPKT2_S3_S3_PS1_S3_PKi.has_recursion, 0
	.set _ZN9rocsparseL19gtsv_LBM_rhs_kernelILj256ELj16ELj2EdEEviiiPKT2_S3_S3_PS1_S3_PKi.has_indirect_call, 0
	.section	.AMDGPU.csdata,"",@progbits
; Kernel info:
; codeLenInByte = 2144
; TotalNumSgprs: 34
; NumVgprs: 39
; ScratchSize: 0
; MemoryBound: 0
; FloatMode: 240
; IeeeMode: 1
; LDSByteSize: 0 bytes/workgroup (compile time only)
; SGPRBlocks: 4
; VGPRBlocks: 9
; NumSGPRsForWavesPerEU: 34
; NumVGPRsForWavesPerEU: 39
; Occupancy: 6
; WaveLimiterHint : 0
; COMPUTE_PGM_RSRC2:SCRATCH_EN: 0
; COMPUTE_PGM_RSRC2:USER_SGPR: 6
; COMPUTE_PGM_RSRC2:TRAP_HANDLER: 0
; COMPUTE_PGM_RSRC2:TGID_X_EN: 1
; COMPUTE_PGM_RSRC2:TGID_Y_EN: 1
; COMPUTE_PGM_RSRC2:TGID_Z_EN: 0
; COMPUTE_PGM_RSRC2:TIDIG_COMP_CNT: 0
	.section	.text._ZN9rocsparseL19gtsv_LBM_rhs_kernelILj256ELj16ELj1EdEEviiiPKT2_S3_S3_PS1_S3_PKi,"axG",@progbits,_ZN9rocsparseL19gtsv_LBM_rhs_kernelILj256ELj16ELj1EdEEviiiPKT2_S3_S3_PS1_S3_PKi,comdat
	.globl	_ZN9rocsparseL19gtsv_LBM_rhs_kernelILj256ELj16ELj1EdEEviiiPKT2_S3_S3_PS1_S3_PKi ; -- Begin function _ZN9rocsparseL19gtsv_LBM_rhs_kernelILj256ELj16ELj1EdEEviiiPKT2_S3_S3_PS1_S3_PKi
	.p2align	8
	.type	_ZN9rocsparseL19gtsv_LBM_rhs_kernelILj256ELj16ELj1EdEEviiiPKT2_S3_S3_PS1_S3_PKi,@function
_ZN9rocsparseL19gtsv_LBM_rhs_kernelILj256ELj16ELj1EdEEviiiPKT2_S3_S3_PS1_S3_PKi: ; @_ZN9rocsparseL19gtsv_LBM_rhs_kernelILj256ELj16ELj1EdEEviiiPKT2_S3_S3_PS1_S3_PKi
; %bb.0:
	s_load_dword s24, s[4:5], 0x0
	v_lshl_or_b32 v0, s6, 8, v0
	s_waitcnt lgkmcnt(0)
	s_lshr_b32 s22, s24, 4
	v_cmp_gt_i32_e32 vcc, s22, v0
	s_and_saveexec_b64 s[0:1], vcc
	s_cbranch_execz .LBB133_29
; %bb.1:
	s_load_dwordx4 s[8:11], s[4:5], 0x28
	s_load_dwordx2 s[16:17], s[4:5], 0x38
	s_cmp_lt_i32 s24, 1
	s_mul_i32 s23, s24, s7
	s_cbranch_scc1 .LBB133_21
; %bb.2:
	s_load_dwordx4 s[12:15], s[4:5], 0x10
	s_load_dwordx2 s[6:7], s[4:5], 0x20
	v_ashrrev_i32_e32 v1, 31, v0
	v_lshlrev_b64 v[1:2], 3, v[0:1]
	v_add_u32_e32 v24, s22, v0
	s_waitcnt lgkmcnt(0)
	v_mov_b32_e32 v3, s15
	v_add_co_u32_e32 v1, vcc, s14, v1
	v_addc_co_u32_e32 v2, vcc, v3, v2, vcc
	global_load_dwordx2 v[3:4], v[1:2], off
	s_mul_i32 s25, s22, 15
	s_mul_i32 s26, s22, 14
	s_lshl_b32 s27, s22, 1
	v_add_u32_e32 v25, s22, v24
	v_add_u32_e32 v26, s23, v24
	v_mov_b32_e32 v2, 0
	s_mov_b64 s[18:19], 0
	v_mov_b32_e32 v27, s7
	v_mov_b32_e32 v23, 0
	s_branch .LBB133_5
.LBB133_3:                              ;   in Loop: Header=BB133_5 Depth=1
	s_or_b64 exec, exec, s[4:5]
	v_fma_f64 v[3:4], -v[3:4], v[19:20], v[7:8]
	v_mov_b32_e32 v1, s22
.LBB133_4:                              ;   in Loop: Header=BB133_5 Depth=1
	s_or_b64 exec, exec, s[2:3]
	v_add_u32_e32 v23, v1, v23
	v_cmp_le_i32_e32 vcc, s24, v23
	s_or_b64 s[18:19], vcc, s[18:19]
	s_andn2_b64 exec, exec, s[18:19]
	s_cbranch_execz .LBB133_20
.LBB133_5:                              ; =>This Inner Loop Header: Depth=1
	v_add_u32_e32 v15, v23, v0
	v_ashrrev_i32_e32 v16, 31, v15
	v_lshlrev_b64 v[5:6], 3, v[15:16]
	v_mov_b32_e32 v7, 0
	v_add_co_u32_e32 v5, vcc, s6, v5
	v_addc_co_u32_e32 v6, vcc, v27, v6, vcc
	global_load_dwordx2 v[9:10], v[5:6], off
	v_mov_b32_e32 v5, 0
	v_cmp_gt_u32_e64 s[0:1], s25, v23
	v_mov_b32_e32 v8, 0
	v_mov_b32_e32 v6, 0
	s_waitcnt vmcnt(1)
	v_add_u32_e32 v17, v24, v23
	s_and_saveexec_b64 s[2:3], s[0:1]
	s_cbranch_execz .LBB133_7
; %bb.6:                                ;   in Loop: Header=BB133_5 Depth=1
	v_ashrrev_i32_e32 v18, 31, v17
	v_lshlrev_b64 v[5:6], 3, v[17:18]
	v_mov_b32_e32 v1, s13
	v_add_co_u32_e32 v5, vcc, s12, v5
	v_addc_co_u32_e32 v6, vcc, v1, v6, vcc
	global_load_dwordx2 v[5:6], v[5:6], off
.LBB133_7:                              ;   in Loop: Header=BB133_5 Depth=1
	s_or_b64 exec, exec, s[2:3]
	s_and_saveexec_b64 s[2:3], s[0:1]
	s_cbranch_execz .LBB133_9
; %bb.8:                                ;   in Loop: Header=BB133_5 Depth=1
	v_ashrrev_i32_e32 v18, 31, v17
	v_lshlrev_b64 v[7:8], 3, v[17:18]
	v_mov_b32_e32 v1, s15
	v_add_co_u32_e32 v7, vcc, s14, v7
	v_addc_co_u32_e32 v8, vcc, v1, v8, vcc
	global_load_dwordx2 v[7:8], v[7:8], off
.LBB133_9:                              ;   in Loop: Header=BB133_5 Depth=1
	s_or_b64 exec, exec, s[2:3]
	v_mov_b32_e32 v13, 0
	v_mov_b32_e32 v11, 0
	;; [unrolled: 1-line block ×4, first 2 shown]
	s_and_saveexec_b64 s[2:3], s[0:1]
	s_cbranch_execz .LBB133_11
; %bb.10:                               ;   in Loop: Header=BB133_5 Depth=1
	v_ashrrev_i32_e32 v18, 31, v17
	v_lshlrev_b64 v[11:12], 3, v[17:18]
	v_mov_b32_e32 v1, s7
	v_add_co_u32_e32 v11, vcc, s6, v11
	v_addc_co_u32_e32 v12, vcc, v1, v12, vcc
	global_load_dwordx2 v[11:12], v[11:12], off
.LBB133_11:                             ;   in Loop: Header=BB133_5 Depth=1
	s_or_b64 exec, exec, s[2:3]
	v_cmp_gt_u32_e64 s[2:3], s26, v23
	s_and_saveexec_b64 s[4:5], s[2:3]
	s_cbranch_execz .LBB133_13
; %bb.12:                               ;   in Loop: Header=BB133_5 Depth=1
	v_add_u32_e32 v13, v25, v23
	v_ashrrev_i32_e32 v14, 31, v13
	v_lshlrev_b64 v[13:14], 3, v[13:14]
	v_mov_b32_e32 v1, s13
	v_add_co_u32_e32 v13, vcc, s12, v13
	v_addc_co_u32_e32 v14, vcc, v1, v14, vcc
	global_load_dwordx2 v[13:14], v[13:14], off
.LBB133_13:                             ;   in Loop: Header=BB133_5 Depth=1
	s_or_b64 exec, exec, s[4:5]
	v_lshlrev_b64 v[16:17], 2, v[15:16]
	v_mov_b32_e32 v1, s17
	v_add_co_u32_e32 v16, vcc, s16, v16
	v_addc_co_u32_e32 v17, vcc, v1, v17, vcc
	v_add_u32_e32 v1, s23, v15
	global_load_dword v21, v[16:17], off
	v_lshlrev_b64 v[15:16], 3, v[1:2]
	v_mov_b32_e32 v1, s9
	v_add_co_u32_e32 v15, vcc, s8, v15
	v_addc_co_u32_e32 v16, vcc, v1, v16, vcc
	global_load_dwordx2 v[17:18], v[15:16], off
	s_waitcnt vmcnt(2)
	v_mul_f64 v[19:20], v[9:10], v[5:6]
	v_cmp_ne_u32_e64 s[4:5], s25, v23
	s_waitcnt vmcnt(1)
	v_cmp_ne_u32_e32 vcc, 1, v21
	s_and_b64 s[4:5], s[4:5], vcc
	s_and_saveexec_b64 s[20:21], s[4:5]
	s_xor_b64 s[4:5], exec, s[20:21]
	s_cbranch_execz .LBB133_17
; %bb.14:                               ;   in Loop: Header=BB133_5 Depth=1
	v_fma_f64 v[19:20], v[3:4], v[7:8], -v[19:20]
	v_add_u32_e32 v1, v26, v23
	v_div_scale_f64 v[21:22], s[20:21], v[19:20], v[19:20], 1.0
	v_rcp_f64_e32 v[28:29], v[21:22]
	v_fma_f64 v[30:31], -v[21:22], v[28:29], 1.0
	v_fma_f64 v[28:29], v[28:29], v[30:31], v[28:29]
	v_fma_f64 v[30:31], -v[21:22], v[28:29], 1.0
	v_fma_f64 v[28:29], v[28:29], v[30:31], v[28:29]
	v_div_scale_f64 v[30:31], vcc, 1.0, v[19:20], 1.0
	v_mul_f64 v[32:33], v[30:31], v[28:29]
	v_fma_f64 v[21:22], -v[21:22], v[32:33], v[30:31]
	v_mov_b32_e32 v30, s9
	s_nop 0
	v_div_fmas_f64 v[21:22], v[21:22], v[28:29], v[32:33]
	v_lshlrev_b64 v[28:29], 3, v[1:2]
	v_add_co_u32_e32 v28, vcc, s8, v28
	v_addc_co_u32_e32 v29, vcc, v30, v29, vcc
	v_div_fixup_f64 v[19:20], v[21:22], v[19:20], 1.0
	global_load_dwordx2 v[21:22], v[28:29], off
	s_waitcnt vmcnt(1)
	v_mul_f64 v[17:18], v[19:20], v[17:18]
	s_waitcnt vmcnt(0)
	v_mul_f64 v[21:22], v[19:20], v[21:22]
	v_mul_f64 v[9:10], v[9:10], v[21:22]
	v_fma_f64 v[7:8], v[7:8], v[17:18], -v[9:10]
	global_store_dwordx2 v[15:16], v[7:8], off
	v_mul_f64 v[7:8], v[5:6], v[17:18]
	v_fma_f64 v[9:10], v[3:4], v[21:22], -v[7:8]
	v_mov_b32_e32 v7, 0
	v_mov_b32_e32 v8, 0
	global_store_dwordx2 v[28:29], v[9:10], off
	s_and_saveexec_b64 s[20:21], s[2:3]
	s_cbranch_execz .LBB133_16
; %bb.15:                               ;   in Loop: Header=BB133_5 Depth=1
	v_add_u32_e32 v7, v25, v23
	v_add_u32_e32 v1, s23, v7
	v_lshlrev_b64 v[8:9], 3, v[1:2]
	v_mov_b32_e32 v1, s9
	v_add_co_u32_e32 v15, vcc, s8, v8
	v_ashrrev_i32_e32 v8, 31, v7
	v_lshlrev_b64 v[7:8], 3, v[7:8]
	v_addc_co_u32_e32 v16, vcc, v1, v9, vcc
	v_mov_b32_e32 v1, s15
	v_add_co_u32_e32 v7, vcc, s14, v7
	v_addc_co_u32_e32 v8, vcc, v1, v8, vcc
	global_load_dwordx2 v[9:10], v[15:16], off
	v_mul_f64 v[3:4], v[3:4], v[13:14]
	global_load_dwordx2 v[7:8], v[7:8], off
	v_mul_f64 v[5:6], v[5:6], v[13:14]
	v_mul_f64 v[13:14], v[3:4], v[21:22]
	v_mul_f64 v[3:4], v[11:12], v[3:4]
	v_fma_f64 v[5:6], v[5:6], v[17:18], -v[13:14]
	s_waitcnt vmcnt(1)
	v_add_f64 v[5:6], v[5:6], v[9:10]
	s_waitcnt vmcnt(0)
	v_fma_f64 v[7:8], -v[19:20], v[3:4], v[7:8]
	global_store_dwordx2 v[15:16], v[5:6], off
.LBB133_16:                             ;   in Loop: Header=BB133_5 Depth=1
	s_or_b64 exec, exec, s[20:21]
	v_mov_b32_e32 v3, v7
	v_mov_b32_e32 v4, v8
                                        ; implicit-def: $vgpr19_vgpr20
                                        ; implicit-def: $vgpr7_vgpr8
                                        ; implicit-def: $vgpr17_vgpr18
                                        ; implicit-def: $vgpr15_vgpr16
                                        ; implicit-def: $vgpr5_vgpr6
.LBB133_17:                             ;   in Loop: Header=BB133_5 Depth=1
	s_or_saveexec_b64 s[2:3], s[4:5]
	v_mov_b32_e32 v1, s27
	s_xor_b64 exec, exec, s[2:3]
	s_cbranch_execz .LBB133_4
; %bb.18:                               ;   in Loop: Header=BB133_5 Depth=1
	v_div_scale_f64 v[9:10], s[4:5], v[3:4], v[3:4], 1.0
	v_div_scale_f64 v[21:22], vcc, 1.0, v[3:4], 1.0
	v_rcp_f64_e32 v[11:12], v[9:10]
	v_fma_f64 v[13:14], -v[9:10], v[11:12], 1.0
	v_fma_f64 v[11:12], v[11:12], v[13:14], v[11:12]
	v_fma_f64 v[13:14], -v[9:10], v[11:12], 1.0
	v_fma_f64 v[11:12], v[11:12], v[13:14], v[11:12]
	v_mul_f64 v[13:14], v[21:22], v[11:12]
	v_fma_f64 v[9:10], -v[9:10], v[13:14], v[21:22]
	v_div_fmas_f64 v[9:10], v[9:10], v[11:12], v[13:14]
	v_div_fixup_f64 v[3:4], v[9:10], v[3:4], 1.0
	s_waitcnt vmcnt(0)
	v_mul_f64 v[9:10], v[3:4], v[17:18]
	global_store_dwordx2 v[15:16], v[9:10], off
	s_and_saveexec_b64 s[4:5], s[0:1]
	s_cbranch_execz .LBB133_3
; %bb.19:                               ;   in Loop: Header=BB133_5 Depth=1
	v_add_u32_e32 v1, v26, v23
	v_lshlrev_b64 v[11:12], 3, v[1:2]
	v_mov_b32_e32 v1, s9
	v_add_co_u32_e32 v11, vcc, s8, v11
	v_addc_co_u32_e32 v12, vcc, v1, v12, vcc
	global_load_dwordx2 v[13:14], v[11:12], off
	s_waitcnt vmcnt(0)
	v_fma_f64 v[5:6], -v[5:6], v[9:10], v[13:14]
	global_store_dwordx2 v[11:12], v[5:6], off
	s_branch .LBB133_3
.LBB133_20:
	s_or_b64 exec, exec, s[18:19]
	s_branch .LBB133_22
.LBB133_21:
	v_mov_b32_e32 v23, 0
.LBB133_22:
	v_subrev_u32_e32 v3, s22, v23
	v_add_u32_e32 v1, v3, v0
	v_ashrrev_i32_e32 v2, 31, v1
	v_lshlrev_b64 v[1:2], 2, v[1:2]
	s_waitcnt lgkmcnt(0)
	v_mov_b32_e32 v4, s17
	v_add_co_u32_e32 v1, vcc, s16, v1
	v_addc_co_u32_e32 v2, vcc, v4, v2, vcc
	s_waitcnt vmcnt(0)
	buffer_wbinvl1_vol
	global_load_dword v1, v[1:2], off
	s_waitcnt vmcnt(0)
	v_mul_lo_u32 v1, v1, s22
	v_sub_u32_e32 v7, v3, v1
	v_cmp_lt_i32_e32 vcc, -1, v7
	s_and_b64 exec, exec, vcc
	s_cbranch_execz .LBB133_29
; %bb.23:
	s_add_i32 s0, s23, s22
	v_add_u32_e32 v8, s0, v0
	s_lshl_b32 s4, s22, 1
	s_mov_b64 s[0:1], 0
	v_mov_b32_e32 v9, s17
	v_mov_b32_e32 v10, s11
	;; [unrolled: 1-line block ×3, first 2 shown]
	s_branch .LBB133_25
.LBB133_24:                             ;   in Loop: Header=BB133_25 Depth=1
	s_or_b64 exec, exec, s[2:3]
	v_sub_u32_e32 v7, v7, v1
	v_cmp_gt_i32_e32 vcc, 0, v7
	s_or_b64 s[0:1], vcc, s[0:1]
	s_andn2_b64 exec, exec, s[0:1]
	s_cbranch_execz .LBB133_29
.LBB133_25:                             ; =>This Inner Loop Header: Depth=1
	v_add_u32_e32 v5, v7, v0
	v_ashrrev_i32_e32 v6, 31, v5
	s_waitcnt vmcnt(0)
	v_lshlrev_b64 v[3:4], 2, v[5:6]
	v_add_co_u32_e32 v3, vcc, s16, v3
	v_addc_co_u32_e32 v4, vcc, v9, v4, vcc
	global_load_dword v1, v[3:4], off
	v_lshlrev_b64 v[3:4], 3, v[5:6]
	v_add_co_u32_e32 v3, vcc, s10, v3
	v_addc_co_u32_e32 v4, vcc, v10, v4, vcc
	global_load_dwordx2 v[3:4], v[3:4], off
	s_waitcnt vmcnt(1)
	v_cmp_ne_u32_e32 vcc, 1, v1
	s_and_saveexec_b64 s[2:3], vcc
	s_xor_b64 s[2:3], exec, s[2:3]
	s_cbranch_execz .LBB133_27
; %bb.26:                               ;   in Loop: Header=BB133_25 Depth=1
	v_add_u32_e32 v1, v8, v7
	v_lshlrev_b64 v[11:12], 3, v[1:2]
	v_mov_b32_e32 v1, s9
	v_add_co_u32_e32 v11, vcc, s8, v11
	v_addc_co_u32_e32 v12, vcc, v1, v12, vcc
	v_add_u32_e32 v1, s23, v5
	v_lshlrev_b64 v[5:6], 3, v[1:2]
	v_mov_b32_e32 v1, s9
	v_add_co_u32_e32 v5, vcc, s8, v5
	v_addc_co_u32_e32 v6, vcc, v1, v6, vcc
	global_load_dwordx2 v[13:14], v[11:12], off
	global_load_dwordx2 v[15:16], v[5:6], off
	v_subrev_u32_e32 v1, s22, v7
	v_add_u32_e32 v11, v1, v0
	v_ashrrev_i32_e32 v12, 31, v11
	v_add_u32_e32 v1, s23, v11
	v_lshlrev_b64 v[11:12], 3, v[11:12]
	v_mov_b32_e32 v17, s9
	v_add_co_u32_e32 v11, vcc, s10, v11
	v_addc_co_u32_e32 v12, vcc, v10, v12, vcc
	global_load_dwordx2 v[11:12], v[11:12], off
	s_waitcnt vmcnt(1)
	v_fma_f64 v[3:4], -v[3:4], v[13:14], v[15:16]
	v_lshlrev_b64 v[15:16], 3, v[1:2]
	global_store_dwordx2 v[5:6], v[3:4], off
	v_add_co_u32_e32 v3, vcc, s8, v15
	v_addc_co_u32_e32 v4, vcc, v17, v16, vcc
	global_load_dwordx2 v[5:6], v[3:4], off
	s_waitcnt vmcnt(0)
	v_fma_f64 v[5:6], -v[11:12], v[13:14], v[5:6]
	global_store_dwordx2 v[3:4], v[5:6], off
                                        ; implicit-def: $vgpr5
                                        ; implicit-def: $vgpr3_vgpr4
.LBB133_27:                             ;   in Loop: Header=BB133_25 Depth=1
	s_or_saveexec_b64 s[2:3], s[2:3]
	v_mov_b32_e32 v1, s4
	s_xor_b64 exec, exec, s[2:3]
	s_cbranch_execz .LBB133_24
; %bb.28:                               ;   in Loop: Header=BB133_25 Depth=1
	v_add_u32_e32 v1, v8, v7
	v_lshlrev_b64 v[11:12], 3, v[1:2]
	v_mov_b32_e32 v1, s9
	v_add_co_u32_e32 v11, vcc, s8, v11
	v_addc_co_u32_e32 v12, vcc, v1, v12, vcc
	v_add_u32_e32 v1, s23, v5
	v_lshlrev_b64 v[5:6], 3, v[1:2]
	v_mov_b32_e32 v1, s9
	v_add_co_u32_e32 v5, vcc, s8, v5
	v_addc_co_u32_e32 v6, vcc, v1, v6, vcc
	global_load_dwordx2 v[13:14], v[11:12], off
	global_load_dwordx2 v[15:16], v[5:6], off
	v_mov_b32_e32 v1, s22
	s_waitcnt vmcnt(0)
	v_fma_f64 v[3:4], -v[3:4], v[13:14], v[15:16]
	global_store_dwordx2 v[5:6], v[3:4], off
	s_branch .LBB133_24
.LBB133_29:
	s_endpgm
	.section	.rodata,"a",@progbits
	.p2align	6, 0x0
	.amdhsa_kernel _ZN9rocsparseL19gtsv_LBM_rhs_kernelILj256ELj16ELj1EdEEviiiPKT2_S3_S3_PS1_S3_PKi
		.amdhsa_group_segment_fixed_size 0
		.amdhsa_private_segment_fixed_size 0
		.amdhsa_kernarg_size 64
		.amdhsa_user_sgpr_count 6
		.amdhsa_user_sgpr_private_segment_buffer 1
		.amdhsa_user_sgpr_dispatch_ptr 0
		.amdhsa_user_sgpr_queue_ptr 0
		.amdhsa_user_sgpr_kernarg_segment_ptr 1
		.amdhsa_user_sgpr_dispatch_id 0
		.amdhsa_user_sgpr_flat_scratch_init 0
		.amdhsa_user_sgpr_private_segment_size 0
		.amdhsa_uses_dynamic_stack 0
		.amdhsa_system_sgpr_private_segment_wavefront_offset 0
		.amdhsa_system_sgpr_workgroup_id_x 1
		.amdhsa_system_sgpr_workgroup_id_y 1
		.amdhsa_system_sgpr_workgroup_id_z 0
		.amdhsa_system_sgpr_workgroup_info 0
		.amdhsa_system_vgpr_workitem_id 0
		.amdhsa_next_free_vgpr 34
		.amdhsa_next_free_sgpr 28
		.amdhsa_reserve_vcc 1
		.amdhsa_reserve_flat_scratch 0
		.amdhsa_float_round_mode_32 0
		.amdhsa_float_round_mode_16_64 0
		.amdhsa_float_denorm_mode_32 3
		.amdhsa_float_denorm_mode_16_64 3
		.amdhsa_dx10_clamp 1
		.amdhsa_ieee_mode 1
		.amdhsa_fp16_overflow 0
		.amdhsa_exception_fp_ieee_invalid_op 0
		.amdhsa_exception_fp_denorm_src 0
		.amdhsa_exception_fp_ieee_div_zero 0
		.amdhsa_exception_fp_ieee_overflow 0
		.amdhsa_exception_fp_ieee_underflow 0
		.amdhsa_exception_fp_ieee_inexact 0
		.amdhsa_exception_int_div_zero 0
	.end_amdhsa_kernel
	.section	.text._ZN9rocsparseL19gtsv_LBM_rhs_kernelILj256ELj16ELj1EdEEviiiPKT2_S3_S3_PS1_S3_PKi,"axG",@progbits,_ZN9rocsparseL19gtsv_LBM_rhs_kernelILj256ELj16ELj1EdEEviiiPKT2_S3_S3_PS1_S3_PKi,comdat
.Lfunc_end133:
	.size	_ZN9rocsparseL19gtsv_LBM_rhs_kernelILj256ELj16ELj1EdEEviiiPKT2_S3_S3_PS1_S3_PKi, .Lfunc_end133-_ZN9rocsparseL19gtsv_LBM_rhs_kernelILj256ELj16ELj1EdEEviiiPKT2_S3_S3_PS1_S3_PKi
                                        ; -- End function
	.set _ZN9rocsparseL19gtsv_LBM_rhs_kernelILj256ELj16ELj1EdEEviiiPKT2_S3_S3_PS1_S3_PKi.num_vgpr, 34
	.set _ZN9rocsparseL19gtsv_LBM_rhs_kernelILj256ELj16ELj1EdEEviiiPKT2_S3_S3_PS1_S3_PKi.num_agpr, 0
	.set _ZN9rocsparseL19gtsv_LBM_rhs_kernelILj256ELj16ELj1EdEEviiiPKT2_S3_S3_PS1_S3_PKi.numbered_sgpr, 28
	.set _ZN9rocsparseL19gtsv_LBM_rhs_kernelILj256ELj16ELj1EdEEviiiPKT2_S3_S3_PS1_S3_PKi.num_named_barrier, 0
	.set _ZN9rocsparseL19gtsv_LBM_rhs_kernelILj256ELj16ELj1EdEEviiiPKT2_S3_S3_PS1_S3_PKi.private_seg_size, 0
	.set _ZN9rocsparseL19gtsv_LBM_rhs_kernelILj256ELj16ELj1EdEEviiiPKT2_S3_S3_PS1_S3_PKi.uses_vcc, 1
	.set _ZN9rocsparseL19gtsv_LBM_rhs_kernelILj256ELj16ELj1EdEEviiiPKT2_S3_S3_PS1_S3_PKi.uses_flat_scratch, 0
	.set _ZN9rocsparseL19gtsv_LBM_rhs_kernelILj256ELj16ELj1EdEEviiiPKT2_S3_S3_PS1_S3_PKi.has_dyn_sized_stack, 0
	.set _ZN9rocsparseL19gtsv_LBM_rhs_kernelILj256ELj16ELj1EdEEviiiPKT2_S3_S3_PS1_S3_PKi.has_recursion, 0
	.set _ZN9rocsparseL19gtsv_LBM_rhs_kernelILj256ELj16ELj1EdEEviiiPKT2_S3_S3_PS1_S3_PKi.has_indirect_call, 0
	.section	.AMDGPU.csdata,"",@progbits
; Kernel info:
; codeLenInByte = 1640
; TotalNumSgprs: 32
; NumVgprs: 34
; ScratchSize: 0
; MemoryBound: 0
; FloatMode: 240
; IeeeMode: 1
; LDSByteSize: 0 bytes/workgroup (compile time only)
; SGPRBlocks: 3
; VGPRBlocks: 8
; NumSGPRsForWavesPerEU: 32
; NumVGPRsForWavesPerEU: 34
; Occupancy: 7
; WaveLimiterHint : 0
; COMPUTE_PGM_RSRC2:SCRATCH_EN: 0
; COMPUTE_PGM_RSRC2:USER_SGPR: 6
; COMPUTE_PGM_RSRC2:TRAP_HANDLER: 0
; COMPUTE_PGM_RSRC2:TGID_X_EN: 1
; COMPUTE_PGM_RSRC2:TGID_Y_EN: 1
; COMPUTE_PGM_RSRC2:TGID_Z_EN: 0
; COMPUTE_PGM_RSRC2:TIDIG_COMP_CNT: 0
	.section	.text._ZN9rocsparseL29gtsv_spike_block_level_kernelILj256ELj16EdEEviiiPT1_PKS1_S4_S2_S2_S2_S2_S2_,"axG",@progbits,_ZN9rocsparseL29gtsv_spike_block_level_kernelILj256ELj16EdEEviiiPT1_PKS1_S4_S2_S2_S2_S2_S2_,comdat
	.globl	_ZN9rocsparseL29gtsv_spike_block_level_kernelILj256ELj16EdEEviiiPT1_PKS1_S4_S2_S2_S2_S2_S2_ ; -- Begin function _ZN9rocsparseL29gtsv_spike_block_level_kernelILj256ELj16EdEEviiiPT1_PKS1_S4_S2_S2_S2_S2_S2_
	.p2align	8
	.type	_ZN9rocsparseL29gtsv_spike_block_level_kernelILj256ELj16EdEEviiiPT1_PKS1_S4_S2_S2_S2_S2_S2_,@function
_ZN9rocsparseL29gtsv_spike_block_level_kernelILj256ELj16EdEEviiiPT1_PKS1_S4_S2_S2_S2_S2_S2_: ; @_ZN9rocsparseL29gtsv_spike_block_level_kernelILj256ELj16EdEEviiiPT1_PKS1_S4_S2_S2_S2_S2_S2_
; %bb.0:
	s_load_dword s14, s[4:5], 0x0
	s_load_dwordx2 s[8:9], s[4:5], 0x18
	v_lshl_or_b32 v1, s6, 8, v0
	v_mov_b32_e32 v3, 0
	v_mov_b32_e32 v5, 0
	s_waitcnt lgkmcnt(0)
	s_lshr_b32 s18, s14, 4
	v_mov_b32_e32 v4, 0
	v_mov_b32_e32 v6, 0
	v_cmp_gt_i32_e64 s[0:1], s18, v1
	s_and_saveexec_b64 s[2:3], s[0:1]
	s_cbranch_execz .LBB134_2
; %bb.1:
	v_ashrrev_i32_e32 v2, 31, v1
	v_lshlrev_b64 v[5:6], 3, v[1:2]
	v_mov_b32_e32 v2, s9
	v_add_co_u32_e32 v5, vcc, s8, v5
	v_addc_co_u32_e32 v6, vcc, v2, v6, vcc
	global_load_dwordx2 v[5:6], v[5:6], off
.LBB134_2:
	s_or_b64 exec, exec, s[2:3]
	s_load_dwordx2 s[2:3], s[4:5], 0x20
	v_lshlrev_b32_e32 v9, 3, v0
	v_or_b32_e32 v10, 0x1000, v9
	s_waitcnt vmcnt(0)
	ds_write_b64 v9, v[5:6] offset:4096
	s_and_saveexec_b64 s[10:11], s[0:1]
	s_cbranch_execz .LBB134_4
; %bb.3:
	v_mad_u64_u32 v[2:3], s[12:13], s18, 15, v[1:2]
	v_mov_b32_e32 v3, 0
	v_mov_b32_e32 v4, s9
	v_lshlrev_b64 v[2:3], 3, v[2:3]
	v_add_co_u32_e32 v2, vcc, s8, v2
	v_addc_co_u32_e32 v3, vcc, v4, v3, vcc
	global_load_dwordx2 v[3:4], v[2:3], off
.LBB134_4:
	s_or_b64 exec, exec, s[10:11]
	v_mov_b32_e32 v5, 0
	v_mov_b32_e32 v7, 0
	;; [unrolled: 1-line block ×4, first 2 shown]
	s_waitcnt vmcnt(0)
	ds_write_b64 v10, v[3:4] offset:2048
	s_and_saveexec_b64 s[8:9], s[0:1]
	s_cbranch_execz .LBB134_6
; %bb.5:
	v_ashrrev_i32_e32 v2, 31, v1
	v_lshlrev_b64 v[2:3], 3, v[1:2]
	s_waitcnt lgkmcnt(0)
	v_mov_b32_e32 v4, s3
	v_add_co_u32_e32 v2, vcc, s2, v2
	v_addc_co_u32_e32 v3, vcc, v4, v3, vcc
	global_load_dwordx2 v[7:8], v[2:3], off
.LBB134_6:
	s_or_b64 exec, exec, s[8:9]
	s_load_dwordx2 s[12:13], s[4:5], 0x10
	s_waitcnt vmcnt(0)
	ds_write_b64 v9, v[7:8]
	s_and_saveexec_b64 s[8:9], s[0:1]
	s_cbranch_execz .LBB134_8
; %bb.7:
	v_mad_u64_u32 v[2:3], s[10:11], s18, 15, v[1:2]
	v_mov_b32_e32 v3, 0
	s_waitcnt lgkmcnt(0)
	v_mov_b32_e32 v4, s3
	v_lshlrev_b64 v[2:3], 3, v[2:3]
	v_add_co_u32_e32 v2, vcc, s2, v2
	v_addc_co_u32_e32 v3, vcc, v4, v3, vcc
	global_load_dwordx2 v[5:6], v[2:3], off
.LBB134_8:
	s_or_b64 exec, exec, s[8:9]
	s_waitcnt vmcnt(0)
	ds_write_b64 v9, v[5:6] offset:2048
	v_mov_b32_e32 v5, 0
	s_mul_i32 s14, s14, s7
	v_mov_b32_e32 v7, 0
	v_mov_b32_e32 v6, 0
	;; [unrolled: 1-line block ×3, first 2 shown]
	v_add_u32_e32 v3, s14, v1
	s_waitcnt lgkmcnt(0)
	s_and_saveexec_b64 s[2:3], s[0:1]
	s_cbranch_execz .LBB134_10
; %bb.9:
	v_ashrrev_i32_e32 v4, 31, v3
	v_lshlrev_b64 v[7:8], 3, v[3:4]
	v_mov_b32_e32 v2, s13
	v_add_co_u32_e32 v7, vcc, s12, v7
	v_addc_co_u32_e32 v8, vcc, v2, v8, vcc
	global_load_dwordx2 v[7:8], v[7:8], off
.LBB134_10:
	s_or_b64 exec, exec, s[2:3]
	v_or_b32_e32 v4, 0x2000, v9
	s_mul_i32 s19, s18, 15
	s_waitcnt vmcnt(0)
	ds_write_b64 v9, v[7:8] offset:8192
	s_and_saveexec_b64 s[2:3], s[0:1]
	s_cbranch_execz .LBB134_12
; %bb.11:
	s_mul_i32 s8, s18, 15
	s_add_i32 s8, s8, s14
	v_add_u32_e32 v5, s8, v1
	v_mov_b32_e32 v6, 0
	v_lshlrev_b64 v[5:6], 3, v[5:6]
	v_mov_b32_e32 v2, s13
	v_add_co_u32_e32 v5, vcc, s12, v5
	v_addc_co_u32_e32 v6, vcc, v2, v6, vcc
	global_load_dwordx2 v[5:6], v[5:6], off
.LBB134_12:
	s_or_b64 exec, exec, s[2:3]
	s_movk_i32 s2, 0x80
	v_cmp_gt_u32_e32 vcc, s2, v0
	s_waitcnt vmcnt(0)
	ds_write_b64 v4, v[5:6] offset:2048
	s_waitcnt lgkmcnt(0)
	s_barrier
	s_and_saveexec_b64 s[2:3], vcc
	s_cbranch_execz .LBB134_14
; %bb.13:
	v_add_u32_e32 v2, v10, v9
	ds_read_b128 v[5:8], v2
	v_add_u32_e32 v37, v9, v9
	ds_read_b128 v[11:14], v37 offset:2048
	ds_read_b128 v[15:18], v37
	ds_read_b128 v[19:22], v2 offset:2048
	v_add_u32_e32 v38, v4, v9
	s_waitcnt lgkmcnt(2)
	v_fma_f64 v[31:32], -v[7:8], v[11:12], 1.0
	v_div_scale_f64 v[23:24], s[8:9], v[31:32], v[31:32], 1.0
	v_rcp_f64_e32 v[25:26], v[23:24]
	v_fma_f64 v[27:28], -v[23:24], v[25:26], 1.0
	v_fma_f64 v[25:26], v[25:26], v[27:28], v[25:26]
	v_div_scale_f64 v[27:28], vcc, 1.0, v[31:32], 1.0
	v_fma_f64 v[29:30], -v[23:24], v[25:26], 1.0
	v_fma_f64 v[25:26], v[25:26], v[29:30], v[25:26]
	v_mul_f64 v[29:30], v[27:28], v[25:26]
	v_fma_f64 v[23:24], -v[23:24], v[29:30], v[27:28]
	v_div_fmas_f64 v[33:34], v[23:24], v[25:26], v[29:30]
	ds_read_b128 v[23:26], v38 offset:2048
	ds_read_b128 v[27:30], v38
	s_waitcnt lgkmcnt(0)
	v_fma_f64 v[35:36], -v[7:8], v[23:24], v[29:30]
	v_fma_f64 v[23:24], -v[11:12], v[29:30], v[23:24]
	v_mul_f64 v[7:8], v[7:8], v[19:20]
	v_mul_f64 v[11:12], v[11:12], v[17:18]
	v_div_fixup_f64 v[31:32], v[33:34], v[31:32], 1.0
	v_mul_f64 v[29:30], v[35:36], v[31:32]
	v_mul_f64 v[23:24], v[31:32], v[23:24]
	v_mul_f64 v[7:8], v[7:8], -v[31:32]
	v_mul_f64 v[17:18], v[31:32], v[17:18]
	v_mul_f64 v[11:12], v[11:12], -v[31:32]
	v_mul_f64 v[19:20], v[31:32], v[19:20]
	v_fma_f64 v[27:28], -v[29:30], v[15:16], v[27:28]
	v_fma_f64 v[25:26], -v[21:22], v[23:24], v[25:26]
	;; [unrolled: 1-line block ×3, first 2 shown]
	v_mul_f64 v[15:16], v[17:18], -v[15:16]
	v_fma_f64 v[13:14], -v[11:12], v[21:22], v[13:14]
	v_mul_f64 v[21:22], v[19:20], -v[21:22]
	ds_write_b128 v38, v[27:30]
	ds_write_b128 v38, v[23:26] offset:2048
	ds_write_b128 v2, v[5:8]
	ds_write_b128 v37, v[15:18]
	ds_write_b128 v37, v[11:14] offset:2048
	ds_write_b128 v2, v[19:22] offset:2048
.LBB134_14:
	s_or_b64 exec, exec, s[2:3]
	v_cmp_gt_u32_e32 vcc, 64, v0
	s_waitcnt lgkmcnt(0)
	s_barrier
	s_and_saveexec_b64 s[2:3], vcc
	s_cbranch_execz .LBB134_16
; %bb.15:
	v_lshlrev_b32_e32 v2, 5, v0
	v_add_u32_e32 v37, 0x1000, v2
	v_add_u32_e32 v38, 0x800, v2
	ds_read2_b64 v[5:8], v37 offset1:2
	ds_read2_b64 v[11:14], v38 offset0:1 offset1:3
	v_mad_u32_u24 v39, v0, 24, v4
	v_add_u32_e32 v40, 0x800, v39
	v_add_u32_e32 v41, 0x1800, v2
	s_waitcnt lgkmcnt(0)
	v_fma_f64 v[31:32], -v[7:8], v[11:12], 1.0
	v_div_scale_f64 v[15:16], s[8:9], v[31:32], v[31:32], 1.0
	v_rcp_f64_e32 v[17:18], v[15:16]
	v_fma_f64 v[19:20], -v[15:16], v[17:18], 1.0
	v_fma_f64 v[17:18], v[17:18], v[19:20], v[17:18]
	v_div_scale_f64 v[19:20], vcc, 1.0, v[31:32], 1.0
	v_fma_f64 v[21:22], -v[15:16], v[17:18], 1.0
	v_fma_f64 v[17:18], v[17:18], v[21:22], v[17:18]
	v_mul_f64 v[21:22], v[19:20], v[17:18]
	v_fma_f64 v[15:16], -v[15:16], v[21:22], v[19:20]
	v_div_fmas_f64 v[33:34], v[15:16], v[17:18], v[21:22]
	ds_read2_b64 v[15:18], v39 offset1:2
	ds_read2_b64 v[19:22], v40 offset0:1 offset1:3
	ds_read2_b64 v[23:26], v41 offset0:1 offset1:3
	ds_read2_b64 v[27:30], v2 offset1:2
	s_waitcnt lgkmcnt(2)
	v_fma_f64 v[35:36], -v[7:8], v[19:20], v[17:18]
	v_fma_f64 v[17:18], -v[11:12], v[17:18], v[19:20]
	s_waitcnt lgkmcnt(1)
	v_mul_f64 v[7:8], v[7:8], v[23:24]
	s_waitcnt lgkmcnt(0)
	v_mul_f64 v[11:12], v[11:12], v[29:30]
	v_div_fixup_f64 v[31:32], v[33:34], v[31:32], 1.0
	v_mul_f64 v[19:20], v[35:36], v[31:32]
	v_mul_f64 v[17:18], v[31:32], v[17:18]
	v_mul_f64 v[7:8], v[7:8], -v[31:32]
	v_mul_f64 v[29:30], v[31:32], v[29:30]
	v_mul_f64 v[11:12], v[11:12], -v[31:32]
	v_mul_f64 v[23:24], v[31:32], v[23:24]
	v_fma_f64 v[15:16], -v[19:20], v[27:28], v[15:16]
	v_fma_f64 v[21:22], -v[25:26], v[17:18], v[21:22]
	;; [unrolled: 1-line block ×3, first 2 shown]
	v_mul_f64 v[27:28], v[29:30], -v[27:28]
	v_fma_f64 v[13:14], -v[11:12], v[25:26], v[13:14]
	v_mul_f64 v[25:26], v[23:24], -v[25:26]
	ds_write2_b64 v39, v[15:16], v[19:20] offset1:2
	ds_write2_b64 v40, v[17:18], v[21:22] offset0:1 offset1:3
	ds_write2_b64 v37, v[5:6], v[7:8] offset1:2
	ds_write2_b64 v2, v[27:28], v[29:30] offset1:2
	ds_write2_b64 v38, v[11:12], v[13:14] offset0:1 offset1:3
	ds_write2_b64 v41, v[23:24], v[25:26] offset0:1 offset1:3
.LBB134_16:
	s_or_b64 exec, exec, s[2:3]
	v_cmp_gt_u32_e32 vcc, 32, v0
	s_waitcnt lgkmcnt(0)
	s_barrier
	s_and_saveexec_b64 s[2:3], vcc
	s_cbranch_execz .LBB134_18
; %bb.17:
	v_lshlrev_b32_e32 v2, 6, v0
	v_add_u32_e32 v37, 0x1000, v2
	v_add_u32_e32 v38, 0x800, v2
	ds_read2_b64 v[5:8], v37 offset1:4
	ds_read2_b64 v[11:14], v38 offset0:3 offset1:7
	v_add_u32_e32 v39, 0x2800, v2
	v_add_u32_e32 v40, 0x2000, v2
	v_add_u32_e32 v41, 0x1800, v2
	s_waitcnt lgkmcnt(0)
	v_fma_f64 v[31:32], -v[7:8], v[11:12], 1.0
	v_div_scale_f64 v[15:16], s[8:9], v[31:32], v[31:32], 1.0
	v_rcp_f64_e32 v[17:18], v[15:16]
	v_fma_f64 v[19:20], -v[15:16], v[17:18], 1.0
	v_fma_f64 v[17:18], v[17:18], v[19:20], v[17:18]
	v_div_scale_f64 v[19:20], vcc, 1.0, v[31:32], 1.0
	v_fma_f64 v[21:22], -v[15:16], v[17:18], 1.0
	v_fma_f64 v[17:18], v[17:18], v[21:22], v[17:18]
	v_mul_f64 v[21:22], v[19:20], v[17:18]
	v_fma_f64 v[15:16], -v[15:16], v[21:22], v[19:20]
	v_div_fmas_f64 v[33:34], v[15:16], v[17:18], v[21:22]
	ds_read2_b64 v[15:18], v39 offset0:3 offset1:7
	ds_read2_b64 v[19:22], v40 offset1:4
	ds_read2_b64 v[23:26], v41 offset0:3 offset1:7
	ds_read2_b64 v[27:30], v2 offset1:4
	s_waitcnt lgkmcnt(2)
	v_fma_f64 v[35:36], -v[7:8], v[15:16], v[21:22]
	v_fma_f64 v[15:16], -v[11:12], v[21:22], v[15:16]
	s_waitcnt lgkmcnt(1)
	v_mul_f64 v[7:8], v[7:8], v[23:24]
	s_waitcnt lgkmcnt(0)
	v_mul_f64 v[11:12], v[11:12], v[29:30]
	v_div_fixup_f64 v[31:32], v[33:34], v[31:32], 1.0
	v_mul_f64 v[21:22], v[35:36], v[31:32]
	v_mul_f64 v[15:16], v[31:32], v[15:16]
	v_mul_f64 v[7:8], v[7:8], -v[31:32]
	v_mul_f64 v[29:30], v[31:32], v[29:30]
	v_mul_f64 v[11:12], v[11:12], -v[31:32]
	v_mul_f64 v[23:24], v[31:32], v[23:24]
	v_fma_f64 v[19:20], -v[21:22], v[27:28], v[19:20]
	v_fma_f64 v[17:18], -v[25:26], v[15:16], v[17:18]
	v_fma_f64 v[5:6], -v[7:8], v[27:28], v[5:6]
	v_mul_f64 v[27:28], v[29:30], -v[27:28]
	v_fma_f64 v[13:14], -v[11:12], v[25:26], v[13:14]
	v_mul_f64 v[25:26], v[23:24], -v[25:26]
	ds_write2_b64 v40, v[19:20], v[21:22] offset1:4
	ds_write2_b64 v39, v[15:16], v[17:18] offset0:3 offset1:7
	ds_write2_b64 v37, v[5:6], v[7:8] offset1:4
	ds_write2_b64 v2, v[27:28], v[29:30] offset1:4
	ds_write2_b64 v38, v[11:12], v[13:14] offset0:3 offset1:7
	ds_write2_b64 v41, v[23:24], v[25:26] offset0:3 offset1:7
.LBB134_18:
	s_or_b64 exec, exec, s[2:3]
	v_cmp_gt_u32_e32 vcc, 16, v0
	s_waitcnt lgkmcnt(0)
	s_barrier
	s_and_saveexec_b64 s[2:3], vcc
	s_cbranch_execz .LBB134_20
; %bb.19:
	v_lshlrev_b32_e32 v2, 7, v0
	v_add_u32_e32 v37, 0x1000, v2
	v_add_u32_e32 v38, 0x800, v2
	ds_read2_b64 v[5:8], v37 offset1:8
	ds_read2_b64 v[11:14], v38 offset0:7 offset1:15
	v_add_u32_e32 v39, 0x2800, v2
	v_add_u32_e32 v40, 0x2000, v2
	v_add_u32_e32 v41, 0x1800, v2
	s_waitcnt lgkmcnt(0)
	v_fma_f64 v[31:32], -v[7:8], v[11:12], 1.0
	v_div_scale_f64 v[15:16], s[8:9], v[31:32], v[31:32], 1.0
	v_rcp_f64_e32 v[17:18], v[15:16]
	v_fma_f64 v[19:20], -v[15:16], v[17:18], 1.0
	v_fma_f64 v[17:18], v[17:18], v[19:20], v[17:18]
	v_div_scale_f64 v[19:20], vcc, 1.0, v[31:32], 1.0
	v_fma_f64 v[21:22], -v[15:16], v[17:18], 1.0
	v_fma_f64 v[17:18], v[17:18], v[21:22], v[17:18]
	v_mul_f64 v[21:22], v[19:20], v[17:18]
	v_fma_f64 v[15:16], -v[15:16], v[21:22], v[19:20]
	v_div_fmas_f64 v[33:34], v[15:16], v[17:18], v[21:22]
	ds_read2_b64 v[15:18], v39 offset0:7 offset1:15
	ds_read2_b64 v[19:22], v40 offset1:8
	ds_read2_b64 v[23:26], v41 offset0:7 offset1:15
	ds_read2_b64 v[27:30], v2 offset1:8
	s_waitcnt lgkmcnt(2)
	v_fma_f64 v[35:36], -v[7:8], v[15:16], v[21:22]
	v_fma_f64 v[15:16], -v[11:12], v[21:22], v[15:16]
	s_waitcnt lgkmcnt(1)
	v_mul_f64 v[7:8], v[7:8], v[23:24]
	s_waitcnt lgkmcnt(0)
	v_mul_f64 v[11:12], v[11:12], v[29:30]
	v_div_fixup_f64 v[31:32], v[33:34], v[31:32], 1.0
	v_mul_f64 v[21:22], v[35:36], v[31:32]
	v_mul_f64 v[15:16], v[31:32], v[15:16]
	v_mul_f64 v[7:8], v[7:8], -v[31:32]
	v_mul_f64 v[29:30], v[31:32], v[29:30]
	v_mul_f64 v[11:12], v[11:12], -v[31:32]
	v_mul_f64 v[23:24], v[31:32], v[23:24]
	v_fma_f64 v[19:20], -v[21:22], v[27:28], v[19:20]
	v_fma_f64 v[17:18], -v[25:26], v[15:16], v[17:18]
	v_fma_f64 v[5:6], -v[7:8], v[27:28], v[5:6]
	v_mul_f64 v[27:28], v[29:30], -v[27:28]
	v_fma_f64 v[13:14], -v[11:12], v[25:26], v[13:14]
	v_mul_f64 v[25:26], v[23:24], -v[25:26]
	ds_write2_b64 v40, v[19:20], v[21:22] offset1:8
	ds_write2_b64 v39, v[15:16], v[17:18] offset0:7 offset1:15
	ds_write2_b64 v37, v[5:6], v[7:8] offset1:8
	ds_write2_b64 v2, v[27:28], v[29:30] offset1:8
	ds_write2_b64 v38, v[11:12], v[13:14] offset0:7 offset1:15
	ds_write2_b64 v41, v[23:24], v[25:26] offset0:7 offset1:15
.LBB134_20:
	;; [unrolled: 58-line block ×4, first 2 shown]
	s_or_b64 exec, exec, s[2:3]
	v_cmp_gt_u32_e32 vcc, 2, v0
	s_waitcnt lgkmcnt(0)
	s_barrier
	s_and_saveexec_b64 s[2:3], vcc
	s_cbranch_execz .LBB134_26
; %bb.25:
	v_lshlrev_b32_e32 v2, 10, v0
	v_add_u32_e32 v37, 0x1f8, v2
	ds_read2st64_b64 v[5:8], v37 offset0:4 offset1:5
	ds_read2st64_b64 v[11:14], v2 offset0:8 offset1:9
	ds_read2st64_b64 v[15:18], v2 offset1:1
	ds_read2st64_b64 v[19:22], v37 offset0:12 offset1:13
	s_waitcnt lgkmcnt(2)
	v_fma_f64 v[31:32], -v[13:14], v[5:6], 1.0
	v_div_scale_f64 v[23:24], s[8:9], v[31:32], v[31:32], 1.0
	v_rcp_f64_e32 v[25:26], v[23:24]
	v_fma_f64 v[27:28], -v[23:24], v[25:26], 1.0
	v_fma_f64 v[25:26], v[25:26], v[27:28], v[25:26]
	v_div_scale_f64 v[27:28], vcc, 1.0, v[31:32], 1.0
	v_fma_f64 v[29:30], -v[23:24], v[25:26], 1.0
	v_fma_f64 v[25:26], v[25:26], v[29:30], v[25:26]
	v_mul_f64 v[29:30], v[27:28], v[25:26]
	v_fma_f64 v[23:24], -v[23:24], v[29:30], v[27:28]
	v_div_fmas_f64 v[33:34], v[23:24], v[25:26], v[29:30]
	ds_read2st64_b64 v[23:26], v2 offset0:16 offset1:17
	ds_read2st64_b64 v[27:30], v37 offset0:20 offset1:21
	s_waitcnt lgkmcnt(0)
	v_fma_f64 v[35:36], -v[13:14], v[27:28], v[25:26]
	v_fma_f64 v[25:26], -v[5:6], v[25:26], v[27:28]
	v_mul_f64 v[13:14], v[13:14], v[19:20]
	v_mul_f64 v[5:6], v[5:6], v[17:18]
	v_div_fixup_f64 v[31:32], v[33:34], v[31:32], 1.0
	v_mul_f64 v[27:28], v[35:36], v[31:32]
	v_mul_f64 v[25:26], v[31:32], v[25:26]
	v_mul_f64 v[13:14], v[13:14], -v[31:32]
	v_mul_f64 v[17:18], v[31:32], v[17:18]
	v_mul_f64 v[5:6], v[5:6], -v[31:32]
	v_mul_f64 v[19:20], v[31:32], v[19:20]
	v_fma_f64 v[23:24], -v[27:28], v[15:16], v[23:24]
	v_fma_f64 v[29:30], -v[21:22], v[25:26], v[29:30]
	;; [unrolled: 1-line block ×3, first 2 shown]
	v_mul_f64 v[15:16], v[17:18], -v[15:16]
	v_fma_f64 v[7:8], -v[5:6], v[21:22], v[7:8]
	v_mul_f64 v[21:22], v[19:20], -v[21:22]
	ds_write2st64_b64 v2, v[23:24], v[27:28] offset0:16 offset1:17
	ds_write2st64_b64 v37, v[25:26], v[29:30] offset0:20 offset1:21
	;; [unrolled: 1-line block ×3, first 2 shown]
	ds_write2st64_b64 v2, v[15:16], v[17:18] offset1:1
	ds_write2st64_b64 v37, v[5:6], v[7:8] offset0:4 offset1:5
	ds_write2st64_b64 v37, v[19:20], v[21:22] offset0:12 offset1:13
.LBB134_26:
	s_or_b64 exec, exec, s[2:3]
	v_cmp_eq_u32_e64 s[2:3], 0, v0
	s_waitcnt lgkmcnt(0)
	s_barrier
	s_and_saveexec_b64 s[8:9], s[2:3]
	s_cbranch_execz .LBB134_28
; %bb.27:
	s_movk_i32 s10, 0x1400
	v_add_u32_e64 v2, s10, 0
	v_mov_b32_e32 v0, 0
	ds_read2_b64 v[5:8], v2 offset1:255
	ds_read_b64 v[19:20], v0 offset:3064
	ds_read_b64 v[21:22], v0 offset:12280
	v_mov_b32_e32 v32, 0x1ff8
	v_mov_b32_e32 v33, 0xff8
	s_waitcnt lgkmcnt(1)
	v_fma_f64 v[23:24], -v[5:6], v[19:20], 1.0
	v_div_scale_f64 v[11:12], s[10:11], v[23:24], v[23:24], 1.0
	s_movk_i32 s10, 0x2400
	v_add_u32_e64 v31, s10, 0
	v_rcp_f64_e32 v[13:14], v[11:12]
	v_fma_f64 v[15:16], -v[11:12], v[13:14], 1.0
	v_fma_f64 v[13:14], v[13:14], v[15:16], v[13:14]
	v_div_scale_f64 v[15:16], vcc, 1.0, v[23:24], 1.0
	v_fma_f64 v[17:18], -v[11:12], v[13:14], 1.0
	v_fma_f64 v[13:14], v[13:14], v[17:18], v[13:14]
	v_mul_f64 v[17:18], v[15:16], v[13:14]
	v_fma_f64 v[11:12], -v[11:12], v[17:18], v[15:16]
	v_div_fmas_f64 v[25:26], v[11:12], v[13:14], v[17:18]
	ds_read2_b64 v[11:14], v31 offset1:255
	ds_read2st64_b64 v[15:18], v0 offset1:2
	s_waitcnt lgkmcnt(1)
	v_fma_f64 v[27:28], -v[19:20], v[11:12], v[13:14]
	s_waitcnt lgkmcnt(0)
	v_mul_f64 v[19:20], v[19:20], v[17:18]
	v_div_fixup_f64 v[23:24], v[25:26], v[23:24], 1.0
	v_fma_f64 v[25:26], -v[5:6], v[13:14], v[11:12]
	v_mul_f64 v[5:6], v[5:6], v[7:8]
	ds_read2_b64 v[11:14], v32 offset1:1
	v_mul_f64 v[27:28], v[23:24], v[27:28]
	v_mul_f64 v[25:26], v[25:26], v[23:24]
	v_mul_f64 v[29:30], v[5:6], -v[23:24]
	v_mul_f64 v[17:18], v[23:24], v[17:18]
	v_mul_f64 v[19:20], v[19:20], -v[23:24]
	v_mul_f64 v[23:24], v[23:24], v[7:8]
	ds_read2_b64 v[5:8], v33 offset1:1
	s_waitcnt lgkmcnt(1)
	v_fma_f64 v[21:22], -v[11:12], v[27:28], v[21:22]
	v_fma_f64 v[13:14], -v[25:26], v[15:16], v[13:14]
	s_waitcnt lgkmcnt(0)
	v_fma_f64 v[7:8], -v[29:30], v[15:16], v[7:8]
	v_mul_f64 v[15:16], v[17:18], -v[15:16]
	v_fma_f64 v[5:6], -v[19:20], v[11:12], v[5:6]
	v_mul_f64 v[11:12], v[23:24], -v[11:12]
	ds_write2_b64 v31, v[25:26], v[27:28] offset1:255
	ds_write_b64 v0, v[19:20] offset:3064
	ds_write2_b64 v2, v[29:30], v[23:24] offset1:255
	ds_write_b64 v0, v[21:22] offset:12280
	ds_write2st64_b64 v0, v[15:16], v[17:18] offset1:2
	ds_write2_b64 v33, v[5:6], v[7:8] offset1:1
	ds_write2_b64 v32, v[11:12], v[13:14] offset1:1
.LBB134_28:
	s_or_b64 exec, exec, s[8:9]
	s_load_dwordx2 s[14:15], s[4:5], 0x48
	s_load_dwordx4 s[8:11], s[4:5], 0x38
	s_waitcnt lgkmcnt(0)
	s_barrier
	s_and_saveexec_b64 s[16:17], s[0:1]
	s_cbranch_execnz .LBB134_31
; %bb.29:
	s_or_b64 exec, exec, s[16:17]
	s_and_saveexec_b64 s[0:1], s[2:3]
	s_cbranch_execnz .LBB134_35
.LBB134_30:
	s_endpgm
.LBB134_31:
	s_cmp_eq_u32 s7, 0
	s_cbranch_scc1 .LBB134_39
; %bb.32:
	s_mul_i32 s18, s18, 15
	s_cbranch_execnz .LBB134_34
.LBB134_33:
	s_load_dwordx4 s[20:23], s[4:5], 0x28
	v_ashrrev_i32_e32 v2, 31, v1
	ds_read2st64_b64 v[5:8], v10 offset1:4
	v_lshlrev_b64 v[10:11], 3, v[1:2]
	s_mov_b32 s18, s19
	s_waitcnt lgkmcnt(0)
	v_mov_b32_e32 v0, s21
	v_add_co_u32_e32 v12, vcc, s20, v10
	v_addc_co_u32_e32 v13, vcc, v0, v11, vcc
	v_add_u32_e32 v0, s19, v1
	v_mov_b32_e32 v1, 0
	v_lshlrev_b64 v[0:1], 3, v[0:1]
	global_store_dwordx2 v[12:13], v[5:6], off
	v_mov_b32_e32 v2, s21
	v_add_co_u32_e32 v5, vcc, s20, v0
	v_addc_co_u32_e32 v6, vcc, v2, v1, vcc
	global_store_dwordx2 v[5:6], v[7:8], off
	ds_read2st64_b64 v[5:8], v9 offset1:4
	v_mov_b32_e32 v2, s23
	v_add_co_u32_e32 v9, vcc, s22, v10
	v_addc_co_u32_e32 v10, vcc, v2, v11, vcc
	v_add_co_u32_e32 v0, vcc, s22, v0
	v_addc_co_u32_e32 v1, vcc, v2, v1, vcc
	s_waitcnt lgkmcnt(0)
	global_store_dwordx2 v[9:10], v[5:6], off
	global_store_dwordx2 v[0:1], v[7:8], off
.LBB134_34:
	ds_read2st64_b64 v[5:8], v4 offset1:4
	v_ashrrev_i32_e32 v4, 31, v3
	v_lshlrev_b64 v[0:1], 3, v[3:4]
	v_mov_b32_e32 v2, s13
	v_add_co_u32_e32 v0, vcc, s12, v0
	v_addc_co_u32_e32 v1, vcc, v2, v1, vcc
	s_waitcnt lgkmcnt(0)
	global_store_dwordx2 v[0:1], v[5:6], off
	v_add_u32_e32 v0, s18, v3
	v_mov_b32_e32 v1, 0
	v_lshlrev_b64 v[0:1], 3, v[0:1]
	v_add_co_u32_e32 v0, vcc, s12, v0
	v_addc_co_u32_e32 v1, vcc, v2, v1, vcc
	global_store_dwordx2 v[0:1], v[7:8], off
	s_or_b64 exec, exec, s[16:17]
	s_and_saveexec_b64 s[0:1], s[2:3]
	s_cbranch_execz .LBB134_30
.LBB134_35:
	s_cmp_eq_u32 s7, 0
	s_cbranch_scc1 .LBB134_40
; %bb.36:
	s_load_dword s2, s[4:5], 0x50
	s_cbranch_execnz .LBB134_38
.LBB134_37:
	v_mov_b32_e32 v0, 0xff8
	ds_read2_b64 v[0:3], v0 offset1:1
	s_mov_b32 s0, s7
	s_ashr_i32 s7, s6, 31
	s_waitcnt lgkmcnt(0)
	s_load_dword s2, s[4:5], 0x50
	s_lshl_b64 s[12:13], s[6:7], 3
	s_mov_b32 s7, s0
	s_add_u32 s0, s10, s12
	s_addc_u32 s1, s11, s13
	v_mov_b32_e32 v6, 0
	ds_read_b64 v[4:5], v6
	global_store_dwordx2 v6, v[2:3], s[0:1]
	ds_read_b64 v[2:3], v6 offset:8184
	s_waitcnt lgkmcnt(0)
	s_add_i32 s0, s2, s6
	s_mov_b32 s1, 0
	s_lshl_b64 s[0:1], s[0:1], 3
	s_add_u32 s4, s10, s0
	s_addc_u32 s5, s11, s1
	global_store_dwordx2 v6, v[2:3], s[4:5]
	s_add_u32 s4, s14, s12
	s_addc_u32 s5, s15, s13
	s_add_u32 s0, s14, s0
	s_addc_u32 s1, s15, s1
	global_store_dwordx2 v6, v[4:5], s[4:5]
	global_store_dwordx2 v6, v[0:1], s[0:1]
.LBB134_38:
	s_waitcnt lgkmcnt(0)
	s_mul_i32 s0, s2, s7
	s_lshl_b32 s0, s0, 1
	s_add_i32 s0, s0, s6
	s_mov_b32 s1, 0
	v_mov_b32_e32 v4, 0
	s_lshl_b64 s[4:5], s[0:1], 3
	ds_read_b64 v[0:1], v4 offset:8192
	ds_read_b64 v[2:3], v4 offset:12280
	s_add_u32 s4, s8, s4
	s_addc_u32 s5, s9, s5
	s_add_i32 s0, s0, s2
	s_lshl_b64 s[0:1], s[0:1], 3
	s_add_u32 s0, s8, s0
	s_addc_u32 s1, s9, s1
	s_waitcnt lgkmcnt(1)
	global_store_dwordx2 v4, v[0:1], s[4:5]
	s_waitcnt lgkmcnt(0)
	global_store_dwordx2 v4, v[2:3], s[0:1]
	s_endpgm
.LBB134_39:
                                        ; implicit-def: $sgpr18
	s_branch .LBB134_33
.LBB134_40:
                                        ; implicit-def: $sgpr2
	s_branch .LBB134_37
	.section	.rodata,"a",@progbits
	.p2align	6, 0x0
	.amdhsa_kernel _ZN9rocsparseL29gtsv_spike_block_level_kernelILj256ELj16EdEEviiiPT1_PKS1_S4_S2_S2_S2_S2_S2_
		.amdhsa_group_segment_fixed_size 12288
		.amdhsa_private_segment_fixed_size 0
		.amdhsa_kernarg_size 336
		.amdhsa_user_sgpr_count 6
		.amdhsa_user_sgpr_private_segment_buffer 1
		.amdhsa_user_sgpr_dispatch_ptr 0
		.amdhsa_user_sgpr_queue_ptr 0
		.amdhsa_user_sgpr_kernarg_segment_ptr 1
		.amdhsa_user_sgpr_dispatch_id 0
		.amdhsa_user_sgpr_flat_scratch_init 0
		.amdhsa_user_sgpr_private_segment_size 0
		.amdhsa_uses_dynamic_stack 0
		.amdhsa_system_sgpr_private_segment_wavefront_offset 0
		.amdhsa_system_sgpr_workgroup_id_x 1
		.amdhsa_system_sgpr_workgroup_id_y 1
		.amdhsa_system_sgpr_workgroup_id_z 0
		.amdhsa_system_sgpr_workgroup_info 0
		.amdhsa_system_vgpr_workitem_id 0
		.amdhsa_next_free_vgpr 42
		.amdhsa_next_free_sgpr 98
		.amdhsa_reserve_vcc 1
		.amdhsa_reserve_flat_scratch 0
		.amdhsa_float_round_mode_32 0
		.amdhsa_float_round_mode_16_64 0
		.amdhsa_float_denorm_mode_32 3
		.amdhsa_float_denorm_mode_16_64 3
		.amdhsa_dx10_clamp 1
		.amdhsa_ieee_mode 1
		.amdhsa_fp16_overflow 0
		.amdhsa_exception_fp_ieee_invalid_op 0
		.amdhsa_exception_fp_denorm_src 0
		.amdhsa_exception_fp_ieee_div_zero 0
		.amdhsa_exception_fp_ieee_overflow 0
		.amdhsa_exception_fp_ieee_underflow 0
		.amdhsa_exception_fp_ieee_inexact 0
		.amdhsa_exception_int_div_zero 0
	.end_amdhsa_kernel
	.section	.text._ZN9rocsparseL29gtsv_spike_block_level_kernelILj256ELj16EdEEviiiPT1_PKS1_S4_S2_S2_S2_S2_S2_,"axG",@progbits,_ZN9rocsparseL29gtsv_spike_block_level_kernelILj256ELj16EdEEviiiPT1_PKS1_S4_S2_S2_S2_S2_S2_,comdat
.Lfunc_end134:
	.size	_ZN9rocsparseL29gtsv_spike_block_level_kernelILj256ELj16EdEEviiiPT1_PKS1_S4_S2_S2_S2_S2_S2_, .Lfunc_end134-_ZN9rocsparseL29gtsv_spike_block_level_kernelILj256ELj16EdEEviiiPT1_PKS1_S4_S2_S2_S2_S2_S2_
                                        ; -- End function
	.set _ZN9rocsparseL29gtsv_spike_block_level_kernelILj256ELj16EdEEviiiPT1_PKS1_S4_S2_S2_S2_S2_S2_.num_vgpr, 42
	.set _ZN9rocsparseL29gtsv_spike_block_level_kernelILj256ELj16EdEEviiiPT1_PKS1_S4_S2_S2_S2_S2_S2_.num_agpr, 0
	.set _ZN9rocsparseL29gtsv_spike_block_level_kernelILj256ELj16EdEEviiiPT1_PKS1_S4_S2_S2_S2_S2_S2_.numbered_sgpr, 24
	.set _ZN9rocsparseL29gtsv_spike_block_level_kernelILj256ELj16EdEEviiiPT1_PKS1_S4_S2_S2_S2_S2_S2_.num_named_barrier, 0
	.set _ZN9rocsparseL29gtsv_spike_block_level_kernelILj256ELj16EdEEviiiPT1_PKS1_S4_S2_S2_S2_S2_S2_.private_seg_size, 0
	.set _ZN9rocsparseL29gtsv_spike_block_level_kernelILj256ELj16EdEEviiiPT1_PKS1_S4_S2_S2_S2_S2_S2_.uses_vcc, 1
	.set _ZN9rocsparseL29gtsv_spike_block_level_kernelILj256ELj16EdEEviiiPT1_PKS1_S4_S2_S2_S2_S2_S2_.uses_flat_scratch, 0
	.set _ZN9rocsparseL29gtsv_spike_block_level_kernelILj256ELj16EdEEviiiPT1_PKS1_S4_S2_S2_S2_S2_S2_.has_dyn_sized_stack, 0
	.set _ZN9rocsparseL29gtsv_spike_block_level_kernelILj256ELj16EdEEviiiPT1_PKS1_S4_S2_S2_S2_S2_S2_.has_recursion, 0
	.set _ZN9rocsparseL29gtsv_spike_block_level_kernelILj256ELj16EdEEviiiPT1_PKS1_S4_S2_S2_S2_S2_S2_.has_indirect_call, 0
	.section	.AMDGPU.csdata,"",@progbits
; Kernel info:
; codeLenInByte = 4220
; TotalNumSgprs: 28
; NumVgprs: 42
; ScratchSize: 0
; MemoryBound: 0
; FloatMode: 240
; IeeeMode: 1
; LDSByteSize: 12288 bytes/workgroup (compile time only)
; SGPRBlocks: 12
; VGPRBlocks: 10
; NumSGPRsForWavesPerEU: 102
; NumVGPRsForWavesPerEU: 42
; Occupancy: 5
; WaveLimiterHint : 0
; COMPUTE_PGM_RSRC2:SCRATCH_EN: 0
; COMPUTE_PGM_RSRC2:USER_SGPR: 6
; COMPUTE_PGM_RSRC2:TRAP_HANDLER: 0
; COMPUTE_PGM_RSRC2:TGID_X_EN: 1
; COMPUTE_PGM_RSRC2:TGID_Y_EN: 1
; COMPUTE_PGM_RSRC2:TGID_Z_EN: 0
; COMPUTE_PGM_RSRC2:TIDIG_COMP_CNT: 0
	.section	.text._ZN9rocsparseL33gtsv_solve_spike_propagate_kernelILj256ELj16EdEEviiiPT1_PKS1_S4_S4_,"axG",@progbits,_ZN9rocsparseL33gtsv_solve_spike_propagate_kernelILj256ELj16EdEEviiiPT1_PKS1_S4_S4_,comdat
	.globl	_ZN9rocsparseL33gtsv_solve_spike_propagate_kernelILj256ELj16EdEEviiiPT1_PKS1_S4_S4_ ; -- Begin function _ZN9rocsparseL33gtsv_solve_spike_propagate_kernelILj256ELj16EdEEviiiPT1_PKS1_S4_S4_
	.p2align	8
	.type	_ZN9rocsparseL33gtsv_solve_spike_propagate_kernelILj256ELj16EdEEviiiPT1_PKS1_S4_S4_,@function
_ZN9rocsparseL33gtsv_solve_spike_propagate_kernelILj256ELj16EdEEviiiPT1_PKS1_S4_S4_: ; @_ZN9rocsparseL33gtsv_solve_spike_propagate_kernelILj256ELj16EdEEviiiPT1_PKS1_S4_S4_
; %bb.0:
	s_load_dword s10, s[4:5], 0x0
	v_lshl_or_b32 v1, s6, 8, v0
	v_mov_b32_e32 v3, 0
	v_mov_b32_e32 v5, 0
	;; [unrolled: 1-line block ×3, first 2 shown]
	s_waitcnt lgkmcnt(0)
	s_lshr_b32 s14, s10, 4
	v_cmp_le_i32_e64 s[0:1], s14, v1
	v_cmp_gt_i32_e32 vcc, s14, v1
	v_mov_b32_e32 v6, 0
	v_ashrrev_i32_e32 v2, 31, v1
	s_and_saveexec_b64 s[8:9], vcc
	s_cbranch_execz .LBB135_2
; %bb.1:
	s_load_dwordx2 s[12:13], s[4:5], 0x18
	v_lshlrev_b64 v[3:4], 3, v[1:2]
	v_mad_u64_u32 v[5:6], s[2:3], s14, 15, v[1:2]
	s_waitcnt lgkmcnt(0)
	v_mov_b32_e32 v6, s13
	v_add_co_u32_e64 v7, s[2:3], s12, v3
	v_addc_co_u32_e64 v8, s[2:3], v6, v4, s[2:3]
	v_mov_b32_e32 v6, 0
	v_lshlrev_b64 v[3:4], 3, v[5:6]
	v_mov_b32_e32 v5, s13
	v_add_co_u32_e64 v9, s[2:3], s12, v3
	v_addc_co_u32_e64 v10, s[2:3], v5, v4, s[2:3]
	global_load_dwordx2 v[3:4], v[7:8], off
	global_load_dwordx2 v[5:6], v[9:10], off
.LBB135_2:
	s_or_b64 exec, exec, s[8:9]
	s_load_dwordx2 s[2:3], s[4:5], 0x10
	v_lshlrev_b32_e32 v7, 3, v0
	v_add_u32_e32 v8, 16, v7
	s_waitcnt vmcnt(0)
	ds_write2st64_b64 v8, v[3:4], v[5:6] offset0:16 offset1:20
	s_and_saveexec_b64 s[8:9], s[0:1]
	s_xor_b64 s[0:1], exec, s[8:9]
; %bb.3:
	s_mov_b32 s8, 0
	s_mov_b32 s9, s8
	v_mov_b32_e32 v2, s8
	v_mov_b32_e32 v3, s9
	ds_write2st64_b64 v8, v[2:3], v[2:3] offset0:8 offset1:12
; %bb.4:
	s_or_saveexec_b64 s[8:9], s[0:1]
	v_mov_b32_e32 v3, 0
	v_mov_b32_e32 v5, 0
	v_mov_b32_e32 v4, 0
	v_mov_b32_e32 v6, 0
	s_mul_i32 s10, s10, s7
	s_xor_b64 exec, exec, s[8:9]
	s_cbranch_execz .LBB135_6
; %bb.5:
	s_load_dwordx2 s[12:13], s[4:5], 0x20
	v_mad_u64_u32 v[8:9], s[0:1], s14, 15, v[1:2]
	v_lshlrev_b64 v[5:6], 3, v[1:2]
	v_mov_b32_e32 v9, 0
	s_waitcnt lgkmcnt(0)
	v_mov_b32_e32 v2, s13
	v_add_co_u32_e64 v5, s[0:1], s12, v5
	v_lshlrev_b64 v[10:11], 3, v[8:9]
	v_addc_co_u32_e64 v6, s[0:1], v2, v6, s[0:1]
	v_add_co_u32_e64 v10, s[0:1], s12, v10
	v_add_u32_e32 v8, s10, v8
	v_addc_co_u32_e64 v11, s[0:1], v2, v11, s[0:1]
	global_load_dwordx2 v[12:13], v[5:6], off
	global_load_dwordx2 v[14:15], v[10:11], off
	v_lshlrev_b64 v[5:6], 3, v[8:9]
	v_mov_b32_e32 v2, s3
	v_add_co_u32_e64 v5, s[0:1], s2, v5
	v_addc_co_u32_e64 v6, s[0:1], v2, v6, s[0:1]
	global_load_dwordx2 v[5:6], v[5:6], off
	v_add_u32_e32 v2, 16, v7
	s_waitcnt vmcnt(1)
	ds_write2st64_b64 v2, v[12:13], v[14:15] offset0:8 offset1:12
.LBB135_6:
	s_or_b64 exec, exec, s[8:9]
	v_add_u32_e32 v1, s10, v1
	s_waitcnt vmcnt(0)
	ds_write_b64 v7, v[5:6] offset:8
	s_and_saveexec_b64 s[8:9], vcc
	s_cbranch_execz .LBB135_8
; %bb.7:
	v_ashrrev_i32_e32 v2, 31, v1
	v_lshlrev_b64 v[2:3], 3, v[1:2]
	s_waitcnt lgkmcnt(0)
	v_mov_b32_e32 v4, s3
	v_add_co_u32_e64 v2, s[0:1], s2, v2
	v_addc_co_u32_e64 v3, s[0:1], v4, v3, s[0:1]
	global_load_dwordx2 v[3:4], v[2:3], off
.LBB135_8:
	s_or_b64 exec, exec, s[8:9]
	v_cmp_eq_u32_e64 s[0:1], 0, v0
	s_waitcnt vmcnt(0)
	ds_write_b64 v7, v[3:4] offset:2056
	s_waitcnt lgkmcnt(0)
	s_barrier
	s_and_saveexec_b64 s[8:9], s[0:1]
	s_cbranch_execz .LBB135_14
; %bb.9:
	s_load_dword s15, s[4:5], 0x30
	s_load_dwordx2 s[10:11], s[4:5], 0x28
	s_cmp_lt_i32 s6, 1
	s_mov_b64 s[4:5], 0
	s_mov_b64 s[12:13], 0
	s_waitcnt lgkmcnt(0)
	s_mul_i32 s7, s7, s15
	s_cbranch_scc1 .LBB135_11
; %bb.10:
	s_lshl_b32 s12, s7, 1
	s_add_i32 s13, s6, s15
	s_add_i32 s12, s13, s12
	s_add_i32 s12, s12, -1
	s_mov_b32 s13, 0
	s_lshl_b64 s[12:13], s[12:13], 3
	s_add_u32 s12, s10, s12
	s_addc_u32 s13, s11, s13
	s_load_dwordx2 s[12:13], s[12:13], 0x0
.LBB135_11:
	s_waitcnt lgkmcnt(0)
	v_mov_b32_e32 v3, s12
	v_mov_b32_e32 v4, s13
	s_add_i32 s12, s15, -1
	v_mov_b32_e32 v2, 0
	s_cmp_ge_u32 s6, s12
	ds_write_b64 v2, v[3:4]
	s_cbranch_scc1 .LBB135_13
; %bb.12:
	s_lshl_b32 s4, s7, 1
	s_add_i32 s4, s6, s4
	s_add_i32 s4, s4, 1
	s_mov_b32 s5, 0
	s_lshl_b64 s[4:5], s[4:5], 3
	s_add_u32 s4, s10, s4
	s_addc_u32 s5, s11, s5
	s_load_dwordx2 s[4:5], s[4:5], 0x0
.LBB135_13:
	s_lshl_b32 s7, s7, 1
	s_add_i32 s6, s7, s6
	s_mov_b32 s7, 0
	s_lshl_b64 s[12:13], s[6:7], 3
	s_add_u32 s12, s10, s12
	s_addc_u32 s13, s11, s13
	s_add_i32 s6, s6, s15
	s_lshl_b64 s[6:7], s[6:7], 3
	s_add_u32 s6, s10, s6
	s_addc_u32 s7, s11, s7
	s_load_dwordx2 s[10:11], s[6:7], 0x0
	s_load_dwordx2 s[16:17], s[12:13], 0x0
	s_waitcnt lgkmcnt(0)
	v_mov_b32_e32 v3, s4
	v_mov_b32_e32 v4, s5
	ds_write_b64 v2, v[3:4] offset:4104
	v_mov_b32_e32 v3, s10
	v_mov_b32_e32 v4, s11
	;; [unrolled: 1-line block ×4, first 2 shown]
	ds_write_b128 v2, v[3:6] offset:2048
.LBB135_14:
	s_or_b64 exec, exec, s[8:9]
	s_waitcnt lgkmcnt(0)
	s_barrier
	s_and_saveexec_b64 s[4:5], s[0:1]
	s_cbranch_execz .LBB135_16
; %bb.15:
	s_movk_i32 s0, 0x1410
	v_mov_b32_e32 v6, 0
	v_add_u32_e64 v12, s0, 0
	v_add_u32_e64 v8, 8, 0
	ds_read2st64_b64 v[2:5], v6 offset1:2
	ds_read2st64_b64 v[8:11], v8 offset0:6 offset1:8
	ds_read2_b64 v[12:15], v12 offset1:255
	s_movk_i32 s0, 0x2410
	s_waitcnt lgkmcnt(0)
	v_fma_f64 v[4:5], -v[14:15], v[10:11], v[4:5]
	v_fma_f64 v[12:13], -v[12:13], v[10:11], v[8:9]
	v_add_u32_e64 v8, s0, 0
	ds_read2_b64 v[8:11], v8 offset1:255
	s_waitcnt lgkmcnt(0)
	v_fma_f64 v[4:5], -v[10:11], v[2:3], v[4:5]
	v_fma_f64 v[2:3], -v[8:9], v[2:3], v[12:13]
	ds_write_b64 v6, v[4:5] offset:1024
	ds_write_b64 v6, v[2:3] offset:3080
.LBB135_16:
	s_or_b64 exec, exec, s[4:5]
	v_cmp_gt_u32_e64 s[0:1], 2, v0
	s_waitcnt lgkmcnt(0)
	s_barrier
	s_and_saveexec_b64 s[4:5], s[0:1]
	s_cbranch_execz .LBB135_18
; %bb.17:
	s_movk_i32 s0, 0x3f8
	v_mad_u32_u24 v6, v0, s0, v7
	v_lshlrev_b32_e32 v16, 10, v0
	v_add_u32_e32 v8, 0x1210, v16
	v_add_u32_e32 v12, 8, v6
	ds_read2st64_b64 v[2:5], v6 offset1:1
	ds_read2_b64 v[8:11], v8 offset1:255
	ds_read2st64_b64 v[12:15], v12 offset0:5 offset1:6
	s_waitcnt lgkmcnt(0)
	v_fma_f64 v[4:5], -v[10:11], v[14:15], v[4:5]
	v_fma_f64 v[12:13], -v[8:9], v[14:15], v[12:13]
	v_add_u32_e32 v8, 0x2210, v16
	ds_read2_b64 v[8:11], v8 offset1:255
	s_waitcnt lgkmcnt(0)
	v_fma_f64 v[4:5], -v[10:11], v[2:3], v[4:5]
	v_fma_f64 v[2:3], -v[8:9], v[2:3], v[12:13]
	ds_write_b64 v6, v[4:5] offset:512
	ds_write_b64 v6, v[2:3] offset:2568
.LBB135_18:
	s_or_b64 exec, exec, s[4:5]
	v_cmp_gt_u32_e64 s[0:1], 4, v0
	s_waitcnt lgkmcnt(0)
	s_barrier
	s_and_saveexec_b64 s[4:5], s[0:1]
	s_cbranch_execz .LBB135_20
; %bb.19:
	v_lshlrev_b32_e32 v6, 9, v0
	v_add_u32_e32 v8, 0x1110, v6
	v_add_u32_e32 v12, 0x800, v6
	ds_read2_b64 v[2:5], v6 offset1:32
	ds_read2_b64 v[8:11], v8 offset1:255
	ds_read2_b64 v[12:15], v12 offset0:33 offset1:65
	s_waitcnt lgkmcnt(0)
	v_fma_f64 v[4:5], -v[10:11], v[14:15], v[4:5]
	v_fma_f64 v[12:13], -v[8:9], v[14:15], v[12:13]
	v_add_u32_e32 v8, 0x2110, v6
	ds_read2_b64 v[8:11], v8 offset1:255
	s_waitcnt lgkmcnt(0)
	v_fma_f64 v[4:5], -v[10:11], v[2:3], v[4:5]
	v_fma_f64 v[2:3], -v[8:9], v[2:3], v[12:13]
	ds_write_b64 v6, v[4:5] offset:256
	ds_write_b64 v6, v[2:3] offset:2312
.LBB135_20:
	s_or_b64 exec, exec, s[4:5]
	v_cmp_gt_u32_e64 s[0:1], 8, v0
	s_waitcnt lgkmcnt(0)
	s_barrier
	s_and_saveexec_b64 s[4:5], s[0:1]
	s_cbranch_execz .LBB135_22
; %bb.21:
	v_lshlrev_b32_e32 v6, 8, v0
	v_add_u32_e32 v8, 0x1090, v6
	v_add_u32_e32 v12, 0x800, v6
	ds_read2_b64 v[2:5], v6 offset1:16
	ds_read2_b64 v[8:11], v8 offset1:255
	ds_read2_b64 v[12:15], v12 offset0:17 offset1:33
	s_waitcnt lgkmcnt(0)
	v_fma_f64 v[4:5], -v[10:11], v[14:15], v[4:5]
	v_fma_f64 v[12:13], -v[8:9], v[14:15], v[12:13]
	v_add_u32_e32 v8, 0x2090, v6
	ds_read2_b64 v[8:11], v8 offset1:255
	s_waitcnt lgkmcnt(0)
	v_fma_f64 v[4:5], -v[10:11], v[2:3], v[4:5]
	v_fma_f64 v[2:3], -v[8:9], v[2:3], v[12:13]
	ds_write_b64 v6, v[4:5] offset:128
	ds_write_b64 v6, v[2:3] offset:2184
.LBB135_22:
	;; [unrolled: 24-line block ×5, first 2 shown]
	s_or_b64 exec, exec, s[4:5]
	s_movk_i32 s0, 0x80
	v_cmp_gt_u32_e64 s[0:1], s0, v0
	s_waitcnt lgkmcnt(0)
	s_barrier
	s_and_saveexec_b64 s[4:5], s[0:1]
	s_cbranch_execz .LBB135_30
; %bb.29:
	v_lshlrev_b32_e32 v0, 4, v0
	v_add_u32_e32 v6, 0x1018, v0
	ds_read_b128 v[2:5], v0
	ds_read_b128 v[8:11], v0 offset:2064
	ds_read2_b64 v[12:15], v6 offset1:255
	v_add_u32_e32 v6, 0x2018, v0
	s_waitcnt lgkmcnt(0)
	v_fma_f64 v[4:5], -v[14:15], v[10:11], v[4:5]
	v_fma_f64 v[12:13], -v[12:13], v[10:11], v[8:9]
	ds_read2_b64 v[8:11], v6 offset1:255
	s_waitcnt lgkmcnt(0)
	v_fma_f64 v[4:5], -v[10:11], v[2:3], v[4:5]
	v_fma_f64 v[2:3], -v[8:9], v[2:3], v[12:13]
	ds_write_b64 v0, v[4:5] offset:8
	ds_write_b64 v0, v[2:3] offset:2064
.LBB135_30:
	s_or_b64 exec, exec, s[4:5]
	s_waitcnt lgkmcnt(0)
	s_barrier
	s_and_saveexec_b64 s[0:1], vcc
	s_cbranch_execz .LBB135_32
; %bb.31:
	v_add_u32_e32 v0, 8, v7
	ds_read2st64_b64 v[3:6], v0 offset1:4
	v_ashrrev_i32_e32 v2, 31, v1
	v_lshlrev_b64 v[7:8], 3, v[1:2]
	v_mov_b32_e32 v2, s3
	v_mad_u64_u32 v[0:1], s[0:1], s14, 15, v[1:2]
	v_add_co_u32_e32 v1, vcc, s2, v7
	v_addc_co_u32_e32 v2, vcc, v2, v8, vcc
	s_waitcnt lgkmcnt(0)
	global_store_dwordx2 v[1:2], v[5:6], off
	v_mov_b32_e32 v1, 0
	v_lshlrev_b64 v[0:1], 3, v[0:1]
	v_mov_b32_e32 v2, s3
	v_add_co_u32_e32 v0, vcc, s2, v0
	v_addc_co_u32_e32 v1, vcc, v2, v1, vcc
	global_store_dwordx2 v[0:1], v[3:4], off
.LBB135_32:
	s_endpgm
	.section	.rodata,"a",@progbits
	.p2align	6, 0x0
	.amdhsa_kernel _ZN9rocsparseL33gtsv_solve_spike_propagate_kernelILj256ELj16EdEEviiiPT1_PKS1_S4_S4_
		.amdhsa_group_segment_fixed_size 12304
		.amdhsa_private_segment_fixed_size 0
		.amdhsa_kernarg_size 304
		.amdhsa_user_sgpr_count 6
		.amdhsa_user_sgpr_private_segment_buffer 1
		.amdhsa_user_sgpr_dispatch_ptr 0
		.amdhsa_user_sgpr_queue_ptr 0
		.amdhsa_user_sgpr_kernarg_segment_ptr 1
		.amdhsa_user_sgpr_dispatch_id 0
		.amdhsa_user_sgpr_flat_scratch_init 0
		.amdhsa_user_sgpr_private_segment_size 0
		.amdhsa_uses_dynamic_stack 0
		.amdhsa_system_sgpr_private_segment_wavefront_offset 0
		.amdhsa_system_sgpr_workgroup_id_x 1
		.amdhsa_system_sgpr_workgroup_id_y 1
		.amdhsa_system_sgpr_workgroup_id_z 0
		.amdhsa_system_sgpr_workgroup_info 0
		.amdhsa_system_vgpr_workitem_id 0
		.amdhsa_next_free_vgpr 41
		.amdhsa_next_free_sgpr 98
		.amdhsa_reserve_vcc 1
		.amdhsa_reserve_flat_scratch 0
		.amdhsa_float_round_mode_32 0
		.amdhsa_float_round_mode_16_64 0
		.amdhsa_float_denorm_mode_32 3
		.amdhsa_float_denorm_mode_16_64 3
		.amdhsa_dx10_clamp 1
		.amdhsa_ieee_mode 1
		.amdhsa_fp16_overflow 0
		.amdhsa_exception_fp_ieee_invalid_op 0
		.amdhsa_exception_fp_denorm_src 0
		.amdhsa_exception_fp_ieee_div_zero 0
		.amdhsa_exception_fp_ieee_overflow 0
		.amdhsa_exception_fp_ieee_underflow 0
		.amdhsa_exception_fp_ieee_inexact 0
		.amdhsa_exception_int_div_zero 0
	.end_amdhsa_kernel
	.section	.text._ZN9rocsparseL33gtsv_solve_spike_propagate_kernelILj256ELj16EdEEviiiPT1_PKS1_S4_S4_,"axG",@progbits,_ZN9rocsparseL33gtsv_solve_spike_propagate_kernelILj256ELj16EdEEviiiPT1_PKS1_S4_S4_,comdat
.Lfunc_end135:
	.size	_ZN9rocsparseL33gtsv_solve_spike_propagate_kernelILj256ELj16EdEEviiiPT1_PKS1_S4_S4_, .Lfunc_end135-_ZN9rocsparseL33gtsv_solve_spike_propagate_kernelILj256ELj16EdEEviiiPT1_PKS1_S4_S4_
                                        ; -- End function
	.set _ZN9rocsparseL33gtsv_solve_spike_propagate_kernelILj256ELj16EdEEviiiPT1_PKS1_S4_S4_.num_vgpr, 17
	.set _ZN9rocsparseL33gtsv_solve_spike_propagate_kernelILj256ELj16EdEEviiiPT1_PKS1_S4_S4_.num_agpr, 0
	.set _ZN9rocsparseL33gtsv_solve_spike_propagate_kernelILj256ELj16EdEEviiiPT1_PKS1_S4_S4_.numbered_sgpr, 18
	.set _ZN9rocsparseL33gtsv_solve_spike_propagate_kernelILj256ELj16EdEEviiiPT1_PKS1_S4_S4_.num_named_barrier, 0
	.set _ZN9rocsparseL33gtsv_solve_spike_propagate_kernelILj256ELj16EdEEviiiPT1_PKS1_S4_S4_.private_seg_size, 0
	.set _ZN9rocsparseL33gtsv_solve_spike_propagate_kernelILj256ELj16EdEEviiiPT1_PKS1_S4_S4_.uses_vcc, 1
	.set _ZN9rocsparseL33gtsv_solve_spike_propagate_kernelILj256ELj16EdEEviiiPT1_PKS1_S4_S4_.uses_flat_scratch, 0
	.set _ZN9rocsparseL33gtsv_solve_spike_propagate_kernelILj256ELj16EdEEviiiPT1_PKS1_S4_S4_.has_dyn_sized_stack, 0
	.set _ZN9rocsparseL33gtsv_solve_spike_propagate_kernelILj256ELj16EdEEviiiPT1_PKS1_S4_S4_.has_recursion, 0
	.set _ZN9rocsparseL33gtsv_solve_spike_propagate_kernelILj256ELj16EdEEviiiPT1_PKS1_S4_S4_.has_indirect_call, 0
	.section	.AMDGPU.csdata,"",@progbits
; Kernel info:
; codeLenInByte = 2036
; TotalNumSgprs: 22
; NumVgprs: 17
; ScratchSize: 0
; MemoryBound: 0
; FloatMode: 240
; IeeeMode: 1
; LDSByteSize: 12304 bytes/workgroup (compile time only)
; SGPRBlocks: 12
; VGPRBlocks: 10
; NumSGPRsForWavesPerEU: 102
; NumVGPRsForWavesPerEU: 41
; Occupancy: 5
; WaveLimiterHint : 0
; COMPUTE_PGM_RSRC2:SCRATCH_EN: 0
; COMPUTE_PGM_RSRC2:USER_SGPR: 6
; COMPUTE_PGM_RSRC2:TRAP_HANDLER: 0
; COMPUTE_PGM_RSRC2:TGID_X_EN: 1
; COMPUTE_PGM_RSRC2:TGID_Y_EN: 1
; COMPUTE_PGM_RSRC2:TGID_Z_EN: 0
; COMPUTE_PGM_RSRC2:TIDIG_COMP_CNT: 0
	.section	.text._ZN9rocsparseL39gtsv_spike_backward_substitution_kernelILj256ELj16EdEEviiiPT1_PKS1_S4_,"axG",@progbits,_ZN9rocsparseL39gtsv_spike_backward_substitution_kernelILj256ELj16EdEEviiiPT1_PKS1_S4_,comdat
	.globl	_ZN9rocsparseL39gtsv_spike_backward_substitution_kernelILj256ELj16EdEEviiiPT1_PKS1_S4_ ; -- Begin function _ZN9rocsparseL39gtsv_spike_backward_substitution_kernelILj256ELj16EdEEviiiPT1_PKS1_S4_
	.p2align	8
	.type	_ZN9rocsparseL39gtsv_spike_backward_substitution_kernelILj256ELj16EdEEviiiPT1_PKS1_S4_,@function
_ZN9rocsparseL39gtsv_spike_backward_substitution_kernelILj256ELj16EdEEviiiPT1_PKS1_S4_: ; @_ZN9rocsparseL39gtsv_spike_backward_substitution_kernelILj256ELj16EdEEviiiPT1_PKS1_S4_
; %bb.0:
	s_load_dword s11, s[4:5], 0x0
	v_lshl_or_b32 v5, s6, 8, v0
	s_waitcnt lgkmcnt(0)
	s_lshr_b32 s6, s11, 4
	v_cmp_gt_i32_e32 vcc, s6, v5
	s_and_saveexec_b64 s[0:1], vcc
	s_cbranch_execz .LBB136_6
; %bb.1:
	s_load_dwordx2 s[8:9], s[4:5], 0x10
	v_mov_b32_e32 v0, 0
	v_cmp_lt_i32_e32 vcc, 0, v5
	v_mov_b32_e32 v1, 0
	s_mul_i32 s10, s11, s7
	s_and_saveexec_b64 s[0:1], vcc
	s_cbranch_execz .LBB136_3
; %bb.2:
	s_mul_i32 s2, s6, 15
	s_mul_i32 s3, s11, s7
	s_add_i32 s2, s2, s3
	v_add3_u32 v0, v5, s2, -1
	v_mov_b32_e32 v1, 0
	v_lshlrev_b64 v[0:1], 3, v[0:1]
	s_waitcnt lgkmcnt(0)
	v_mov_b32_e32 v2, s9
	v_add_co_u32_e32 v0, vcc, s8, v0
	v_addc_co_u32_e32 v1, vcc, v2, v1, vcc
	global_load_dwordx2 v[0:1], v[0:1], off
.LBB136_3:
	s_or_b64 exec, exec, s[0:1]
	s_load_dwordx4 s[0:3], s[4:5], 0x18
	v_add_u32_e32 v2, 16, v5
	v_cmp_le_u32_e32 vcc, s11, v2
	s_and_saveexec_b64 s[4:5], vcc
	s_xor_b64 s[4:5], exec, s[4:5]
	s_or_saveexec_b64 s[4:5], s[4:5]
	v_mov_b32_e32 v2, 0
	v_mov_b32_e32 v3, 0
	;; [unrolled: 1-line block ×3, first 2 shown]
	s_xor_b64 exec, exec, s[4:5]
	s_cbranch_execz .LBB136_5
; %bb.4:
	s_ashr_i32 s7, s10, 31
	v_ashrrev_i32_e32 v3, 31, v5
	v_mov_b32_e32 v4, s7
	v_add_co_u32_e32 v2, vcc, s10, v5
	v_addc_co_u32_e32 v3, vcc, v3, v4, vcc
	v_lshlrev_b64 v[2:3], 3, v[2:3]
	s_waitcnt lgkmcnt(0)
	v_mov_b32_e32 v4, s9
	v_add_co_u32_e32 v2, vcc, s8, v2
	v_addc_co_u32_e32 v3, vcc, v4, v3, vcc
	global_load_dwordx2 v[2:3], v[2:3], off offset:8
	v_mov_b32_e32 v4, s10
.LBB136_5:
	s_or_b64 exec, exec, s[4:5]
	v_add_u32_e32 v5, s6, v5
	v_add_u32_e32 v6, v5, v4
	v_ashrrev_i32_e32 v7, 31, v6
	v_lshlrev_b64 v[6:7], 3, v[6:7]
	s_waitcnt lgkmcnt(0)
	v_mov_b32_e32 v9, s9
	v_add_co_u32_e32 v8, vcc, s8, v6
	v_ashrrev_i32_e32 v6, 31, v5
	v_addc_co_u32_e32 v9, vcc, v9, v7, vcc
	v_lshlrev_b64 v[6:7], 3, v[5:6]
	v_mov_b32_e32 v13, s1
	v_add_co_u32_e32 v12, vcc, s0, v6
	v_addc_co_u32_e32 v13, vcc, v13, v7, vcc
	global_load_dwordx2 v[10:11], v[8:9], off
	v_mov_b32_e32 v14, s3
	global_load_dwordx2 v[12:13], v[12:13], off
	v_add_co_u32_e32 v6, vcc, s2, v6
	v_addc_co_u32_e32 v7, vcc, v14, v7, vcc
	global_load_dwordx2 v[6:7], v[6:7], off
	v_mov_b32_e32 v19, s1
	v_mov_b32_e32 v18, s9
	s_waitcnt vmcnt(1)
	v_fma_f64 v[10:11], -v[0:1], v[12:13], v[10:11]
	v_add_u32_e32 v12, s6, v5
	v_ashrrev_i32_e32 v13, 31, v12
	v_add_u32_e32 v14, v12, v4
	v_lshlrev_b64 v[16:17], 3, v[12:13]
	v_ashrrev_i32_e32 v15, 31, v14
	v_lshlrev_b64 v[13:14], 3, v[14:15]
	s_waitcnt vmcnt(0)
	v_fma_f64 v[5:6], -v[2:3], v[6:7], v[10:11]
	v_add_co_u32_e32 v10, vcc, s0, v16
	v_addc_co_u32_e32 v11, vcc, v19, v17, vcc
	v_add_co_u32_e32 v13, vcc, s8, v13
	v_addc_co_u32_e32 v14, vcc, v18, v14, vcc
	global_store_dwordx2 v[8:9], v[5:6], off
	global_load_dwordx2 v[10:11], v[10:11], off
	v_mov_b32_e32 v8, s3
	global_load_dwordx2 v[5:6], v[13:14], off
	v_add_co_u32_e32 v7, vcc, s2, v16
	v_addc_co_u32_e32 v8, vcc, v8, v17, vcc
	global_load_dwordx2 v[7:8], v[7:8], off
	v_add_u32_e32 v9, s6, v12
	v_mov_b32_e32 v18, s1
	v_mov_b32_e32 v17, s9
	s_waitcnt vmcnt(1)
	v_fma_f64 v[5:6], -v[0:1], v[10:11], v[5:6]
	v_ashrrev_i32_e32 v10, 31, v9
	v_add_u32_e32 v11, v9, v4
	v_lshlrev_b64 v[15:16], 3, v[9:10]
	v_ashrrev_i32_e32 v12, 31, v11
	v_lshlrev_b64 v[10:11], 3, v[11:12]
	s_waitcnt vmcnt(0)
	v_fma_f64 v[5:6], -v[2:3], v[7:8], v[5:6]
	v_add_co_u32_e32 v7, vcc, s0, v15
	v_addc_co_u32_e32 v8, vcc, v18, v16, vcc
	v_add_co_u32_e32 v10, vcc, s8, v10
	v_addc_co_u32_e32 v11, vcc, v17, v11, vcc
	global_store_dwordx2 v[13:14], v[5:6], off
	global_load_dwordx2 v[7:8], v[7:8], off
	v_mov_b32_e32 v13, s3
	global_load_dwordx2 v[5:6], v[10:11], off
	v_add_co_u32_e32 v12, vcc, s2, v15
	v_addc_co_u32_e32 v13, vcc, v13, v16, vcc
	global_load_dwordx2 v[12:13], v[12:13], off
	v_mov_b32_e32 v17, s1
	v_mov_b32_e32 v16, s9
	;; [unrolled: 1-line block ×3, first 2 shown]
	s_waitcnt vmcnt(1)
	v_fma_f64 v[5:6], -v[0:1], v[7:8], v[5:6]
	v_add_u32_e32 v7, s6, v9
	v_ashrrev_i32_e32 v8, 31, v7
	v_add_u32_e32 v14, v7, v4
	v_lshlrev_b64 v[8:9], 3, v[7:8]
	v_ashrrev_i32_e32 v15, 31, v14
	v_lshlrev_b64 v[14:15], 3, v[14:15]
	s_waitcnt vmcnt(0)
	v_fma_f64 v[5:6], -v[2:3], v[12:13], v[5:6]
	v_add_co_u32_e32 v12, vcc, s0, v8
	v_addc_co_u32_e32 v13, vcc, v17, v9, vcc
	v_add_co_u32_e32 v14, vcc, s8, v14
	v_addc_co_u32_e32 v15, vcc, v16, v15, vcc
	global_store_dwordx2 v[10:11], v[5:6], off
	global_load_dwordx2 v[12:13], v[12:13], off
	v_mov_b32_e32 v10, s3
	global_load_dwordx2 v[5:6], v[14:15], off
	v_add_co_u32_e32 v8, vcc, s2, v8
	v_addc_co_u32_e32 v9, vcc, v10, v9, vcc
	global_load_dwordx2 v[8:9], v[8:9], off
	v_add_u32_e32 v10, s6, v7
	v_ashrrev_i32_e32 v11, 31, v10
	v_lshlrev_b64 v[16:17], 3, v[10:11]
	v_add_co_u32_e32 v7, vcc, s0, v16
	s_waitcnt vmcnt(1)
	v_fma_f64 v[5:6], -v[0:1], v[12:13], v[5:6]
	v_add_u32_e32 v12, v10, v4
	v_ashrrev_i32_e32 v13, 31, v12
	v_lshlrev_b64 v[11:12], 3, v[12:13]
	s_waitcnt vmcnt(0)
	v_fma_f64 v[5:6], -v[2:3], v[8:9], v[5:6]
	v_addc_co_u32_e32 v8, vcc, v19, v17, vcc
	v_add_co_u32_e32 v11, vcc, s8, v11
	v_addc_co_u32_e32 v12, vcc, v18, v12, vcc
	global_load_dwordx2 v[7:8], v[7:8], off
	v_mov_b32_e32 v9, s3
	global_store_dwordx2 v[14:15], v[5:6], off
	global_load_dwordx2 v[5:6], v[11:12], off
	v_add_co_u32_e32 v13, vcc, s2, v16
	v_addc_co_u32_e32 v14, vcc, v9, v17, vcc
	global_load_dwordx2 v[13:14], v[13:14], off
	v_mov_b32_e32 v18, s1
	v_mov_b32_e32 v17, s9
	s_waitcnt vmcnt(1)
	v_fma_f64 v[5:6], -v[0:1], v[7:8], v[5:6]
	v_add_u32_e32 v7, s6, v10
	v_ashrrev_i32_e32 v8, 31, v7
	v_add_u32_e32 v9, v7, v4
	v_lshlrev_b64 v[15:16], 3, v[7:8]
	v_ashrrev_i32_e32 v10, 31, v9
	v_lshlrev_b64 v[8:9], 3, v[9:10]
	s_waitcnt vmcnt(0)
	v_fma_f64 v[5:6], -v[2:3], v[13:14], v[5:6]
	v_add_co_u32_e32 v13, vcc, s0, v15
	v_addc_co_u32_e32 v14, vcc, v18, v16, vcc
	v_add_co_u32_e32 v8, vcc, s8, v8
	v_addc_co_u32_e32 v9, vcc, v17, v9, vcc
	global_store_dwordx2 v[11:12], v[5:6], off
	global_load_dwordx2 v[13:14], v[13:14], off
	v_mov_b32_e32 v11, s3
	global_load_dwordx2 v[5:6], v[8:9], off
	v_add_co_u32_e32 v10, vcc, s2, v15
	v_addc_co_u32_e32 v11, vcc, v11, v16, vcc
	global_load_dwordx2 v[10:11], v[10:11], off
	v_add_u32_e32 v12, s6, v7
	v_mov_b32_e32 v18, s9
	s_waitcnt vmcnt(1)
	v_fma_f64 v[5:6], -v[0:1], v[13:14], v[5:6]
	v_ashrrev_i32_e32 v13, 31, v12
	v_add_u32_e32 v14, v12, v4
	v_lshlrev_b64 v[16:17], 3, v[12:13]
	v_ashrrev_i32_e32 v15, 31, v14
	v_lshlrev_b64 v[13:14], 3, v[14:15]
	s_waitcnt vmcnt(0)
	v_fma_f64 v[5:6], -v[2:3], v[10:11], v[5:6]
	v_add_co_u32_e32 v10, vcc, s0, v16
	v_addc_co_u32_e32 v11, vcc, v19, v17, vcc
	v_add_co_u32_e32 v13, vcc, s8, v13
	v_addc_co_u32_e32 v14, vcc, v18, v14, vcc
	global_store_dwordx2 v[8:9], v[5:6], off
	global_load_dwordx2 v[10:11], v[10:11], off
	v_mov_b32_e32 v8, s3
	global_load_dwordx2 v[5:6], v[13:14], off
	v_add_co_u32_e32 v7, vcc, s2, v16
	v_addc_co_u32_e32 v8, vcc, v8, v17, vcc
	global_load_dwordx2 v[7:8], v[7:8], off
	v_add_u32_e32 v9, s6, v12
	v_mov_b32_e32 v18, s1
	v_mov_b32_e32 v17, s9
	s_waitcnt vmcnt(1)
	v_fma_f64 v[5:6], -v[0:1], v[10:11], v[5:6]
	v_ashrrev_i32_e32 v10, 31, v9
	v_add_u32_e32 v11, v9, v4
	v_lshlrev_b64 v[15:16], 3, v[9:10]
	v_ashrrev_i32_e32 v12, 31, v11
	v_lshlrev_b64 v[10:11], 3, v[11:12]
	s_waitcnt vmcnt(0)
	v_fma_f64 v[5:6], -v[2:3], v[7:8], v[5:6]
	v_add_co_u32_e32 v7, vcc, s0, v15
	v_addc_co_u32_e32 v8, vcc, v18, v16, vcc
	v_add_co_u32_e32 v10, vcc, s8, v10
	v_addc_co_u32_e32 v11, vcc, v17, v11, vcc
	global_store_dwordx2 v[13:14], v[5:6], off
	global_load_dwordx2 v[7:8], v[7:8], off
	v_mov_b32_e32 v13, s3
	global_load_dwordx2 v[5:6], v[10:11], off
	v_add_co_u32_e32 v12, vcc, s2, v15
	v_addc_co_u32_e32 v13, vcc, v13, v16, vcc
	global_load_dwordx2 v[12:13], v[12:13], off
	v_mov_b32_e32 v17, s1
	v_mov_b32_e32 v16, s9
	;; [unrolled: 1-line block ×3, first 2 shown]
	s_waitcnt vmcnt(1)
	v_fma_f64 v[5:6], -v[0:1], v[7:8], v[5:6]
	v_add_u32_e32 v7, s6, v9
	v_ashrrev_i32_e32 v8, 31, v7
	v_add_u32_e32 v14, v7, v4
	v_lshlrev_b64 v[8:9], 3, v[7:8]
	v_ashrrev_i32_e32 v15, 31, v14
	v_lshlrev_b64 v[14:15], 3, v[14:15]
	s_waitcnt vmcnt(0)
	v_fma_f64 v[5:6], -v[2:3], v[12:13], v[5:6]
	v_add_co_u32_e32 v12, vcc, s0, v8
	v_addc_co_u32_e32 v13, vcc, v17, v9, vcc
	v_add_co_u32_e32 v14, vcc, s8, v14
	v_addc_co_u32_e32 v15, vcc, v16, v15, vcc
	global_store_dwordx2 v[10:11], v[5:6], off
	global_load_dwordx2 v[12:13], v[12:13], off
	v_mov_b32_e32 v10, s3
	global_load_dwordx2 v[5:6], v[14:15], off
	v_add_co_u32_e32 v8, vcc, s2, v8
	v_addc_co_u32_e32 v9, vcc, v10, v9, vcc
	global_load_dwordx2 v[8:9], v[8:9], off
	v_add_u32_e32 v10, s6, v7
	v_ashrrev_i32_e32 v11, 31, v10
	v_lshlrev_b64 v[16:17], 3, v[10:11]
	v_add_co_u32_e32 v7, vcc, s0, v16
	s_waitcnt vmcnt(1)
	v_fma_f64 v[5:6], -v[0:1], v[12:13], v[5:6]
	v_add_u32_e32 v12, v10, v4
	v_ashrrev_i32_e32 v13, 31, v12
	v_lshlrev_b64 v[11:12], 3, v[12:13]
	s_waitcnt vmcnt(0)
	v_fma_f64 v[5:6], -v[2:3], v[8:9], v[5:6]
	v_addc_co_u32_e32 v8, vcc, v19, v17, vcc
	v_add_co_u32_e32 v11, vcc, s8, v11
	v_addc_co_u32_e32 v12, vcc, v18, v12, vcc
	global_load_dwordx2 v[7:8], v[7:8], off
	v_mov_b32_e32 v9, s3
	global_store_dwordx2 v[14:15], v[5:6], off
	global_load_dwordx2 v[5:6], v[11:12], off
	v_add_co_u32_e32 v13, vcc, s2, v16
	v_addc_co_u32_e32 v14, vcc, v9, v17, vcc
	global_load_dwordx2 v[13:14], v[13:14], off
	v_mov_b32_e32 v18, s1
	v_mov_b32_e32 v17, s9
	s_waitcnt vmcnt(1)
	v_fma_f64 v[5:6], -v[0:1], v[7:8], v[5:6]
	v_add_u32_e32 v7, s6, v10
	v_ashrrev_i32_e32 v8, 31, v7
	v_add_u32_e32 v9, v7, v4
	v_lshlrev_b64 v[15:16], 3, v[7:8]
	v_ashrrev_i32_e32 v10, 31, v9
	v_lshlrev_b64 v[8:9], 3, v[9:10]
	s_waitcnt vmcnt(0)
	v_fma_f64 v[5:6], -v[2:3], v[13:14], v[5:6]
	v_add_co_u32_e32 v13, vcc, s0, v15
	v_addc_co_u32_e32 v14, vcc, v18, v16, vcc
	v_add_co_u32_e32 v8, vcc, s8, v8
	v_addc_co_u32_e32 v9, vcc, v17, v9, vcc
	global_store_dwordx2 v[11:12], v[5:6], off
	global_load_dwordx2 v[13:14], v[13:14], off
	v_mov_b32_e32 v11, s3
	global_load_dwordx2 v[5:6], v[8:9], off
	v_add_co_u32_e32 v10, vcc, s2, v15
	v_addc_co_u32_e32 v11, vcc, v11, v16, vcc
	global_load_dwordx2 v[10:11], v[10:11], off
	v_add_u32_e32 v12, s6, v7
	v_mov_b32_e32 v18, s9
	s_waitcnt vmcnt(1)
	v_fma_f64 v[5:6], -v[0:1], v[13:14], v[5:6]
	v_ashrrev_i32_e32 v13, 31, v12
	v_add_u32_e32 v14, v12, v4
	v_lshlrev_b64 v[16:17], 3, v[12:13]
	v_ashrrev_i32_e32 v15, 31, v14
	v_lshlrev_b64 v[13:14], 3, v[14:15]
	s_waitcnt vmcnt(0)
	v_fma_f64 v[5:6], -v[2:3], v[10:11], v[5:6]
	v_add_co_u32_e32 v10, vcc, s0, v16
	v_addc_co_u32_e32 v11, vcc, v19, v17, vcc
	v_add_co_u32_e32 v13, vcc, s8, v13
	v_addc_co_u32_e32 v14, vcc, v18, v14, vcc
	global_store_dwordx2 v[8:9], v[5:6], off
	global_load_dwordx2 v[10:11], v[10:11], off
	v_mov_b32_e32 v8, s3
	global_load_dwordx2 v[5:6], v[13:14], off
	v_add_co_u32_e32 v7, vcc, s2, v16
	v_addc_co_u32_e32 v8, vcc, v8, v17, vcc
	global_load_dwordx2 v[7:8], v[7:8], off
	v_add_u32_e32 v9, s6, v12
	v_mov_b32_e32 v18, s1
	v_mov_b32_e32 v17, s9
	s_waitcnt vmcnt(1)
	v_fma_f64 v[5:6], -v[0:1], v[10:11], v[5:6]
	v_ashrrev_i32_e32 v10, 31, v9
	v_add_u32_e32 v11, v9, v4
	v_lshlrev_b64 v[15:16], 3, v[9:10]
	v_ashrrev_i32_e32 v12, 31, v11
	v_lshlrev_b64 v[10:11], 3, v[11:12]
	s_waitcnt vmcnt(0)
	v_fma_f64 v[5:6], -v[2:3], v[7:8], v[5:6]
	v_add_co_u32_e32 v7, vcc, s0, v15
	v_addc_co_u32_e32 v8, vcc, v18, v16, vcc
	v_add_co_u32_e32 v10, vcc, s8, v10
	v_addc_co_u32_e32 v11, vcc, v17, v11, vcc
	global_store_dwordx2 v[13:14], v[5:6], off
	global_load_dwordx2 v[7:8], v[7:8], off
	v_mov_b32_e32 v13, s3
	global_load_dwordx2 v[5:6], v[10:11], off
	v_add_co_u32_e32 v12, vcc, s2, v15
	v_addc_co_u32_e32 v13, vcc, v13, v16, vcc
	global_load_dwordx2 v[12:13], v[12:13], off
	v_mov_b32_e32 v17, s1
	v_mov_b32_e32 v16, s9
	s_waitcnt vmcnt(1)
	v_fma_f64 v[5:6], -v[0:1], v[7:8], v[5:6]
	v_add_u32_e32 v7, s6, v9
	v_add_u32_e32 v14, v7, v4
	v_ashrrev_i32_e32 v8, 31, v7
	v_lshlrev_b64 v[7:8], 3, v[7:8]
	v_ashrrev_i32_e32 v15, 31, v14
	v_lshlrev_b64 v[14:15], 3, v[14:15]
	s_waitcnt vmcnt(0)
	v_fma_f64 v[4:5], -v[2:3], v[12:13], v[5:6]
	v_add_co_u32_e32 v12, vcc, s0, v7
	v_addc_co_u32_e32 v13, vcc, v17, v8, vcc
	v_add_co_u32_e32 v14, vcc, s8, v14
	v_addc_co_u32_e32 v15, vcc, v16, v15, vcc
	global_store_dwordx2 v[10:11], v[4:5], off
	global_load_dwordx2 v[4:5], v[14:15], off
	s_nop 0
	global_load_dwordx2 v[9:10], v[12:13], off
	v_mov_b32_e32 v11, s3
	v_add_co_u32_e32 v6, vcc, s2, v7
	v_addc_co_u32_e32 v7, vcc, v11, v8, vcc
	global_load_dwordx2 v[6:7], v[6:7], off
	s_waitcnt vmcnt(1)
	v_fma_f64 v[0:1], -v[0:1], v[9:10], v[4:5]
	s_waitcnt vmcnt(0)
	v_fma_f64 v[0:1], -v[2:3], v[6:7], v[0:1]
	global_store_dwordx2 v[14:15], v[0:1], off
.LBB136_6:
	s_endpgm
	.section	.rodata,"a",@progbits
	.p2align	6, 0x0
	.amdhsa_kernel _ZN9rocsparseL39gtsv_spike_backward_substitution_kernelILj256ELj16EdEEviiiPT1_PKS1_S4_
		.amdhsa_group_segment_fixed_size 0
		.amdhsa_private_segment_fixed_size 0
		.amdhsa_kernarg_size 40
		.amdhsa_user_sgpr_count 6
		.amdhsa_user_sgpr_private_segment_buffer 1
		.amdhsa_user_sgpr_dispatch_ptr 0
		.amdhsa_user_sgpr_queue_ptr 0
		.amdhsa_user_sgpr_kernarg_segment_ptr 1
		.amdhsa_user_sgpr_dispatch_id 0
		.amdhsa_user_sgpr_flat_scratch_init 0
		.amdhsa_user_sgpr_private_segment_size 0
		.amdhsa_uses_dynamic_stack 0
		.amdhsa_system_sgpr_private_segment_wavefront_offset 0
		.amdhsa_system_sgpr_workgroup_id_x 1
		.amdhsa_system_sgpr_workgroup_id_y 1
		.amdhsa_system_sgpr_workgroup_id_z 0
		.amdhsa_system_sgpr_workgroup_info 0
		.amdhsa_system_vgpr_workitem_id 0
		.amdhsa_next_free_vgpr 20
		.amdhsa_next_free_sgpr 12
		.amdhsa_reserve_vcc 1
		.amdhsa_reserve_flat_scratch 0
		.amdhsa_float_round_mode_32 0
		.amdhsa_float_round_mode_16_64 0
		.amdhsa_float_denorm_mode_32 3
		.amdhsa_float_denorm_mode_16_64 3
		.amdhsa_dx10_clamp 1
		.amdhsa_ieee_mode 1
		.amdhsa_fp16_overflow 0
		.amdhsa_exception_fp_ieee_invalid_op 0
		.amdhsa_exception_fp_denorm_src 0
		.amdhsa_exception_fp_ieee_div_zero 0
		.amdhsa_exception_fp_ieee_overflow 0
		.amdhsa_exception_fp_ieee_underflow 0
		.amdhsa_exception_fp_ieee_inexact 0
		.amdhsa_exception_int_div_zero 0
	.end_amdhsa_kernel
	.section	.text._ZN9rocsparseL39gtsv_spike_backward_substitution_kernelILj256ELj16EdEEviiiPT1_PKS1_S4_,"axG",@progbits,_ZN9rocsparseL39gtsv_spike_backward_substitution_kernelILj256ELj16EdEEviiiPT1_PKS1_S4_,comdat
.Lfunc_end136:
	.size	_ZN9rocsparseL39gtsv_spike_backward_substitution_kernelILj256ELj16EdEEviiiPT1_PKS1_S4_, .Lfunc_end136-_ZN9rocsparseL39gtsv_spike_backward_substitution_kernelILj256ELj16EdEEviiiPT1_PKS1_S4_
                                        ; -- End function
	.set _ZN9rocsparseL39gtsv_spike_backward_substitution_kernelILj256ELj16EdEEviiiPT1_PKS1_S4_.num_vgpr, 20
	.set _ZN9rocsparseL39gtsv_spike_backward_substitution_kernelILj256ELj16EdEEviiiPT1_PKS1_S4_.num_agpr, 0
	.set _ZN9rocsparseL39gtsv_spike_backward_substitution_kernelILj256ELj16EdEEviiiPT1_PKS1_S4_.numbered_sgpr, 12
	.set _ZN9rocsparseL39gtsv_spike_backward_substitution_kernelILj256ELj16EdEEviiiPT1_PKS1_S4_.num_named_barrier, 0
	.set _ZN9rocsparseL39gtsv_spike_backward_substitution_kernelILj256ELj16EdEEviiiPT1_PKS1_S4_.private_seg_size, 0
	.set _ZN9rocsparseL39gtsv_spike_backward_substitution_kernelILj256ELj16EdEEviiiPT1_PKS1_S4_.uses_vcc, 1
	.set _ZN9rocsparseL39gtsv_spike_backward_substitution_kernelILj256ELj16EdEEviiiPT1_PKS1_S4_.uses_flat_scratch, 0
	.set _ZN9rocsparseL39gtsv_spike_backward_substitution_kernelILj256ELj16EdEEviiiPT1_PKS1_S4_.has_dyn_sized_stack, 0
	.set _ZN9rocsparseL39gtsv_spike_backward_substitution_kernelILj256ELj16EdEEviiiPT1_PKS1_S4_.has_recursion, 0
	.set _ZN9rocsparseL39gtsv_spike_backward_substitution_kernelILj256ELj16EdEEviiiPT1_PKS1_S4_.has_indirect_call, 0
	.section	.AMDGPU.csdata,"",@progbits
; Kernel info:
; codeLenInByte = 1968
; TotalNumSgprs: 16
; NumVgprs: 20
; ScratchSize: 0
; MemoryBound: 0
; FloatMode: 240
; IeeeMode: 1
; LDSByteSize: 0 bytes/workgroup (compile time only)
; SGPRBlocks: 1
; VGPRBlocks: 4
; NumSGPRsForWavesPerEU: 16
; NumVGPRsForWavesPerEU: 20
; Occupancy: 10
; WaveLimiterHint : 0
; COMPUTE_PGM_RSRC2:SCRATCH_EN: 0
; COMPUTE_PGM_RSRC2:USER_SGPR: 6
; COMPUTE_PGM_RSRC2:TRAP_HANDLER: 0
; COMPUTE_PGM_RSRC2:TGID_X_EN: 1
; COMPUTE_PGM_RSRC2:TGID_Y_EN: 1
; COMPUTE_PGM_RSRC2:TGID_Z_EN: 0
; COMPUTE_PGM_RSRC2:TIDIG_COMP_CNT: 0
	.section	.text._ZN9rocsparseL32gtsv_transpose_back_array_kernelILj256ELj16EdEEviiiPKT1_PS1_,"axG",@progbits,_ZN9rocsparseL32gtsv_transpose_back_array_kernelILj256ELj16EdEEviiiPKT1_PS1_,comdat
	.globl	_ZN9rocsparseL32gtsv_transpose_back_array_kernelILj256ELj16EdEEviiiPKT1_PS1_ ; -- Begin function _ZN9rocsparseL32gtsv_transpose_back_array_kernelILj256ELj16EdEEviiiPKT1_PS1_
	.p2align	8
	.type	_ZN9rocsparseL32gtsv_transpose_back_array_kernelILj256ELj16EdEEviiiPKT1_PS1_,@function
_ZN9rocsparseL32gtsv_transpose_back_array_kernelILj256ELj16EdEEviiiPKT1_PS1_: ; @_ZN9rocsparseL32gtsv_transpose_back_array_kernelILj256ELj16EdEEviiiPKT1_PS1_
; %bb.0:
	s_load_dwordx4 s[0:3], s[4:5], 0x0
	v_lshl_or_b32 v0, s6, 8, v0
	v_lshlrev_b32_e32 v3, 4, v0
	s_waitcnt lgkmcnt(0)
	v_cvt_f32_u32_e32 v1, s1
	s_sub_i32 s3, 0, s1
	v_rcp_iflag_f32_e32 v1, v1
	v_mul_f32_e32 v1, 0x4f7ffffe, v1
	v_cvt_u32_f32_e32 v1, v1
	v_mul_lo_u32 v2, s3, v1
	v_mul_hi_u32 v2, v1, v2
	v_add_u32_e32 v1, v1, v2
	v_mul_hi_u32 v1, v3, v1
	v_mul_lo_u32 v2, v1, s1
	v_add_u32_e32 v4, 1, v1
	v_sub_u32_e32 v2, v3, v2
	v_cmp_le_u32_e32 vcc, s1, v2
	v_cndmask_b32_e32 v1, v1, v4, vcc
	v_subrev_u32_e32 v4, s1, v2
	v_cndmask_b32_e32 v2, v2, v4, vcc
	v_add_u32_e32 v4, 1, v1
	v_cmp_le_u32_e32 vcc, s1, v2
	v_cndmask_b32_e32 v1, v1, v4, vcc
	v_mul_lo_u32 v2, v1, s1
	v_sub_u32_e32 v2, v3, v2
	v_add_u32_e32 v1, v1, v2
	v_cmp_gt_i32_e32 vcc, s0, v1
	s_and_saveexec_b64 s[8:9], vcc
	s_cbranch_execz .LBB137_2
; %bb.1:
	s_load_dwordx4 s[8:11], s[4:5], 0x10
	s_mul_i32 s0, s1, s7
	v_add_u32_e32 v2, s0, v0
	v_ashrrev_i32_e32 v3, 31, v2
	v_lshlrev_b64 v[2:3], 3, v[2:3]
	s_waitcnt lgkmcnt(0)
	v_mov_b32_e32 v0, s9
	v_add_co_u32_e32 v2, vcc, s8, v2
	v_addc_co_u32_e32 v3, vcc, v0, v3, vcc
	global_load_dwordx2 v[2:3], v[2:3], off
	s_mul_i32 s0, s2, s7
	v_add_u32_e32 v0, s0, v1
	v_ashrrev_i32_e32 v1, 31, v0
	v_lshlrev_b64 v[0:1], 3, v[0:1]
	v_mov_b32_e32 v4, s11
	v_add_co_u32_e32 v0, vcc, s10, v0
	v_addc_co_u32_e32 v1, vcc, v4, v1, vcc
	s_waitcnt vmcnt(0)
	global_store_dwordx2 v[0:1], v[2:3], off
.LBB137_2:
	s_endpgm
	.section	.rodata,"a",@progbits
	.p2align	6, 0x0
	.amdhsa_kernel _ZN9rocsparseL32gtsv_transpose_back_array_kernelILj256ELj16EdEEviiiPKT1_PS1_
		.amdhsa_group_segment_fixed_size 0
		.amdhsa_private_segment_fixed_size 0
		.amdhsa_kernarg_size 32
		.amdhsa_user_sgpr_count 6
		.amdhsa_user_sgpr_private_segment_buffer 1
		.amdhsa_user_sgpr_dispatch_ptr 0
		.amdhsa_user_sgpr_queue_ptr 0
		.amdhsa_user_sgpr_kernarg_segment_ptr 1
		.amdhsa_user_sgpr_dispatch_id 0
		.amdhsa_user_sgpr_flat_scratch_init 0
		.amdhsa_user_sgpr_private_segment_size 0
		.amdhsa_uses_dynamic_stack 0
		.amdhsa_system_sgpr_private_segment_wavefront_offset 0
		.amdhsa_system_sgpr_workgroup_id_x 1
		.amdhsa_system_sgpr_workgroup_id_y 1
		.amdhsa_system_sgpr_workgroup_id_z 0
		.amdhsa_system_sgpr_workgroup_info 0
		.amdhsa_system_vgpr_workitem_id 0
		.amdhsa_next_free_vgpr 5
		.amdhsa_next_free_sgpr 12
		.amdhsa_reserve_vcc 1
		.amdhsa_reserve_flat_scratch 0
		.amdhsa_float_round_mode_32 0
		.amdhsa_float_round_mode_16_64 0
		.amdhsa_float_denorm_mode_32 3
		.amdhsa_float_denorm_mode_16_64 3
		.amdhsa_dx10_clamp 1
		.amdhsa_ieee_mode 1
		.amdhsa_fp16_overflow 0
		.amdhsa_exception_fp_ieee_invalid_op 0
		.amdhsa_exception_fp_denorm_src 0
		.amdhsa_exception_fp_ieee_div_zero 0
		.amdhsa_exception_fp_ieee_overflow 0
		.amdhsa_exception_fp_ieee_underflow 0
		.amdhsa_exception_fp_ieee_inexact 0
		.amdhsa_exception_int_div_zero 0
	.end_amdhsa_kernel
	.section	.text._ZN9rocsparseL32gtsv_transpose_back_array_kernelILj256ELj16EdEEviiiPKT1_PS1_,"axG",@progbits,_ZN9rocsparseL32gtsv_transpose_back_array_kernelILj256ELj16EdEEviiiPKT1_PS1_,comdat
.Lfunc_end137:
	.size	_ZN9rocsparseL32gtsv_transpose_back_array_kernelILj256ELj16EdEEviiiPKT1_PS1_, .Lfunc_end137-_ZN9rocsparseL32gtsv_transpose_back_array_kernelILj256ELj16EdEEviiiPKT1_PS1_
                                        ; -- End function
	.set _ZN9rocsparseL32gtsv_transpose_back_array_kernelILj256ELj16EdEEviiiPKT1_PS1_.num_vgpr, 5
	.set _ZN9rocsparseL32gtsv_transpose_back_array_kernelILj256ELj16EdEEviiiPKT1_PS1_.num_agpr, 0
	.set _ZN9rocsparseL32gtsv_transpose_back_array_kernelILj256ELj16EdEEviiiPKT1_PS1_.numbered_sgpr, 12
	.set _ZN9rocsparseL32gtsv_transpose_back_array_kernelILj256ELj16EdEEviiiPKT1_PS1_.num_named_barrier, 0
	.set _ZN9rocsparseL32gtsv_transpose_back_array_kernelILj256ELj16EdEEviiiPKT1_PS1_.private_seg_size, 0
	.set _ZN9rocsparseL32gtsv_transpose_back_array_kernelILj256ELj16EdEEviiiPKT1_PS1_.uses_vcc, 1
	.set _ZN9rocsparseL32gtsv_transpose_back_array_kernelILj256ELj16EdEEviiiPKT1_PS1_.uses_flat_scratch, 0
	.set _ZN9rocsparseL32gtsv_transpose_back_array_kernelILj256ELj16EdEEviiiPKT1_PS1_.has_dyn_sized_stack, 0
	.set _ZN9rocsparseL32gtsv_transpose_back_array_kernelILj256ELj16EdEEviiiPKT1_PS1_.has_recursion, 0
	.set _ZN9rocsparseL32gtsv_transpose_back_array_kernelILj256ELj16EdEEviiiPKT1_PS1_.has_indirect_call, 0
	.section	.AMDGPU.csdata,"",@progbits
; Kernel info:
; codeLenInByte = 248
; TotalNumSgprs: 16
; NumVgprs: 5
; ScratchSize: 0
; MemoryBound: 0
; FloatMode: 240
; IeeeMode: 1
; LDSByteSize: 0 bytes/workgroup (compile time only)
; SGPRBlocks: 1
; VGPRBlocks: 1
; NumSGPRsForWavesPerEU: 16
; NumVGPRsForWavesPerEU: 5
; Occupancy: 10
; WaveLimiterHint : 0
; COMPUTE_PGM_RSRC2:SCRATCH_EN: 0
; COMPUTE_PGM_RSRC2:USER_SGPR: 6
; COMPUTE_PGM_RSRC2:TRAP_HANDLER: 0
; COMPUTE_PGM_RSRC2:TGID_X_EN: 1
; COMPUTE_PGM_RSRC2:TGID_Y_EN: 1
; COMPUTE_PGM_RSRC2:TGID_Z_EN: 0
; COMPUTE_PGM_RSRC2:TIDIG_COMP_CNT: 0
	.section	.text._ZN9rocsparseL42gtsv_transpose_and_pad_array_shared_kernelILj256ELj32EdEEviiiPKT1_PS1_S1_,"axG",@progbits,_ZN9rocsparseL42gtsv_transpose_and_pad_array_shared_kernelILj256ELj32EdEEviiiPKT1_PS1_S1_,comdat
	.globl	_ZN9rocsparseL42gtsv_transpose_and_pad_array_shared_kernelILj256ELj32EdEEviiiPKT1_PS1_S1_ ; -- Begin function _ZN9rocsparseL42gtsv_transpose_and_pad_array_shared_kernelILj256ELj32EdEEviiiPKT1_PS1_S1_
	.p2align	8
	.type	_ZN9rocsparseL42gtsv_transpose_and_pad_array_shared_kernelILj256ELj32EdEEviiiPKT1_PS1_S1_,@function
_ZN9rocsparseL42gtsv_transpose_and_pad_array_shared_kernelILj256ELj32EdEEviiiPKT1_PS1_S1_: ; @_ZN9rocsparseL42gtsv_transpose_and_pad_array_shared_kernelILj256ELj32EdEEviiiPKT1_PS1_S1_
; %bb.0:
	s_load_dwordx4 s[0:3], s[4:5], 0x0
	s_load_dwordx2 s[8:9], s[4:5], 0x20
	v_lshl_or_b32 v3, s6, 8, v0
	s_waitcnt lgkmcnt(0)
	v_cmp_gt_i32_e32 vcc, s0, v3
	v_mov_b32_e32 v1, s8
	v_mov_b32_e32 v2, s9
	s_and_saveexec_b64 s[8:9], vcc
	s_cbranch_execz .LBB138_2
; %bb.1:
	s_load_dwordx2 s[10:11], s[4:5], 0x10
	s_mul_i32 s0, s2, s7
	v_add_u32_e32 v1, s0, v3
	v_ashrrev_i32_e32 v2, 31, v1
	v_lshlrev_b64 v[1:2], 3, v[1:2]
	s_waitcnt lgkmcnt(0)
	v_mov_b32_e32 v3, s11
	v_add_co_u32_e32 v1, vcc, s10, v1
	v_addc_co_u32_e32 v2, vcc, v3, v2, vcc
	global_load_dwordx2 v[1:2], v[1:2], off
.LBB138_2:
	s_or_b64 exec, exec, s[8:9]
	v_lshrrev_b32_e32 v3, 3, v0
	v_and_b32_e32 v4, 7, v0
	v_lshlrev_b32_e32 v0, 3, v0
	s_waitcnt vmcnt(0)
	ds_write_b64 v0, v[1:2]
	s_lshr_b32 s0, s1, 5
	v_lshl_or_b32 v0, s6, 3, v4
	v_mad_u64_u32 v[0:1], s[2:3], s0, v3, v[0:1]
	s_waitcnt lgkmcnt(0)
	s_barrier
	v_cmp_gt_i32_e32 vcc, s1, v0
	s_and_saveexec_b64 s[2:3], vcc
	s_cbranch_execz .LBB138_4
; %bb.3:
	s_load_dwordx2 s[2:3], s[4:5], 0x18
	v_lshlrev_b32_e32 v1, 3, v3
	s_mul_i32 s0, s1, s7
	v_lshl_or_b32 v1, v4, 8, v1
	v_add_u32_e32 v3, s0, v0
	ds_read_b64 v[1:2], v1
	v_ashrrev_i32_e32 v4, 31, v3
	v_lshlrev_b64 v[3:4], 3, v[3:4]
	s_waitcnt lgkmcnt(0)
	v_mov_b32_e32 v0, s3
	v_add_co_u32_e32 v3, vcc, s2, v3
	v_addc_co_u32_e32 v4, vcc, v0, v4, vcc
	global_store_dwordx2 v[3:4], v[1:2], off
.LBB138_4:
	s_endpgm
	.section	.rodata,"a",@progbits
	.p2align	6, 0x0
	.amdhsa_kernel _ZN9rocsparseL42gtsv_transpose_and_pad_array_shared_kernelILj256ELj32EdEEviiiPKT1_PS1_S1_
		.amdhsa_group_segment_fixed_size 2048
		.amdhsa_private_segment_fixed_size 0
		.amdhsa_kernarg_size 40
		.amdhsa_user_sgpr_count 6
		.amdhsa_user_sgpr_private_segment_buffer 1
		.amdhsa_user_sgpr_dispatch_ptr 0
		.amdhsa_user_sgpr_queue_ptr 0
		.amdhsa_user_sgpr_kernarg_segment_ptr 1
		.amdhsa_user_sgpr_dispatch_id 0
		.amdhsa_user_sgpr_flat_scratch_init 0
		.amdhsa_user_sgpr_private_segment_size 0
		.amdhsa_uses_dynamic_stack 0
		.amdhsa_system_sgpr_private_segment_wavefront_offset 0
		.amdhsa_system_sgpr_workgroup_id_x 1
		.amdhsa_system_sgpr_workgroup_id_y 1
		.amdhsa_system_sgpr_workgroup_id_z 0
		.amdhsa_system_sgpr_workgroup_info 0
		.amdhsa_system_vgpr_workitem_id 0
		.amdhsa_next_free_vgpr 5
		.amdhsa_next_free_sgpr 12
		.amdhsa_reserve_vcc 1
		.amdhsa_reserve_flat_scratch 0
		.amdhsa_float_round_mode_32 0
		.amdhsa_float_round_mode_16_64 0
		.amdhsa_float_denorm_mode_32 3
		.amdhsa_float_denorm_mode_16_64 3
		.amdhsa_dx10_clamp 1
		.amdhsa_ieee_mode 1
		.amdhsa_fp16_overflow 0
		.amdhsa_exception_fp_ieee_invalid_op 0
		.amdhsa_exception_fp_denorm_src 0
		.amdhsa_exception_fp_ieee_div_zero 0
		.amdhsa_exception_fp_ieee_overflow 0
		.amdhsa_exception_fp_ieee_underflow 0
		.amdhsa_exception_fp_ieee_inexact 0
		.amdhsa_exception_int_div_zero 0
	.end_amdhsa_kernel
	.section	.text._ZN9rocsparseL42gtsv_transpose_and_pad_array_shared_kernelILj256ELj32EdEEviiiPKT1_PS1_S1_,"axG",@progbits,_ZN9rocsparseL42gtsv_transpose_and_pad_array_shared_kernelILj256ELj32EdEEviiiPKT1_PS1_S1_,comdat
.Lfunc_end138:
	.size	_ZN9rocsparseL42gtsv_transpose_and_pad_array_shared_kernelILj256ELj32EdEEviiiPKT1_PS1_S1_, .Lfunc_end138-_ZN9rocsparseL42gtsv_transpose_and_pad_array_shared_kernelILj256ELj32EdEEviiiPKT1_PS1_S1_
                                        ; -- End function
	.set _ZN9rocsparseL42gtsv_transpose_and_pad_array_shared_kernelILj256ELj32EdEEviiiPKT1_PS1_S1_.num_vgpr, 5
	.set _ZN9rocsparseL42gtsv_transpose_and_pad_array_shared_kernelILj256ELj32EdEEviiiPKT1_PS1_S1_.num_agpr, 0
	.set _ZN9rocsparseL42gtsv_transpose_and_pad_array_shared_kernelILj256ELj32EdEEviiiPKT1_PS1_S1_.numbered_sgpr, 12
	.set _ZN9rocsparseL42gtsv_transpose_and_pad_array_shared_kernelILj256ELj32EdEEviiiPKT1_PS1_S1_.num_named_barrier, 0
	.set _ZN9rocsparseL42gtsv_transpose_and_pad_array_shared_kernelILj256ELj32EdEEviiiPKT1_PS1_S1_.private_seg_size, 0
	.set _ZN9rocsparseL42gtsv_transpose_and_pad_array_shared_kernelILj256ELj32EdEEviiiPKT1_PS1_S1_.uses_vcc, 1
	.set _ZN9rocsparseL42gtsv_transpose_and_pad_array_shared_kernelILj256ELj32EdEEviiiPKT1_PS1_S1_.uses_flat_scratch, 0
	.set _ZN9rocsparseL42gtsv_transpose_and_pad_array_shared_kernelILj256ELj32EdEEviiiPKT1_PS1_S1_.has_dyn_sized_stack, 0
	.set _ZN9rocsparseL42gtsv_transpose_and_pad_array_shared_kernelILj256ELj32EdEEviiiPKT1_PS1_S1_.has_recursion, 0
	.set _ZN9rocsparseL42gtsv_transpose_and_pad_array_shared_kernelILj256ELj32EdEEviiiPKT1_PS1_S1_.has_indirect_call, 0
	.section	.AMDGPU.csdata,"",@progbits
; Kernel info:
; codeLenInByte = 244
; TotalNumSgprs: 16
; NumVgprs: 5
; ScratchSize: 0
; MemoryBound: 0
; FloatMode: 240
; IeeeMode: 1
; LDSByteSize: 2048 bytes/workgroup (compile time only)
; SGPRBlocks: 1
; VGPRBlocks: 1
; NumSGPRsForWavesPerEU: 16
; NumVGPRsForWavesPerEU: 5
; Occupancy: 10
; WaveLimiterHint : 0
; COMPUTE_PGM_RSRC2:SCRATCH_EN: 0
; COMPUTE_PGM_RSRC2:USER_SGPR: 6
; COMPUTE_PGM_RSRC2:TRAP_HANDLER: 0
; COMPUTE_PGM_RSRC2:TGID_X_EN: 1
; COMPUTE_PGM_RSRC2:TGID_Y_EN: 1
; COMPUTE_PGM_RSRC2:TGID_Z_EN: 0
; COMPUTE_PGM_RSRC2:TIDIG_COMP_CNT: 0
	.section	.text._ZN9rocsparseL18gtsv_LBM_wv_kernelILj256ELj32EdEEviiiPKT1_S3_S3_PS1_S4_S4_Pi,"axG",@progbits,_ZN9rocsparseL18gtsv_LBM_wv_kernelILj256ELj32EdEEviiiPKT1_S3_S3_PS1_S4_S4_Pi,comdat
	.globl	_ZN9rocsparseL18gtsv_LBM_wv_kernelILj256ELj32EdEEviiiPKT1_S3_S3_PS1_S4_S4_Pi ; -- Begin function _ZN9rocsparseL18gtsv_LBM_wv_kernelILj256ELj32EdEEviiiPKT1_S3_S3_PS1_S4_S4_Pi
	.p2align	8
	.type	_ZN9rocsparseL18gtsv_LBM_wv_kernelILj256ELj32EdEEviiiPKT1_S3_S3_PS1_S4_S4_Pi,@function
_ZN9rocsparseL18gtsv_LBM_wv_kernelILj256ELj32EdEEviiiPKT1_S3_S3_PS1_S4_S4_Pi: ; @_ZN9rocsparseL18gtsv_LBM_wv_kernelILj256ELj32EdEEviiiPKT1_S3_S3_PS1_S4_S4_Pi
; %bb.0:
	s_load_dword s27, s[4:5], 0x0
	v_lshl_or_b32 v0, s6, 8, v0
	s_waitcnt lgkmcnt(0)
	s_lshr_b32 s26, s27, 5
	v_cmp_gt_i32_e32 vcc, s26, v0
	s_and_saveexec_b64 s[0:1], vcc
	s_cbranch_execz .LBB139_30
; %bb.1:
	s_load_dwordx2 s[16:17], s[4:5], 0x10
	s_load_dwordx8 s[8:15], s[4:5], 0x20
	v_ashrrev_i32_e32 v1, 31, v0
	v_lshlrev_b64 v[4:5], 3, v[0:1]
	s_mul_i32 s28, s26, 31
	s_waitcnt lgkmcnt(0)
	v_mov_b32_e32 v2, s17
	v_add_co_u32_e32 v1, vcc, s16, v4
	v_addc_co_u32_e32 v2, vcc, v2, v5, vcc
	global_load_dwordx2 v[6:7], v[1:2], off
	v_add_u32_e32 v2, s28, v0
	v_mov_b32_e32 v3, 0
	v_lshlrev_b64 v[8:9], 3, v[2:3]
	v_mov_b32_e32 v2, s9
	v_add_co_u32_e32 v1, vcc, s8, v8
	v_addc_co_u32_e32 v2, vcc, v2, v9, vcc
	global_load_dwordx2 v[10:11], v[1:2], off
	s_load_dwordx2 s[6:7], s[4:5], 0x40
	v_mov_b32_e32 v2, s11
	v_add_co_u32_e32 v1, vcc, s10, v4
	v_addc_co_u32_e32 v2, vcc, v2, v5, vcc
	s_cmp_lt_i32 s27, 1
	v_add_u32_e32 v39, s26, v0
	v_mov_b32_e32 v12, s13
	v_add_co_u32_e32 v8, vcc, s12, v8
	v_addc_co_u32_e32 v9, vcc, v12, v9, vcc
	s_waitcnt vmcnt(1)
	global_store_dwordx2 v[1:2], v[6:7], off
	s_waitcnt vmcnt(1)
	global_store_dwordx2 v[8:9], v[10:11], off
	s_cbranch_scc1 .LBB139_23
; %bb.2:
	s_load_dwordx2 s[18:19], s[4:5], 0x18
	s_mov_b32 s22, 0x372fe950
	s_mul_i32 s29, s26, 30
	s_lshl_b32 s30, s26, 1
	v_add_u32_e32 v40, s26, v39
	s_waitcnt lgkmcnt(0)
	v_mov_b32_e32 v6, s19
	v_add_co_u32_e32 v3, vcc, s18, v4
	v_addc_co_u32_e32 v4, vcc, v6, v5, vcc
	global_load_dwordx2 v[5:6], v[3:4], off
	v_mov_b32_e32 v3, 0
	s_mov_b64 s[20:21], 0
	s_mov_b32 s23, 0x3fe3c6ef
	v_mov_b32_e32 v41, 2
	v_mov_b32_e32 v42, 1
	;; [unrolled: 1-line block ×3, first 2 shown]
	s_branch .LBB139_5
.LBB139_3:                              ;   in Loop: Header=BB139_5 Depth=1
	s_or_b64 exec, exec, s[4:5]
	v_fma_f64 v[5:6], -v[4:5], v[21:22], v[9:10]
	v_mov_b32_e32 v4, s26
.LBB139_4:                              ;   in Loop: Header=BB139_5 Depth=1
	s_or_b64 exec, exec, s[2:3]
	v_add_u32_e32 v3, v4, v3
	v_cmp_le_i32_e32 vcc, s27, v3
	s_or_b64 s[20:21], vcc, s[20:21]
	s_andn2_b64 exec, exec, s[20:21]
	s_cbranch_execz .LBB139_22
.LBB139_5:                              ; =>This Inner Loop Header: Depth=1
	v_add_u32_e32 v13, v3, v0
	v_ashrrev_i32_e32 v14, 31, v13
	v_lshlrev_b64 v[11:12], 3, v[13:14]
	v_mov_b32_e32 v9, 0
	v_add_co_u32_e32 v7, vcc, s8, v11
	v_addc_co_u32_e32 v8, vcc, v43, v12, vcc
	global_load_dwordx2 v[15:16], v[7:8], off
	v_mov_b32_e32 v7, 0
	v_mov_b32_e32 v10, 0
	;; [unrolled: 1-line block ×3, first 2 shown]
	v_cmp_gt_u32_e64 s[0:1], s28, v3
	s_and_saveexec_b64 s[2:3], s[0:1]
	s_cbranch_execz .LBB139_7
; %bb.6:                                ;   in Loop: Header=BB139_5 Depth=1
	v_add_u32_e32 v7, v39, v3
	v_ashrrev_i32_e32 v8, 31, v7
	v_lshlrev_b64 v[7:8], 3, v[7:8]
	v_mov_b32_e32 v4, s17
	v_add_co_u32_e32 v7, vcc, s16, v7
	v_addc_co_u32_e32 v8, vcc, v4, v8, vcc
	global_load_dwordx2 v[7:8], v[7:8], off
.LBB139_7:                              ;   in Loop: Header=BB139_5 Depth=1
	s_or_b64 exec, exec, s[2:3]
	s_and_saveexec_b64 s[2:3], s[0:1]
	s_cbranch_execz .LBB139_9
; %bb.8:                                ;   in Loop: Header=BB139_5 Depth=1
	v_add_u32_e32 v9, v39, v3
	v_ashrrev_i32_e32 v10, 31, v9
	v_lshlrev_b64 v[9:10], 3, v[9:10]
	v_mov_b32_e32 v4, s19
	v_add_co_u32_e32 v9, vcc, s18, v9
	v_addc_co_u32_e32 v10, vcc, v4, v10, vcc
	global_load_dwordx2 v[9:10], v[9:10], off
.LBB139_9:                              ;   in Loop: Header=BB139_5 Depth=1
	s_or_b64 exec, exec, s[2:3]
	v_mov_b32_e32 v19, 0
	v_mov_b32_e32 v17, 0
	;; [unrolled: 1-line block ×4, first 2 shown]
	s_and_saveexec_b64 s[2:3], s[0:1]
	s_cbranch_execz .LBB139_11
; %bb.10:                               ;   in Loop: Header=BB139_5 Depth=1
	v_add_u32_e32 v17, v39, v3
	v_ashrrev_i32_e32 v18, 31, v17
	v_lshlrev_b64 v[17:18], 3, v[17:18]
	v_mov_b32_e32 v4, s9
	v_add_co_u32_e32 v17, vcc, s8, v17
	v_addc_co_u32_e32 v18, vcc, v4, v18, vcc
	global_load_dwordx2 v[17:18], v[17:18], off
.LBB139_11:                             ;   in Loop: Header=BB139_5 Depth=1
	s_or_b64 exec, exec, s[2:3]
	v_cmp_gt_u32_e64 s[2:3], s29, v3
	s_and_saveexec_b64 s[4:5], s[2:3]
	s_cbranch_execz .LBB139_13
; %bb.12:                               ;   in Loop: Header=BB139_5 Depth=1
	v_add_u32_e32 v19, v40, v3
	v_ashrrev_i32_e32 v20, 31, v19
	v_lshlrev_b64 v[19:20], 3, v[19:20]
	v_mov_b32_e32 v4, s17
	v_add_co_u32_e32 v19, vcc, s16, v19
	v_addc_co_u32_e32 v20, vcc, v4, v20, vcc
	global_load_dwordx2 v[19:20], v[19:20], off
.LBB139_13:                             ;   in Loop: Header=BB139_5 Depth=1
	s_or_b64 exec, exec, s[4:5]
	s_waitcnt vmcnt(0)
	v_cmp_gt_f64_e32 vcc, 0, v[7:8]
	v_xor_b32_e32 v4, 0x80000000, v8
	v_mov_b32_e32 v21, v7
	v_mov_b32_e32 v23, v19
	;; [unrolled: 1-line block ×3, first 2 shown]
	v_cmp_gt_f64_e64 s[4:5], 0, v[17:18]
	v_cndmask_b32_e32 v22, v8, v4, vcc
	v_cmp_gt_f64_e32 vcc, 0, v[19:20]
	v_xor_b32_e32 v4, 0x80000000, v20
	v_cndmask_b32_e32 v24, v20, v4, vcc
	v_cmp_lt_f64_e32 vcc, v[21:22], v[23:24]
	v_xor_b32_e32 v4, 0x80000000, v10
	v_mov_b32_e32 v23, v9
	v_cndmask_b32_e32 v22, v22, v24, vcc
	v_cndmask_b32_e32 v21, v7, v19, vcc
	v_cmp_gt_f64_e32 vcc, 0, v[9:10]
	v_cndmask_b32_e32 v24, v10, v4, vcc
	v_cmp_lt_f64_e32 vcc, v[23:24], v[21:22]
	v_xor_b32_e32 v4, 0x80000000, v16
	v_cndmask_b32_e32 v24, v24, v22, vcc
	v_cndmask_b32_e32 v23, v9, v21, vcc
	v_cmp_gt_f64_e32 vcc, 0, v[15:16]
	v_mul_f64 v[21:22], v[15:16], v[7:8]
	v_cndmask_b32_e32 v26, v16, v4, vcc
	v_cmp_lt_f64_e32 vcc, v[25:26], v[23:24]
	v_xor_b32_e32 v4, 0x80000000, v18
	v_cndmask_b32_e64 v25, v18, v4, s[4:5]
	v_cmp_gt_f64_e64 s[4:5], 0, v[5:6]
	v_xor_b32_e32 v4, 0x80000000, v6
	v_cndmask_b32_e32 v27, v26, v24, vcc
	v_cndmask_b32_e32 v26, v15, v23, vcc
	v_mov_b32_e32 v24, v17
	v_cmp_lt_f64_e32 vcc, v[24:25], v[26:27]
	v_mov_b32_e32 v23, v5
	v_cndmask_b32_e64 v24, v6, v4, s[4:5]
	v_xor_b32_e32 v4, 0x80000000, v22
	v_cmp_ne_u32_e64 s[4:5], s28, v3
	v_cndmask_b32_e32 v27, v25, v27, vcc
	v_cndmask_b32_e32 v26, v17, v26, vcc
	v_cmp_gt_f64_e32 vcc, 0, v[21:22]
	v_mul_f64 v[23:24], v[23:24], v[26:27]
	v_mov_b32_e32 v25, v21
	v_cndmask_b32_e32 v26, v22, v4, vcc
	v_mul_f64 v[25:26], v[25:26], s[22:23]
	v_cmp_nge_f64_e32 vcc, v[23:24], v[25:26]
	s_and_b64 s[4:5], s[4:5], vcc
	s_and_saveexec_b64 s[24:25], s[4:5]
	s_xor_b64 s[4:5], exec, s[24:25]
	s_cbranch_execz .LBB139_19
; %bb.14:                               ;   in Loop: Header=BB139_5 Depth=1
	v_fma_f64 v[27:28], v[5:6], v[9:10], -v[21:22]
	v_add_u32_e32 v21, v39, v3
	v_ashrrev_i32_e32 v22, 31, v21
	v_lshlrev_b64 v[29:30], 3, v[21:22]
	v_mov_b32_e32 v23, s11
	v_add_co_u32_e32 v31, vcc, s10, v29
	v_addc_co_u32_e32 v32, vcc, v23, v30, vcc
	v_div_scale_f64 v[44:45], s[24:25], v[27:28], v[27:28], 1.0
	v_mov_b32_e32 v24, s13
	v_add_co_u32_e32 v33, vcc, s12, v29
	v_addc_co_u32_e32 v34, vcc, v24, v30, vcc
	global_load_dwordx2 v[23:24], v[31:32], off
	global_load_dwordx2 v[35:36], v[33:34], off
	v_ashrrev_i32_e32 v4, 31, v3
	v_lshlrev_b64 v[25:26], 3, v[3:4]
	v_mov_b32_e32 v37, s13
	v_add_co_u32_e32 v48, vcc, v1, v25
	v_addc_co_u32_e32 v49, vcc, v2, v26, vcc
	v_add_co_u32_e32 v50, vcc, s12, v11
	v_rcp_f64_e32 v[46:47], v[44:45]
	global_load_dwordx2 v[25:26], v[48:49], off
	v_addc_co_u32_e32 v51, vcc, v37, v12, vcc
	global_load_dwordx2 v[37:38], v[50:51], off
	v_mov_b32_e32 v4, s15
	v_lshlrev_b64 v[13:14], 2, v[13:14]
	v_fma_f64 v[52:53], -v[44:45], v[46:47], 1.0
	v_fma_f64 v[46:47], v[46:47], v[52:53], v[46:47]
	v_div_scale_f64 v[52:53], vcc, 1.0, v[27:28], 1.0
	v_fma_f64 v[54:55], -v[44:45], v[46:47], 1.0
	v_fma_f64 v[46:47], v[46:47], v[54:55], v[46:47]
	v_mul_f64 v[54:55], v[52:53], v[46:47]
	v_fma_f64 v[44:45], -v[44:45], v[54:55], v[52:53]
	v_div_fmas_f64 v[44:45], v[44:45], v[46:47], v[54:55]
	v_add_co_u32_e32 v11, vcc, s14, v11
	v_addc_co_u32_e32 v12, vcc, v4, v12, vcc
	s_waitcnt vmcnt(3)
	v_mul_f64 v[46:47], v[15:16], v[23:24]
	s_waitcnt vmcnt(2)
	v_mul_f64 v[52:53], v[15:16], v[35:36]
	v_mul_f64 v[15:16], v[17:18], -v[15:16]
	v_add_co_u32_e32 v13, vcc, s6, v13
	v_div_fixup_f64 v[27:28], v[44:45], v[27:28], 1.0
	s_waitcnt vmcnt(1)
	v_fma_f64 v[46:47], v[9:10], v[25:26], -v[46:47]
	s_waitcnt vmcnt(0)
	v_fma_f64 v[9:10], v[9:10], v[37:38], -v[52:53]
	v_mov_b32_e32 v52, s7
	v_addc_co_u32_e32 v14, vcc, v52, v14, vcc
	v_mul_f64 v[15:16], v[27:28], v[15:16]
	v_mul_f64 v[44:45], v[27:28], v[46:47]
	;; [unrolled: 1-line block ×3, first 2 shown]
	global_store_dwordx2 v[48:49], v[44:45], off
	global_store_dwordx2 v[50:51], v[9:10], off
	;; [unrolled: 1-line block ×3, first 2 shown]
	global_store_dword v[13:14], v41, off
	s_and_saveexec_b64 s[24:25], s[0:1]
	s_cbranch_execz .LBB139_16
; %bb.15:                               ;   in Loop: Header=BB139_5 Depth=1
	v_mul_f64 v[9:10], v[7:8], v[25:26]
	v_mul_f64 v[11:12], v[7:8], v[37:38]
	;; [unrolled: 1-line block ×3, first 2 shown]
	v_mov_b32_e32 v4, s15
	v_lshlrev_b64 v[15:16], 2, v[21:22]
	v_add_co_u32_e32 v21, vcc, s14, v29
	v_addc_co_u32_e32 v22, vcc, v4, v30, vcc
	v_fma_f64 v[9:10], v[5:6], v[23:24], -v[9:10]
	v_fma_f64 v[11:12], v[5:6], v[35:36], -v[11:12]
	v_mul_f64 v[13:14], v[27:28], v[13:14]
	v_mov_b32_e32 v35, s7
	v_add_co_u32_e32 v15, vcc, s6, v15
	v_addc_co_u32_e32 v16, vcc, v35, v16, vcc
	v_mul_f64 v[9:10], v[27:28], v[9:10]
	v_mul_f64 v[11:12], v[27:28], v[11:12]
	global_store_dwordx2 v[21:22], v[13:14], off
	global_store_dwordx2 v[31:32], v[9:10], off
	global_store_dwordx2 v[33:34], v[11:12], off
	global_store_dword v[15:16], v41, off
.LBB139_16:                             ;   in Loop: Header=BB139_5 Depth=1
	s_or_b64 exec, exec, s[24:25]
	v_mov_b32_e32 v9, 0
	v_mov_b32_e32 v10, 0
	s_and_saveexec_b64 s[24:25], s[2:3]
	s_cbranch_execz .LBB139_18
; %bb.17:                               ;   in Loop: Header=BB139_5 Depth=1
	v_add_u32_e32 v9, v40, v3
	v_ashrrev_i32_e32 v10, 31, v9
	v_lshlrev_b64 v[9:10], 3, v[9:10]
	v_mov_b32_e32 v4, s11
	v_add_co_u32_e32 v11, vcc, s10, v9
	v_addc_co_u32_e32 v12, vcc, v4, v10, vcc
	v_mov_b32_e32 v4, s19
	v_add_co_u32_e32 v9, vcc, s18, v9
	v_addc_co_u32_e32 v10, vcc, v4, v10, vcc
	global_load_dwordx2 v[13:14], v[11:12], off
	v_mul_f64 v[4:5], v[5:6], v[19:20]
	global_load_dwordx2 v[9:10], v[9:10], off
	v_mul_f64 v[6:7], v[19:20], v[7:8]
	v_mul_f64 v[15:16], v[27:28], v[4:5]
	;; [unrolled: 1-line block ×5, first 2 shown]
	v_fma_f64 v[6:7], v[6:7], v[25:26], -v[15:16]
	s_waitcnt vmcnt(1)
	v_add_f64 v[6:7], v[6:7], v[13:14]
	s_waitcnt vmcnt(0)
	v_fma_f64 v[9:10], -v[27:28], v[4:5], v[9:10]
	global_store_dwordx2 v[11:12], v[6:7], off
.LBB139_18:                             ;   in Loop: Header=BB139_5 Depth=1
	s_or_b64 exec, exec, s[24:25]
	v_mov_b32_e32 v5, v9
	v_mov_b32_e32 v6, v10
                                        ; implicit-def: $vgpr21_vgpr22
                                        ; implicit-def: $vgpr9_vgpr10
                                        ; implicit-def: $vgpr15_vgpr16
                                        ; implicit-def: $vgpr11_vgpr12
                                        ; implicit-def: $vgpr13_vgpr14
                                        ; implicit-def: $vgpr7_vgpr8
.LBB139_19:                             ;   in Loop: Header=BB139_5 Depth=1
	s_or_saveexec_b64 s[2:3], s[4:5]
	v_mov_b32_e32 v4, s30
	s_xor_b64 exec, exec, s[2:3]
	s_cbranch_execz .LBB139_4
; %bb.20:                               ;   in Loop: Header=BB139_5 Depth=1
	v_div_scale_f64 v[19:20], s[4:5], v[5:6], v[5:6], 1.0
	v_ashrrev_i32_e32 v4, 31, v3
	v_mov_b32_e32 v26, s13
	v_lshlrev_b64 v[17:18], 3, v[3:4]
	v_add_co_u32_e32 v25, vcc, s12, v11
	v_addc_co_u32_e32 v26, vcc, v26, v12, vcc
	v_add_co_u32_e32 v27, vcc, v1, v17
	v_addc_co_u32_e32 v28, vcc, v2, v18, vcc
	global_load_dwordx2 v[17:18], v[27:28], off
	global_load_dwordx2 v[29:30], v[25:26], off
	v_lshlrev_b64 v[13:14], 2, v[13:14]
	v_rcp_f64_e32 v[23:24], v[19:20]
	v_fma_f64 v[31:32], -v[19:20], v[23:24], 1.0
	v_fma_f64 v[23:24], v[23:24], v[31:32], v[23:24]
	v_div_scale_f64 v[31:32], vcc, 1.0, v[5:6], 1.0
	v_fma_f64 v[33:34], -v[19:20], v[23:24], 1.0
	v_fma_f64 v[23:24], v[23:24], v[33:34], v[23:24]
	v_mul_f64 v[33:34], v[31:32], v[23:24]
	v_fma_f64 v[19:20], -v[19:20], v[33:34], v[31:32]
	v_mov_b32_e32 v31, s7
	v_div_fmas_f64 v[19:20], v[19:20], v[23:24], v[33:34]
	v_add_co_u32_e32 v11, vcc, s14, v11
	v_div_fixup_f64 v[4:5], v[19:20], v[5:6], 1.0
	v_mov_b32_e32 v6, s15
	v_addc_co_u32_e32 v12, vcc, v6, v12, vcc
	v_add_co_u32_e32 v13, vcc, s6, v13
	v_addc_co_u32_e32 v14, vcc, v31, v14, vcc
	s_waitcnt vmcnt(1)
	v_mul_f64 v[19:20], v[4:5], v[17:18]
	s_waitcnt vmcnt(0)
	v_mul_f64 v[23:24], v[4:5], v[29:30]
	v_mul_f64 v[15:16], v[4:5], v[15:16]
	global_store_dwordx2 v[27:28], v[19:20], off
	global_store_dwordx2 v[25:26], v[23:24], off
	;; [unrolled: 1-line block ×3, first 2 shown]
	global_store_dword v[13:14], v42, off
	s_and_saveexec_b64 s[4:5], s[0:1]
	s_cbranch_execz .LBB139_3
; %bb.21:                               ;   in Loop: Header=BB139_5 Depth=1
	v_add_u32_e32 v11, v39, v3
	v_ashrrev_i32_e32 v12, 31, v11
	v_lshlrev_b64 v[11:12], 3, v[11:12]
	v_mov_b32_e32 v6, s11
	v_add_co_u32_e32 v11, vcc, s10, v11
	v_addc_co_u32_e32 v12, vcc, v6, v12, vcc
	global_load_dwordx2 v[13:14], v[11:12], off
	v_mul_f64 v[6:7], v[7:8], v[4:5]
	s_waitcnt vmcnt(0)
	v_fma_f64 v[6:7], -v[6:7], v[17:18], v[13:14]
	global_store_dwordx2 v[11:12], v[6:7], off
	s_branch .LBB139_3
.LBB139_22:
	s_or_b64 exec, exec, s[20:21]
.LBB139_23:
	v_subrev_u32_e32 v5, s26, v3
	v_add_u32_e32 v3, v5, v0
	v_ashrrev_i32_e32 v4, 31, v3
	v_lshlrev_b64 v[3:4], 2, v[3:4]
	s_waitcnt lgkmcnt(0)
	v_mov_b32_e32 v6, s7
	v_add_co_u32_e32 v3, vcc, s6, v3
	v_addc_co_u32_e32 v4, vcc, v6, v4, vcc
	s_waitcnt vmcnt(0)
	buffer_wbinvl1_vol
	global_load_dword v3, v[3:4], off
	s_waitcnt vmcnt(0)
	v_mul_lo_u32 v3, v3, s26
	v_sub_u32_e32 v3, v5, v3
	v_cmp_lt_i32_e32 vcc, -1, v3
	s_and_b64 exec, exec, vcc
	s_cbranch_execz .LBB139_30
; %bb.24:
	v_subrev_u32_e32 v9, s26, v0
	s_lshl_b32 s4, s26, 1
	s_mov_b64 s[0:1], 0
	v_mov_b32_e32 v10, s7
	v_mov_b32_e32 v11, s15
	s_branch .LBB139_26
.LBB139_25:                             ;   in Loop: Header=BB139_26 Depth=1
	s_or_b64 exec, exec, s[2:3]
	v_sub_u32_e32 v3, v3, v4
	v_cmp_gt_i32_e32 vcc, 0, v3
	s_or_b64 s[0:1], vcc, s[0:1]
	s_andn2_b64 exec, exec, s[0:1]
	s_cbranch_execz .LBB139_30
.LBB139_26:                             ; =>This Inner Loop Header: Depth=1
	v_add_u32_e32 v4, v3, v0
	s_waitcnt vmcnt(0)
	v_ashrrev_i32_e32 v5, 31, v4
	v_lshlrev_b64 v[6:7], 2, v[4:5]
	v_add_co_u32_e32 v6, vcc, s6, v6
	v_addc_co_u32_e32 v7, vcc, v10, v7, vcc
	global_load_dword v12, v[6:7], off
	v_lshlrev_b64 v[7:8], 3, v[4:5]
	v_add_co_u32_e32 v4, vcc, s14, v7
	v_addc_co_u32_e32 v5, vcc, v11, v8, vcc
	global_load_dwordx2 v[5:6], v[4:5], off
	s_waitcnt vmcnt(1)
	v_cmp_ne_u32_e32 vcc, 1, v12
	s_and_saveexec_b64 s[2:3], vcc
	s_xor_b64 s[2:3], exec, s[2:3]
	s_cbranch_execz .LBB139_28
; %bb.27:                               ;   in Loop: Header=BB139_26 Depth=1
	v_add_u32_e32 v12, v39, v3
	v_ashrrev_i32_e32 v13, 31, v12
	v_lshlrev_b64 v[12:13], 3, v[12:13]
	v_mov_b32_e32 v4, s11
	v_add_co_u32_e32 v14, vcc, s10, v12
	v_addc_co_u32_e32 v15, vcc, v4, v13, vcc
	v_ashrrev_i32_e32 v4, 31, v3
	v_lshlrev_b64 v[16:17], 3, v[3:4]
	v_mov_b32_e32 v4, s13
	v_add_co_u32_e32 v16, vcc, v1, v16
	v_addc_co_u32_e32 v17, vcc, v2, v17, vcc
	v_add_co_u32_e32 v12, vcc, s12, v12
	v_addc_co_u32_e32 v13, vcc, v4, v13, vcc
	global_load_dwordx2 v[18:19], v[14:15], off
	global_load_dwordx2 v[20:21], v[16:17], off
	v_add_co_u32_e32 v7, vcc, s12, v7
	v_addc_co_u32_e32 v8, vcc, v4, v8, vcc
	global_load_dwordx2 v[22:23], v[12:13], off
	global_load_dwordx2 v[24:25], v[7:8], off
	v_add_u32_e32 v26, v9, v3
	v_ashrrev_i32_e32 v27, 31, v26
	v_lshlrev_b64 v[26:27], 3, v[26:27]
	v_mov_b32_e32 v4, s15
	v_add_co_u32_e32 v28, vcc, s14, v26
	v_addc_co_u32_e32 v29, vcc, v4, v27, vcc
	v_mov_b32_e32 v30, s11
	v_mov_b32_e32 v31, s13
	s_waitcnt vmcnt(2)
	v_fma_f64 v[18:19], -v[5:6], v[18:19], v[20:21]
	v_add_co_u32_e32 v20, vcc, s10, v26
	v_addc_co_u32_e32 v21, vcc, v30, v27, vcc
	s_waitcnt vmcnt(0)
	v_fma_f64 v[4:5], -v[5:6], v[22:23], v[24:25]
	v_add_co_u32_e32 v22, vcc, s12, v26
	global_load_dwordx2 v[24:25], v[28:29], off
	s_nop 0
	global_store_dwordx2 v[16:17], v[18:19], off
	global_store_dwordx2 v[7:8], v[4:5], off
	v_addc_co_u32_e32 v23, vcc, v31, v27, vcc
	global_load_dwordx2 v[4:5], v[14:15], off
	global_load_dwordx2 v[6:7], v[20:21], off
	;; [unrolled: 1-line block ×4, first 2 shown]
	s_waitcnt vmcnt(2)
	v_fma_f64 v[4:5], -v[24:25], v[4:5], v[6:7]
	s_waitcnt vmcnt(0)
	v_fma_f64 v[6:7], -v[24:25], v[16:17], v[18:19]
	global_store_dwordx2 v[20:21], v[4:5], off
	global_store_dwordx2 v[22:23], v[6:7], off
                                        ; implicit-def: $vgpr5_vgpr6
                                        ; implicit-def: $vgpr7_vgpr8
.LBB139_28:                             ;   in Loop: Header=BB139_26 Depth=1
	s_or_saveexec_b64 s[2:3], s[2:3]
	v_mov_b32_e32 v4, s4
	s_xor_b64 exec, exec, s[2:3]
	s_cbranch_execz .LBB139_25
; %bb.29:                               ;   in Loop: Header=BB139_26 Depth=1
	v_add_u32_e32 v12, v39, v3
	v_ashrrev_i32_e32 v13, 31, v12
	v_lshlrev_b64 v[12:13], 3, v[12:13]
	v_mov_b32_e32 v4, s11
	v_add_co_u32_e32 v14, vcc, s10, v12
	v_addc_co_u32_e32 v15, vcc, v4, v13, vcc
	v_ashrrev_i32_e32 v4, 31, v3
	v_lshlrev_b64 v[16:17], 3, v[3:4]
	v_mov_b32_e32 v4, s13
	v_add_co_u32_e32 v16, vcc, v1, v16
	v_addc_co_u32_e32 v17, vcc, v2, v17, vcc
	v_add_co_u32_e32 v12, vcc, s12, v12
	v_addc_co_u32_e32 v13, vcc, v4, v13, vcc
	global_load_dwordx2 v[18:19], v[14:15], off
	global_load_dwordx2 v[20:21], v[16:17], off
	v_add_co_u32_e32 v7, vcc, s12, v7
	v_addc_co_u32_e32 v8, vcc, v4, v8, vcc
	global_load_dwordx2 v[14:15], v[12:13], off
	global_load_dwordx2 v[22:23], v[7:8], off
	s_waitcnt vmcnt(2)
	v_fma_f64 v[12:13], -v[5:6], v[18:19], v[20:21]
	s_waitcnt vmcnt(0)
	v_fma_f64 v[4:5], -v[5:6], v[14:15], v[22:23]
	global_store_dwordx2 v[16:17], v[12:13], off
	global_store_dwordx2 v[7:8], v[4:5], off
	v_mov_b32_e32 v4, s26
	s_branch .LBB139_25
.LBB139_30:
	s_endpgm
	.section	.rodata,"a",@progbits
	.p2align	6, 0x0
	.amdhsa_kernel _ZN9rocsparseL18gtsv_LBM_wv_kernelILj256ELj32EdEEviiiPKT1_S3_S3_PS1_S4_S4_Pi
		.amdhsa_group_segment_fixed_size 0
		.amdhsa_private_segment_fixed_size 0
		.amdhsa_kernarg_size 72
		.amdhsa_user_sgpr_count 6
		.amdhsa_user_sgpr_private_segment_buffer 1
		.amdhsa_user_sgpr_dispatch_ptr 0
		.amdhsa_user_sgpr_queue_ptr 0
		.amdhsa_user_sgpr_kernarg_segment_ptr 1
		.amdhsa_user_sgpr_dispatch_id 0
		.amdhsa_user_sgpr_flat_scratch_init 0
		.amdhsa_user_sgpr_private_segment_size 0
		.amdhsa_uses_dynamic_stack 0
		.amdhsa_system_sgpr_private_segment_wavefront_offset 0
		.amdhsa_system_sgpr_workgroup_id_x 1
		.amdhsa_system_sgpr_workgroup_id_y 0
		.amdhsa_system_sgpr_workgroup_id_z 0
		.amdhsa_system_sgpr_workgroup_info 0
		.amdhsa_system_vgpr_workitem_id 0
		.amdhsa_next_free_vgpr 56
		.amdhsa_next_free_sgpr 31
		.amdhsa_reserve_vcc 1
		.amdhsa_reserve_flat_scratch 0
		.amdhsa_float_round_mode_32 0
		.amdhsa_float_round_mode_16_64 0
		.amdhsa_float_denorm_mode_32 3
		.amdhsa_float_denorm_mode_16_64 3
		.amdhsa_dx10_clamp 1
		.amdhsa_ieee_mode 1
		.amdhsa_fp16_overflow 0
		.amdhsa_exception_fp_ieee_invalid_op 0
		.amdhsa_exception_fp_denorm_src 0
		.amdhsa_exception_fp_ieee_div_zero 0
		.amdhsa_exception_fp_ieee_overflow 0
		.amdhsa_exception_fp_ieee_underflow 0
		.amdhsa_exception_fp_ieee_inexact 0
		.amdhsa_exception_int_div_zero 0
	.end_amdhsa_kernel
	.section	.text._ZN9rocsparseL18gtsv_LBM_wv_kernelILj256ELj32EdEEviiiPKT1_S3_S3_PS1_S4_S4_Pi,"axG",@progbits,_ZN9rocsparseL18gtsv_LBM_wv_kernelILj256ELj32EdEEviiiPKT1_S3_S3_PS1_S4_S4_Pi,comdat
.Lfunc_end139:
	.size	_ZN9rocsparseL18gtsv_LBM_wv_kernelILj256ELj32EdEEviiiPKT1_S3_S3_PS1_S4_S4_Pi, .Lfunc_end139-_ZN9rocsparseL18gtsv_LBM_wv_kernelILj256ELj32EdEEviiiPKT1_S3_S3_PS1_S4_S4_Pi
                                        ; -- End function
	.set _ZN9rocsparseL18gtsv_LBM_wv_kernelILj256ELj32EdEEviiiPKT1_S3_S3_PS1_S4_S4_Pi.num_vgpr, 56
	.set _ZN9rocsparseL18gtsv_LBM_wv_kernelILj256ELj32EdEEviiiPKT1_S3_S3_PS1_S4_S4_Pi.num_agpr, 0
	.set _ZN9rocsparseL18gtsv_LBM_wv_kernelILj256ELj32EdEEviiiPKT1_S3_S3_PS1_S4_S4_Pi.numbered_sgpr, 31
	.set _ZN9rocsparseL18gtsv_LBM_wv_kernelILj256ELj32EdEEviiiPKT1_S3_S3_PS1_S4_S4_Pi.num_named_barrier, 0
	.set _ZN9rocsparseL18gtsv_LBM_wv_kernelILj256ELj32EdEEviiiPKT1_S3_S3_PS1_S4_S4_Pi.private_seg_size, 0
	.set _ZN9rocsparseL18gtsv_LBM_wv_kernelILj256ELj32EdEEviiiPKT1_S3_S3_PS1_S4_S4_Pi.uses_vcc, 1
	.set _ZN9rocsparseL18gtsv_LBM_wv_kernelILj256ELj32EdEEviiiPKT1_S3_S3_PS1_S4_S4_Pi.uses_flat_scratch, 0
	.set _ZN9rocsparseL18gtsv_LBM_wv_kernelILj256ELj32EdEEviiiPKT1_S3_S3_PS1_S4_S4_Pi.has_dyn_sized_stack, 0
	.set _ZN9rocsparseL18gtsv_LBM_wv_kernelILj256ELj32EdEEviiiPKT1_S3_S3_PS1_S4_S4_Pi.has_recursion, 0
	.set _ZN9rocsparseL18gtsv_LBM_wv_kernelILj256ELj32EdEEviiiPKT1_S3_S3_PS1_S4_S4_Pi.has_indirect_call, 0
	.section	.AMDGPU.csdata,"",@progbits
; Kernel info:
; codeLenInByte = 2484
; TotalNumSgprs: 35
; NumVgprs: 56
; ScratchSize: 0
; MemoryBound: 1
; FloatMode: 240
; IeeeMode: 1
; LDSByteSize: 0 bytes/workgroup (compile time only)
; SGPRBlocks: 4
; VGPRBlocks: 13
; NumSGPRsForWavesPerEU: 35
; NumVGPRsForWavesPerEU: 56
; Occupancy: 4
; WaveLimiterHint : 0
; COMPUTE_PGM_RSRC2:SCRATCH_EN: 0
; COMPUTE_PGM_RSRC2:USER_SGPR: 6
; COMPUTE_PGM_RSRC2:TRAP_HANDLER: 0
; COMPUTE_PGM_RSRC2:TGID_X_EN: 1
; COMPUTE_PGM_RSRC2:TGID_Y_EN: 0
; COMPUTE_PGM_RSRC2:TGID_Z_EN: 0
; COMPUTE_PGM_RSRC2:TIDIG_COMP_CNT: 0
	.section	.text._ZN9rocsparseL19gtsv_LBM_rhs_kernelILj256ELj32ELj8EdEEviiiPKT2_S3_S3_PS1_S3_PKi,"axG",@progbits,_ZN9rocsparseL19gtsv_LBM_rhs_kernelILj256ELj32ELj8EdEEviiiPKT2_S3_S3_PS1_S3_PKi,comdat
	.globl	_ZN9rocsparseL19gtsv_LBM_rhs_kernelILj256ELj32ELj8EdEEviiiPKT2_S3_S3_PS1_S3_PKi ; -- Begin function _ZN9rocsparseL19gtsv_LBM_rhs_kernelILj256ELj32ELj8EdEEviiiPKT2_S3_S3_PS1_S3_PKi
	.p2align	8
	.type	_ZN9rocsparseL19gtsv_LBM_rhs_kernelILj256ELj32ELj8EdEEviiiPKT2_S3_S3_PS1_S3_PKi,@function
_ZN9rocsparseL19gtsv_LBM_rhs_kernelILj256ELj32ELj8EdEEviiiPKT2_S3_S3_PS1_S3_PKi: ; @_ZN9rocsparseL19gtsv_LBM_rhs_kernelILj256ELj32ELj8EdEEviiiPKT2_S3_S3_PS1_S3_PKi
; %bb.0:
	s_load_dword s23, s[4:5], 0x0
	v_lshl_or_b32 v0, s6, 8, v0
	s_waitcnt lgkmcnt(0)
	s_lshr_b32 s22, s23, 5
	v_cmp_gt_i32_e32 vcc, s22, v0
	s_and_saveexec_b64 s[0:1], vcc
	s_cbranch_execz .LBB140_29
; %bb.1:
	s_load_dwordx4 s[8:11], s[4:5], 0x28
	s_load_dwordx2 s[16:17], s[4:5], 0x38
	s_cmp_lt_i32 s23, 1
	v_add_u32_e32 v71, s22, v0
	s_mul_i32 s24, s7, s23
	s_cbranch_scc1 .LBB140_21
; %bb.2:
	s_load_dwordx4 s[12:15], s[4:5], 0x10
	s_load_dwordx2 s[6:7], s[4:5], 0x20
	v_ashrrev_i32_e32 v1, 31, v0
	v_lshlrev_b64 v[1:2], 3, v[0:1]
	s_lshl_b32 s28, s24, 3
	s_waitcnt lgkmcnt(0)
	v_mov_b32_e32 v3, s15
	v_add_co_u32_e32 v1, vcc, s14, v1
	v_addc_co_u32_e32 v2, vcc, v3, v2, vcc
	global_load_dwordx2 v[7:8], v[1:2], off
	s_add_i32 s29, s28, s23
	s_add_i32 s30, s29, s23
	;; [unrolled: 1-line block ×6, first 2 shown]
	s_mul_i32 s25, s22, 31
	s_mul_i32 s26, s22, 30
	s_lshl_b32 s27, s22, 1
	v_add_u32_e32 v72, s22, v71
	s_add_i32 s36, s35, s23
	v_mov_b32_e32 v2, 0
	s_mov_b64 s[18:19], 0
	v_mov_b32_e32 v74, s7
	v_mov_b32_e32 v73, 0
	s_branch .LBB140_5
.LBB140_3:                              ;   in Loop: Header=BB140_5 Depth=1
	s_or_b64 exec, exec, s[4:5]
	v_fma_f64 v[7:8], -v[7:8], v[47:48], v[5:6]
	v_mov_b32_e32 v1, s22
.LBB140_4:                              ;   in Loop: Header=BB140_5 Depth=1
	s_or_b64 exec, exec, s[2:3]
	v_add_u32_e32 v73, v1, v73
	v_cmp_le_i32_e32 vcc, s23, v73
	s_or_b64 s[18:19], vcc, s[18:19]
	s_andn2_b64 exec, exec, s[18:19]
	s_cbranch_execz .LBB140_20
.LBB140_5:                              ; =>This Inner Loop Header: Depth=1
	v_add_u32_e32 v29, v73, v0
	v_ashrrev_i32_e32 v30, 31, v29
	v_lshlrev_b64 v[3:4], 3, v[29:30]
	v_mov_b32_e32 v5, 0
	v_add_co_u32_e32 v3, vcc, s6, v3
	v_addc_co_u32_e32 v4, vcc, v74, v4, vcc
	global_load_dwordx2 v[13:14], v[3:4], off
	v_mov_b32_e32 v3, 0
	v_mov_b32_e32 v6, 0
	;; [unrolled: 1-line block ×3, first 2 shown]
	v_cmp_gt_u32_e64 s[0:1], s25, v73
	s_and_saveexec_b64 s[2:3], s[0:1]
	s_cbranch_execz .LBB140_7
; %bb.6:                                ;   in Loop: Header=BB140_5 Depth=1
	v_add_u32_e32 v3, v71, v73
	v_ashrrev_i32_e32 v4, 31, v3
	v_lshlrev_b64 v[3:4], 3, v[3:4]
	v_mov_b32_e32 v1, s13
	v_add_co_u32_e32 v3, vcc, s12, v3
	v_addc_co_u32_e32 v4, vcc, v1, v4, vcc
	global_load_dwordx2 v[3:4], v[3:4], off
.LBB140_7:                              ;   in Loop: Header=BB140_5 Depth=1
	s_or_b64 exec, exec, s[2:3]
	s_and_saveexec_b64 s[2:3], s[0:1]
	s_cbranch_execz .LBB140_9
; %bb.8:                                ;   in Loop: Header=BB140_5 Depth=1
	v_add_u32_e32 v5, v71, v73
	v_ashrrev_i32_e32 v6, 31, v5
	v_lshlrev_b64 v[5:6], 3, v[5:6]
	v_mov_b32_e32 v1, s15
	v_add_co_u32_e32 v5, vcc, s14, v5
	v_addc_co_u32_e32 v6, vcc, v1, v6, vcc
	global_load_dwordx2 v[5:6], v[5:6], off
.LBB140_9:                              ;   in Loop: Header=BB140_5 Depth=1
	s_or_b64 exec, exec, s[2:3]
	v_mov_b32_e32 v11, 0
	v_mov_b32_e32 v9, 0
	;; [unrolled: 1-line block ×4, first 2 shown]
	s_and_saveexec_b64 s[2:3], s[0:1]
	s_cbranch_execz .LBB140_11
; %bb.10:                               ;   in Loop: Header=BB140_5 Depth=1
	v_add_u32_e32 v9, v71, v73
	v_ashrrev_i32_e32 v10, 31, v9
	v_lshlrev_b64 v[9:10], 3, v[9:10]
	v_mov_b32_e32 v1, s7
	v_add_co_u32_e32 v9, vcc, s6, v9
	v_addc_co_u32_e32 v10, vcc, v1, v10, vcc
	global_load_dwordx2 v[9:10], v[9:10], off
.LBB140_11:                             ;   in Loop: Header=BB140_5 Depth=1
	s_or_b64 exec, exec, s[2:3]
	v_cmp_gt_u32_e64 s[2:3], s26, v73
	s_and_saveexec_b64 s[4:5], s[2:3]
	s_cbranch_execz .LBB140_13
; %bb.12:                               ;   in Loop: Header=BB140_5 Depth=1
	v_add_u32_e32 v11, v72, v73
	v_ashrrev_i32_e32 v12, 31, v11
	v_lshlrev_b64 v[11:12], 3, v[11:12]
	v_mov_b32_e32 v1, s13
	v_add_co_u32_e32 v11, vcc, s12, v11
	v_addc_co_u32_e32 v12, vcc, v1, v12, vcc
	global_load_dwordx2 v[11:12], v[11:12], off
.LBB140_13:                             ;   in Loop: Header=BB140_5 Depth=1
	s_or_b64 exec, exec, s[4:5]
	v_lshlrev_b64 v[15:16], 2, v[29:30]
	v_mov_b32_e32 v1, s17
	v_add_co_u32_e32 v15, vcc, s16, v15
	v_addc_co_u32_e32 v16, vcc, v1, v16, vcc
	v_add_u32_e32 v1, s28, v29
	global_load_dword v49, v[15:16], off
	v_lshlrev_b64 v[15:16], 3, v[1:2]
	v_add_u32_e32 v1, s29, v29
	s_waitcnt vmcnt(4)
	v_mov_b32_e32 v39, s9
	v_add_co_u32_e32 v15, vcc, s8, v15
	v_lshlrev_b64 v[17:18], 3, v[1:2]
	v_addc_co_u32_e32 v16, vcc, v39, v16, vcc
	v_add_u32_e32 v1, s30, v29
	v_add_co_u32_e32 v17, vcc, s8, v17
	v_lshlrev_b64 v[19:20], 3, v[1:2]
	v_addc_co_u32_e32 v18, vcc, v39, v18, vcc
	v_add_u32_e32 v1, s31, v29
	;; [unrolled: 4-line block ×6, first 2 shown]
	v_add_co_u32_e32 v27, vcc, s8, v27
	v_lshlrev_b64 v[29:30], 3, v[1:2]
	v_addc_co_u32_e32 v28, vcc, v39, v28, vcc
	v_add_co_u32_e32 v29, vcc, s8, v29
	global_load_dwordx2 v[31:32], v[15:16], off
	global_load_dwordx2 v[33:34], v[17:18], off
	global_load_dwordx2 v[35:36], v[19:20], off
	global_load_dwordx2 v[37:38], v[21:22], off
	v_addc_co_u32_e32 v30, vcc, v39, v30, vcc
	global_load_dwordx2 v[43:44], v[23:24], off
	global_load_dwordx2 v[39:40], v[25:26], off
	global_load_dwordx2 v[41:42], v[27:28], off
	global_load_dwordx2 v[45:46], v[29:30], off
	s_waitcnt vmcnt(9)
	v_mul_f64 v[47:48], v[13:14], v[3:4]
	v_cmp_ne_u32_e64 s[4:5], s25, v73
	s_waitcnt vmcnt(8)
	v_cmp_ne_u32_e32 vcc, 1, v49
	s_and_b64 s[4:5], s[4:5], vcc
	s_and_saveexec_b64 s[20:21], s[4:5]
	s_xor_b64 s[4:5], exec, s[20:21]
	s_cbranch_execz .LBB140_17
; %bb.14:                               ;   in Loop: Header=BB140_5 Depth=1
	v_fma_f64 v[47:48], v[7:8], v[5:6], -v[47:48]
	v_add_u32_e32 v59, v71, v73
	v_add_u32_e32 v1, s28, v59
	v_lshlrev_b64 v[51:52], 3, v[1:2]
	v_add_u32_e32 v1, s29, v59
	v_mov_b32_e32 v65, s9
	v_lshlrev_b64 v[53:54], 3, v[1:2]
	v_add_co_u32_e32 v75, vcc, s8, v51
	v_div_scale_f64 v[49:50], s[20:21], v[47:48], v[47:48], 1.0
	v_add_u32_e32 v1, s30, v59
	v_addc_co_u32_e32 v76, vcc, v65, v52, vcc
	v_lshlrev_b64 v[51:52], 3, v[1:2]
	v_add_co_u32_e32 v77, vcc, s8, v53
	v_add_u32_e32 v1, s31, v59
	v_addc_co_u32_e32 v78, vcc, v65, v54, vcc
	v_lshlrev_b64 v[53:54], 3, v[1:2]
	v_add_co_u32_e32 v79, vcc, s8, v51
	v_add_u32_e32 v1, s33, v59
	v_addc_co_u32_e32 v80, vcc, v65, v52, vcc
	v_rcp_f64_e32 v[55:56], v[49:50]
	v_lshlrev_b64 v[51:52], 3, v[1:2]
	v_add_co_u32_e32 v81, vcc, s8, v53
	v_add_u32_e32 v1, s34, v59
	v_addc_co_u32_e32 v82, vcc, v65, v54, vcc
	v_lshlrev_b64 v[57:58], 3, v[1:2]
	v_add_co_u32_e32 v83, vcc, s8, v51
	v_add_u32_e32 v1, s35, v59
	v_addc_co_u32_e32 v84, vcc, v65, v52, vcc
	v_lshlrev_b64 v[53:54], 3, v[1:2]
	v_add_co_u32_e32 v89, vcc, s8, v57
	v_add_u32_e32 v1, s36, v59
	global_load_dwordx2 v[61:62], v[75:76], off
	global_load_dwordx2 v[63:64], v[77:78], off
	;; [unrolled: 1-line block ×4, first 2 shown]
	v_addc_co_u32_e32 v90, vcc, v65, v58, vcc
	v_lshlrev_b64 v[51:52], 3, v[1:2]
	v_add_co_u32_e32 v91, vcc, s8, v53
	global_load_dwordx2 v[93:94], v[83:84], off
	v_addc_co_u32_e32 v92, vcc, v65, v54, vcc
	v_add_co_u32_e32 v95, vcc, s8, v51
	v_addc_co_u32_e32 v96, vcc, v65, v52, vcc
	global_load_dwordx2 v[97:98], v[89:90], off
	global_load_dwordx2 v[99:100], v[91:92], off
	global_load_dwordx2 v[101:102], v[95:96], off
	v_fma_f64 v[59:60], -v[49:50], v[55:56], 1.0
	v_div_scale_f64 v[53:54], vcc, 1.0, v[47:48], 1.0
	v_mov_b32_e32 v69, 0
	v_mov_b32_e32 v70, 0
	v_fma_f64 v[51:52], v[55:56], v[59:60], v[55:56]
	v_fma_f64 v[55:56], -v[49:50], v[51:52], 1.0
	v_fma_f64 v[51:52], v[51:52], v[55:56], v[51:52]
	v_mul_f64 v[55:56], v[53:54], v[51:52]
	v_fma_f64 v[49:50], -v[49:50], v[55:56], v[53:54]
	v_div_fmas_f64 v[49:50], v[49:50], v[51:52], v[55:56]
	v_div_fixup_f64 v[47:48], v[49:50], v[47:48], 1.0
	s_waitcnt vmcnt(7)
	v_mul_f64 v[67:68], v[47:48], v[61:62]
	s_waitcnt vmcnt(6)
	v_mul_f64 v[61:62], v[47:48], v[63:64]
	;; [unrolled: 2-line block ×5, first 2 shown]
	v_mul_f64 v[51:52], v[47:48], v[43:44]
	s_waitcnt vmcnt(2)
	v_mul_f64 v[43:44], v[47:48], v[97:98]
	v_mul_f64 v[57:58], v[47:48], v[35:36]
	s_waitcnt vmcnt(1)
	v_mul_f64 v[35:36], v[47:48], v[99:100]
	;; [unrolled: 3-line block ×3, first 2 shown]
	v_mul_f64 v[59:60], v[47:48], v[33:34]
	v_mul_f64 v[49:50], v[47:48], v[37:38]
	;; [unrolled: 1-line block ×21, first 2 shown]
	v_fma_f64 v[41:42], v[5:6], v[65:66], -v[41:42]
	v_fma_f64 v[45:46], v[5:6], v[59:60], -v[45:46]
	v_fma_f64 v[85:86], v[5:6], v[57:58], -v[85:86]
	v_fma_f64 v[87:88], v[5:6], v[49:50], -v[87:88]
	v_fma_f64 v[93:94], v[5:6], v[51:52], -v[93:94]
	v_fma_f64 v[97:98], v[5:6], v[39:40], -v[97:98]
	v_fma_f64 v[99:100], v[5:6], v[37:38], -v[99:100]
	v_fma_f64 v[5:6], v[5:6], v[33:34], -v[13:14]
	v_fma_f64 v[13:14], v[7:8], v[67:68], -v[101:102]
	v_fma_f64 v[101:102], v[7:8], v[61:62], -v[103:104]
	v_fma_f64 v[103:104], v[7:8], v[63:64], -v[105:106]
	v_fma_f64 v[105:106], v[7:8], v[53:54], -v[107:108]
	v_fma_f64 v[107:108], v[7:8], v[55:56], -v[109:110]
	v_fma_f64 v[109:110], v[7:8], v[43:44], -v[111:112]
	v_fma_f64 v[111:112], v[7:8], v[35:36], -v[113:114]
	v_fma_f64 v[113:114], v[7:8], v[31:32], -v[115:116]
	global_store_dwordx2 v[15:16], v[41:42], off
	global_store_dwordx2 v[17:18], v[45:46], off
	;; [unrolled: 1-line block ×16, first 2 shown]
	s_and_saveexec_b64 s[20:21], s[2:3]
	s_cbranch_execz .LBB140_16
; %bb.15:                               ;   in Loop: Header=BB140_5 Depth=1
	v_add_u32_e32 v5, v72, v73
	v_add_u32_e32 v1, s28, v5
	v_lshlrev_b64 v[13:14], 3, v[1:2]
	v_mov_b32_e32 v23, s9
	v_add_co_u32_e32 v13, vcc, s8, v13
	v_addc_co_u32_e32 v14, vcc, v23, v14, vcc
	global_load_dwordx2 v[15:16], v[13:14], off
	v_mul_f64 v[7:8], v[7:8], v[11:12]
	v_mul_f64 v[3:4], v[3:4], v[11:12]
	v_add_u32_e32 v1, s29, v5
	v_lshlrev_b64 v[17:18], 3, v[1:2]
	v_add_u32_e32 v1, s30, v5
	v_add_co_u32_e32 v17, vcc, s8, v17
	v_addc_co_u32_e32 v18, vcc, v23, v18, vcc
	v_mul_f64 v[11:12], v[7:8], v[67:68]
	global_load_dwordx2 v[19:20], v[17:18], off
	v_mul_f64 v[21:22], v[7:8], v[63:64]
	v_ashrrev_i32_e32 v6, 31, v5
	v_fma_f64 v[11:12], v[3:4], v[65:66], -v[11:12]
	s_waitcnt vmcnt(1)
	v_add_f64 v[11:12], v[11:12], v[15:16]
	v_lshlrev_b64 v[15:16], 3, v[1:2]
	v_add_u32_e32 v1, s31, v5
	v_add_co_u32_e32 v15, vcc, s8, v15
	v_addc_co_u32_e32 v16, vcc, v23, v16, vcc
	global_store_dwordx2 v[13:14], v[11:12], off
	global_load_dwordx2 v[11:12], v[15:16], off
	v_mul_f64 v[13:14], v[7:8], v[61:62]
	v_fma_f64 v[13:14], v[3:4], v[59:60], -v[13:14]
	s_waitcnt vmcnt(2)
	v_add_f64 v[13:14], v[13:14], v[19:20]
	v_fma_f64 v[19:20], v[3:4], v[57:58], -v[21:22]
	v_lshlrev_b64 v[21:22], 3, v[1:2]
	v_add_u32_e32 v1, s33, v5
	v_add_co_u32_e32 v21, vcc, s8, v21
	v_addc_co_u32_e32 v22, vcc, v23, v22, vcc
	global_store_dwordx2 v[17:18], v[13:14], off
	global_load_dwordx2 v[13:14], v[21:22], off
	v_lshlrev_b64 v[17:18], 3, v[1:2]
	v_add_u32_e32 v1, s34, v5
	v_add_co_u32_e32 v17, vcc, s8, v17
	v_addc_co_u32_e32 v18, vcc, v23, v18, vcc
	s_waitcnt vmcnt(2)
	v_add_f64 v[11:12], v[19:20], v[11:12]
	v_mul_f64 v[19:20], v[7:8], v[55:56]
	global_store_dwordx2 v[15:16], v[11:12], off
	global_load_dwordx2 v[11:12], v[17:18], off
	v_mul_f64 v[15:16], v[7:8], v[53:54]
	v_fma_f64 v[19:20], v[3:4], v[51:52], -v[19:20]
	v_fma_f64 v[15:16], v[3:4], v[49:50], -v[15:16]
	s_waitcnt vmcnt(2)
	v_add_f64 v[13:14], v[15:16], v[13:14]
	v_lshlrev_b64 v[15:16], 3, v[1:2]
	v_add_u32_e32 v1, s35, v5
	v_add_co_u32_e32 v15, vcc, s8, v15
	v_addc_co_u32_e32 v16, vcc, v23, v16, vcc
	s_waitcnt vmcnt(0)
	v_add_f64 v[11:12], v[19:20], v[11:12]
	global_store_dwordx2 v[21:22], v[13:14], off
	global_store_dwordx2 v[17:18], v[11:12], off
	global_load_dwordx2 v[11:12], v[15:16], off
	v_mul_f64 v[13:14], v[7:8], v[43:44]
	v_mov_b32_e32 v17, s15
	v_fma_f64 v[13:14], v[3:4], v[39:40], -v[13:14]
	s_waitcnt vmcnt(0)
	v_add_f64 v[11:12], v[13:14], v[11:12]
	v_lshlrev_b64 v[13:14], 3, v[1:2]
	v_add_u32_e32 v1, s36, v5
	v_add_co_u32_e32 v13, vcc, s8, v13
	v_addc_co_u32_e32 v14, vcc, v23, v14, vcc
	global_store_dwordx2 v[15:16], v[11:12], off
	global_load_dwordx2 v[11:12], v[13:14], off
	v_mul_f64 v[15:16], v[7:8], v[35:36]
	v_fma_f64 v[15:16], v[3:4], v[37:38], -v[15:16]
	s_waitcnt vmcnt(0)
	v_add_f64 v[11:12], v[15:16], v[11:12]
	v_lshlrev_b64 v[15:16], 3, v[5:6]
	v_lshlrev_b64 v[5:6], 3, v[1:2]
	v_add_co_u32_e32 v5, vcc, s8, v5
	v_addc_co_u32_e32 v6, vcc, v23, v6, vcc
	global_store_dwordx2 v[13:14], v[11:12], off
	v_add_co_u32_e32 v13, vcc, s14, v15
	v_addc_co_u32_e32 v14, vcc, v17, v16, vcc
	global_load_dwordx2 v[11:12], v[5:6], off
	v_mul_f64 v[15:16], v[7:8], v[31:32]
	global_load_dwordx2 v[13:14], v[13:14], off
	v_mul_f64 v[7:8], v[9:10], v[7:8]
	v_fma_f64 v[3:4], v[3:4], v[33:34], -v[15:16]
	s_waitcnt vmcnt(1)
	v_add_f64 v[3:4], v[3:4], v[11:12]
	s_waitcnt vmcnt(0)
	v_fma_f64 v[69:70], -v[47:48], v[7:8], v[13:14]
	global_store_dwordx2 v[5:6], v[3:4], off
.LBB140_16:                             ;   in Loop: Header=BB140_5 Depth=1
	s_or_b64 exec, exec, s[20:21]
	v_mov_b32_e32 v7, v69
	v_mov_b32_e32 v8, v70
                                        ; implicit-def: $vgpr3_vgpr4
                                        ; implicit-def: $vgpr5_vgpr6
                                        ; implicit-def: $vgpr47_vgpr48
                                        ; implicit-def: $vgpr15_vgpr16
                                        ; implicit-def: $vgpr31_vgpr32
                                        ; implicit-def: $vgpr17_vgpr18
                                        ; implicit-def: $vgpr33_vgpr34
                                        ; implicit-def: $vgpr19_vgpr20
                                        ; implicit-def: $vgpr35_vgpr36
                                        ; implicit-def: $vgpr21_vgpr22
                                        ; implicit-def: $vgpr37_vgpr38
                                        ; implicit-def: $vgpr23_vgpr24
                                        ; implicit-def: $vgpr43_vgpr44
                                        ; implicit-def: $vgpr25_vgpr26
                                        ; implicit-def: $vgpr39_vgpr40
                                        ; implicit-def: $vgpr27_vgpr28
                                        ; implicit-def: $vgpr41_vgpr42
                                        ; implicit-def: $vgpr29_vgpr30
                                        ; implicit-def: $vgpr45_vgpr46
.LBB140_17:                             ;   in Loop: Header=BB140_5 Depth=1
	s_or_saveexec_b64 s[2:3], s[4:5]
	v_mov_b32_e32 v1, s27
	s_xor_b64 exec, exec, s[2:3]
	s_cbranch_execz .LBB140_4
; %bb.18:                               ;   in Loop: Header=BB140_5 Depth=1
	v_div_scale_f64 v[9:10], s[4:5], v[7:8], v[7:8], 1.0
	v_rcp_f64_e32 v[11:12], v[9:10]
	v_fma_f64 v[13:14], -v[9:10], v[11:12], 1.0
	v_fma_f64 v[11:12], v[11:12], v[13:14], v[11:12]
	v_div_scale_f64 v[13:14], vcc, 1.0, v[7:8], 1.0
	v_fma_f64 v[49:50], -v[9:10], v[11:12], 1.0
	v_fma_f64 v[11:12], v[11:12], v[49:50], v[11:12]
	v_mul_f64 v[49:50], v[13:14], v[11:12]
	v_fma_f64 v[9:10], -v[9:10], v[49:50], v[13:14]
	v_div_fmas_f64 v[9:10], v[9:10], v[11:12], v[49:50]
	v_div_fixup_f64 v[7:8], v[9:10], v[7:8], 1.0
	s_waitcnt vmcnt(7)
	v_mul_f64 v[51:52], v[7:8], v[31:32]
	s_waitcnt vmcnt(6)
	v_mul_f64 v[49:50], v[7:8], v[33:34]
	;; [unrolled: 2-line block ×8, first 2 shown]
	global_store_dwordx2 v[15:16], v[51:52], off
	global_store_dwordx2 v[17:18], v[49:50], off
	;; [unrolled: 1-line block ×8, first 2 shown]
	s_and_saveexec_b64 s[4:5], s[0:1]
	s_cbranch_execz .LBB140_3
; %bb.19:                               ;   in Loop: Header=BB140_5 Depth=1
	v_add_u32_e32 v25, v71, v73
	v_add_u32_e32 v1, s28, v25
	v_lshlrev_b64 v[15:16], 3, v[1:2]
	v_mov_b32_e32 v26, s9
	v_add_co_u32_e32 v15, vcc, s8, v15
	v_addc_co_u32_e32 v16, vcc, v26, v16, vcc
	global_load_dwordx2 v[17:18], v[15:16], off
	v_add_u32_e32 v1, s29, v25
	v_lshlrev_b64 v[19:20], 3, v[1:2]
	v_add_u32_e32 v1, s30, v25
	v_add_co_u32_e32 v19, vcc, s8, v19
	v_addc_co_u32_e32 v20, vcc, v26, v20, vcc
	global_load_dwordx2 v[21:22], v[19:20], off
	v_lshlrev_b64 v[23:24], 3, v[1:2]
	v_add_u32_e32 v1, s31, v25
	v_add_co_u32_e32 v23, vcc, s8, v23
	v_addc_co_u32_e32 v24, vcc, v26, v24, vcc
	s_waitcnt vmcnt(1)
	v_fma_f64 v[17:18], -v[3:4], v[51:52], v[17:18]
	global_store_dwordx2 v[15:16], v[17:18], off
	global_load_dwordx2 v[15:16], v[23:24], off
	s_waitcnt vmcnt(2)
	v_fma_f64 v[17:18], -v[3:4], v[49:50], v[21:22]
	v_lshlrev_b64 v[21:22], 3, v[1:2]
	v_add_u32_e32 v1, s33, v25
	v_add_co_u32_e32 v21, vcc, s8, v21
	v_addc_co_u32_e32 v22, vcc, v26, v22, vcc
	global_store_dwordx2 v[19:20], v[17:18], off
	global_load_dwordx2 v[17:18], v[21:22], off
	v_lshlrev_b64 v[19:20], 3, v[1:2]
	v_add_u32_e32 v1, s34, v25
	v_add_co_u32_e32 v19, vcc, s8, v19
	v_addc_co_u32_e32 v20, vcc, v26, v20, vcc
	s_waitcnt vmcnt(2)
	v_fma_f64 v[15:16], -v[3:4], v[35:36], v[15:16]
	global_store_dwordx2 v[23:24], v[15:16], off
	global_load_dwordx2 v[15:16], v[19:20], off
	s_waitcnt vmcnt(2)
	v_fma_f64 v[17:18], -v[3:4], v[31:32], v[17:18]
	v_lshlrev_b64 v[23:24], 3, v[1:2]
	v_add_u32_e32 v1, s35, v25
	v_add_co_u32_e32 v23, vcc, s8, v23
	v_addc_co_u32_e32 v24, vcc, v26, v24, vcc
	s_waitcnt vmcnt(0)
	v_fma_f64 v[15:16], -v[3:4], v[33:34], v[15:16]
	global_store_dwordx2 v[21:22], v[17:18], off
	global_store_dwordx2 v[19:20], v[15:16], off
	global_load_dwordx2 v[15:16], v[23:24], off
	s_waitcnt vmcnt(0)
	v_fma_f64 v[13:14], -v[3:4], v[13:14], v[15:16]
	v_lshlrev_b64 v[15:16], 3, v[1:2]
	v_add_u32_e32 v1, s36, v25
	v_add_co_u32_e32 v15, vcc, s8, v15
	v_addc_co_u32_e32 v16, vcc, v26, v16, vcc
	global_store_dwordx2 v[23:24], v[13:14], off
	global_load_dwordx2 v[13:14], v[15:16], off
	s_waitcnt vmcnt(0)
	v_fma_f64 v[11:12], -v[3:4], v[11:12], v[13:14]
	v_lshlrev_b64 v[13:14], 3, v[1:2]
	global_store_dwordx2 v[15:16], v[11:12], off
	v_add_co_u32_e32 v11, vcc, s8, v13
	v_addc_co_u32_e32 v12, vcc, v26, v14, vcc
	global_load_dwordx2 v[13:14], v[11:12], off
	s_waitcnt vmcnt(0)
	v_fma_f64 v[3:4], -v[3:4], v[9:10], v[13:14]
	global_store_dwordx2 v[11:12], v[3:4], off
	s_branch .LBB140_3
.LBB140_20:
	s_or_b64 exec, exec, s[18:19]
	s_branch .LBB140_22
.LBB140_21:
	v_mov_b32_e32 v73, 0
.LBB140_22:
	v_subrev_u32_e32 v3, s22, v73
	v_add_u32_e32 v1, v3, v0
	v_ashrrev_i32_e32 v2, 31, v1
	v_lshlrev_b64 v[1:2], 2, v[1:2]
	s_waitcnt lgkmcnt(0)
	v_mov_b32_e32 v4, s17
	v_add_co_u32_e32 v1, vcc, s16, v1
	v_addc_co_u32_e32 v2, vcc, v4, v2, vcc
	s_waitcnt vmcnt(0)
	buffer_wbinvl1_vol
	global_load_dword v1, v[1:2], off
	s_waitcnt vmcnt(0)
	v_mul_lo_u32 v1, v1, s22
	v_sub_u32_e32 v7, v3, v1
	v_cmp_lt_i32_e32 vcc, -1, v7
	s_and_b64 exec, exec, vcc
	s_cbranch_execz .LBB140_29
; %bb.23:
	s_lshl_b32 s4, s24, 3
	s_add_i32 s5, s4, s23
	s_add_i32 s6, s5, s23
	;; [unrolled: 1-line block ×7, first 2 shown]
	s_lshl_b32 s18, s22, 1
	s_mov_b64 s[0:1], 0
	v_mov_b32_e32 v8, s17
	v_mov_b32_e32 v9, s11
	;; [unrolled: 1-line block ×3, first 2 shown]
	s_branch .LBB140_25
.LBB140_24:                             ;   in Loop: Header=BB140_25 Depth=1
	s_or_b64 exec, exec, s[2:3]
	v_sub_u32_e32 v7, v7, v1
	v_cmp_gt_i32_e32 vcc, 0, v7
	s_or_b64 s[0:1], vcc, s[0:1]
	s_andn2_b64 exec, exec, s[0:1]
	s_cbranch_execz .LBB140_29
.LBB140_25:                             ; =>This Inner Loop Header: Depth=1
	v_add_u32_e32 v5, v7, v0
	v_ashrrev_i32_e32 v6, 31, v5
	s_waitcnt vmcnt(0)
	v_lshlrev_b64 v[3:4], 2, v[5:6]
	v_add_co_u32_e32 v3, vcc, s16, v3
	v_addc_co_u32_e32 v4, vcc, v8, v4, vcc
	global_load_dword v1, v[3:4], off
	v_lshlrev_b64 v[3:4], 3, v[5:6]
	v_add_co_u32_e32 v3, vcc, s10, v3
	v_addc_co_u32_e32 v4, vcc, v9, v4, vcc
	global_load_dwordx2 v[3:4], v[3:4], off
	s_waitcnt vmcnt(1)
	v_cmp_ne_u32_e32 vcc, 1, v1
	s_and_saveexec_b64 s[2:3], vcc
	s_xor_b64 s[2:3], exec, s[2:3]
	s_cbranch_execz .LBB140_27
; %bb.26:                               ;   in Loop: Header=BB140_25 Depth=1
	v_add_u32_e32 v6, v71, v7
	v_add_u32_e32 v1, s4, v6
	v_lshlrev_b64 v[10:11], 3, v[1:2]
	v_mov_b32_e32 v1, s9
	v_add_co_u32_e32 v10, vcc, s8, v10
	v_addc_co_u32_e32 v11, vcc, v1, v11, vcc
	v_add_u32_e32 v1, s5, v6
	v_lshlrev_b64 v[12:13], 3, v[1:2]
	v_add_u32_e32 v1, s6, v6
	v_lshlrev_b64 v[14:15], 3, v[1:2]
	;; [unrolled: 2-line block ×8, first 2 shown]
	v_mov_b32_e32 v1, s9
	v_add_co_u32_e32 v26, vcc, s8, v26
	v_addc_co_u32_e32 v27, vcc, v1, v27, vcc
	global_load_dwordx2 v[10:11], v[10:11], off
	v_add_co_u32_e32 v12, vcc, s8, v12
	global_load_dwordx2 v[28:29], v[26:27], off
	v_addc_co_u32_e32 v13, vcc, v1, v13, vcc
	v_mov_b32_e32 v6, s9
	v_add_co_u32_e32 v14, vcc, s8, v14
	v_addc_co_u32_e32 v15, vcc, v6, v15, vcc
	v_mov_b32_e32 v30, s9
	v_add_co_u32_e32 v16, vcc, s8, v16
	v_addc_co_u32_e32 v17, vcc, v30, v17, vcc
	v_mov_b32_e32 v36, s9
	global_load_dwordx2 v[30:31], v[12:13], off
	global_load_dwordx2 v[32:33], v[14:15], off
	;; [unrolled: 1-line block ×3, first 2 shown]
	v_add_co_u32_e32 v12, vcc, s8, v18
	v_addc_co_u32_e32 v13, vcc, v36, v19, vcc
	v_mov_b32_e32 v37, s9
	v_add_co_u32_e32 v14, vcc, s8, v20
	v_addc_co_u32_e32 v15, vcc, v37, v21, vcc
	v_mov_b32_e32 v38, s9
	v_add_co_u32_e32 v16, vcc, s8, v22
	v_addc_co_u32_e32 v17, vcc, v38, v23, vcc
	v_add_u32_e32 v1, s5, v5
	v_mov_b32_e32 v39, s9
	v_add_co_u32_e32 v18, vcc, s8, v24
	v_lshlrev_b64 v[20:21], 3, v[1:2]
	v_addc_co_u32_e32 v19, vcc, v39, v25, vcc
	v_mov_b32_e32 v40, s9
	v_add_u32_e32 v1, s6, v5
	s_waitcnt vmcnt(3)
	v_fma_f64 v[22:23], -v[3:4], v[10:11], v[28:29]
	global_load_dwordx2 v[24:25], v[12:13], off
	global_load_dwordx2 v[28:29], v[14:15], off
	global_load_dwordx2 v[36:37], v[16:17], off
	global_load_dwordx2 v[38:39], v[18:19], off
	v_add_co_u32_e32 v12, vcc, s8, v20
	v_addc_co_u32_e32 v13, vcc, v40, v21, vcc
	v_lshlrev_b64 v[16:17], 3, v[1:2]
	v_add_u32_e32 v1, s7, v5
	global_store_dwordx2 v[26:27], v[22:23], off
	global_load_dwordx2 v[14:15], v[12:13], off
	v_add_co_u32_e32 v16, vcc, s8, v16
	v_addc_co_u32_e32 v17, vcc, v6, v17, vcc
	s_waitcnt vmcnt(0)
	v_fma_f64 v[14:15], -v[3:4], v[30:31], v[14:15]
	global_store_dwordx2 v[12:13], v[14:15], off
	global_load_dwordx2 v[12:13], v[16:17], off
	v_lshlrev_b64 v[14:15], 3, v[1:2]
	v_add_u32_e32 v1, s12, v5
	v_add_co_u32_e32 v14, vcc, s8, v14
	v_addc_co_u32_e32 v15, vcc, v6, v15, vcc
	s_waitcnt vmcnt(0)
	v_fma_f64 v[12:13], -v[3:4], v[32:33], v[12:13]
	global_store_dwordx2 v[16:17], v[12:13], off
	global_load_dwordx2 v[12:13], v[14:15], off
	v_lshlrev_b64 v[16:17], 3, v[1:2]
	v_add_u32_e32 v1, s13, v5
	;; [unrolled: 8-line block ×4, first 2 shown]
	v_add_co_u32_e32 v16, vcc, s8, v16
	v_addc_co_u32_e32 v17, vcc, v6, v17, vcc
	v_lshlrev_b64 v[5:6], 3, v[1:2]
	v_subrev_u32_e32 v1, s22, v7
	v_add_co_u32_e32 v5, vcc, s8, v5
	s_waitcnt vmcnt(0)
	v_fma_f64 v[12:13], -v[3:4], v[28:29], v[12:13]
	global_store_dwordx2 v[14:15], v[12:13], off
	global_load_dwordx2 v[12:13], v[16:17], off
	v_mov_b32_e32 v14, s9
	v_addc_co_u32_e32 v6, vcc, v14, v6, vcc
	v_add_u32_e32 v14, v1, v0
	v_ashrrev_i32_e32 v15, 31, v14
	v_add_u32_e32 v1, s4, v14
	s_waitcnt vmcnt(0)
	v_fma_f64 v[12:13], -v[3:4], v[36:37], v[12:13]
	global_store_dwordx2 v[16:17], v[12:13], off
	global_load_dwordx2 v[12:13], v[5:6], off
	v_lshlrev_b64 v[15:16], 3, v[14:15]
	v_mov_b32_e32 v17, s9
	v_add_co_u32_e32 v15, vcc, s10, v15
	v_addc_co_u32_e32 v16, vcc, v9, v16, vcc
	s_waitcnt vmcnt(0)
	v_fma_f64 v[3:4], -v[3:4], v[38:39], v[12:13]
	global_load_dwordx2 v[12:13], v[15:16], off
	v_lshlrev_b64 v[15:16], 3, v[1:2]
	v_add_u32_e32 v1, s5, v14
	v_add_co_u32_e32 v15, vcc, s8, v15
	v_addc_co_u32_e32 v16, vcc, v17, v16, vcc
	global_store_dwordx2 v[5:6], v[3:4], off
	global_load_dwordx2 v[3:4], v[15:16], off
	v_lshlrev_b64 v[5:6], 3, v[1:2]
	v_add_u32_e32 v1, s6, v14
	v_add_co_u32_e32 v5, vcc, s8, v5
	s_waitcnt vmcnt(0)
	v_fma_f64 v[3:4], -v[12:13], v[10:11], v[3:4]
	v_mov_b32_e32 v10, s9
	v_addc_co_u32_e32 v6, vcc, v10, v6, vcc
	v_lshlrev_b64 v[10:11], 3, v[1:2]
	v_add_u32_e32 v1, s7, v14
	v_add_co_u32_e32 v10, vcc, s8, v10
	global_store_dwordx2 v[15:16], v[3:4], off
	global_load_dwordx2 v[3:4], v[5:6], off
	v_mov_b32_e32 v15, s9
	v_addc_co_u32_e32 v11, vcc, v15, v11, vcc
	s_waitcnt vmcnt(0)
	v_fma_f64 v[3:4], -v[12:13], v[30:31], v[3:4]
	global_store_dwordx2 v[5:6], v[3:4], off
	global_load_dwordx2 v[3:4], v[10:11], off
	v_lshlrev_b64 v[5:6], 3, v[1:2]
	v_add_u32_e32 v1, s12, v14
	v_add_co_u32_e32 v5, vcc, s8, v5
	v_addc_co_u32_e32 v6, vcc, v15, v6, vcc
	s_waitcnt vmcnt(0)
	v_fma_f64 v[3:4], -v[12:13], v[32:33], v[3:4]
	global_store_dwordx2 v[10:11], v[3:4], off
	global_load_dwordx2 v[3:4], v[5:6], off
	v_lshlrev_b64 v[10:11], 3, v[1:2]
	v_add_u32_e32 v1, s13, v14
	v_add_co_u32_e32 v10, vcc, s8, v10
	;; [unrolled: 8-line block ×4, first 2 shown]
	v_addc_co_u32_e32 v11, vcc, v15, v11, vcc
	s_waitcnt vmcnt(0)
	v_fma_f64 v[3:4], -v[12:13], v[28:29], v[3:4]
	global_store_dwordx2 v[5:6], v[3:4], off
	global_load_dwordx2 v[3:4], v[10:11], off
	v_lshlrev_b64 v[5:6], 3, v[1:2]
	s_waitcnt vmcnt(0)
	v_fma_f64 v[3:4], -v[12:13], v[36:37], v[3:4]
	global_store_dwordx2 v[10:11], v[3:4], off
	v_add_co_u32_e32 v3, vcc, s8, v5
	v_addc_co_u32_e32 v4, vcc, v15, v6, vcc
	global_load_dwordx2 v[5:6], v[3:4], off
	s_waitcnt vmcnt(0)
	v_fma_f64 v[5:6], -v[12:13], v[38:39], v[5:6]
	global_store_dwordx2 v[3:4], v[5:6], off
                                        ; implicit-def: $vgpr5
                                        ; implicit-def: $vgpr3_vgpr4
.LBB140_27:                             ;   in Loop: Header=BB140_25 Depth=1
	s_or_saveexec_b64 s[2:3], s[2:3]
	v_mov_b32_e32 v1, s18
	s_xor_b64 exec, exec, s[2:3]
	s_cbranch_execz .LBB140_24
; %bb.28:                               ;   in Loop: Header=BB140_25 Depth=1
	v_add_u32_e32 v6, v71, v7
	v_add_u32_e32 v1, s4, v6
	v_lshlrev_b64 v[10:11], 3, v[1:2]
	v_mov_b32_e32 v1, s9
	v_add_co_u32_e32 v10, vcc, s8, v10
	v_addc_co_u32_e32 v11, vcc, v1, v11, vcc
	v_add_u32_e32 v1, s4, v5
	v_lshlrev_b64 v[12:13], 3, v[1:2]
	v_mov_b32_e32 v1, s9
	v_add_co_u32_e32 v12, vcc, s8, v12
	v_addc_co_u32_e32 v13, vcc, v1, v13, vcc
	global_load_dwordx2 v[14:15], v[10:11], off
	global_load_dwordx2 v[16:17], v[12:13], off
	v_add_u32_e32 v1, s5, v6
	v_lshlrev_b64 v[10:11], 3, v[1:2]
	v_add_u32_e32 v1, s5, v5
	v_mov_b32_e32 v20, s9
	v_lshlrev_b64 v[18:19], 3, v[1:2]
	v_add_co_u32_e32 v10, vcc, s8, v10
	v_addc_co_u32_e32 v11, vcc, v20, v11, vcc
	v_mov_b32_e32 v21, s9
	v_add_u32_e32 v1, s6, v6
	s_waitcnt vmcnt(0)
	v_fma_f64 v[14:15], -v[3:4], v[14:15], v[16:17]
	v_add_co_u32_e32 v16, vcc, s8, v18
	v_addc_co_u32_e32 v17, vcc, v21, v19, vcc
	global_store_dwordx2 v[12:13], v[14:15], off
	global_load_dwordx2 v[12:13], v[10:11], off
	s_nop 0
	global_load_dwordx2 v[14:15], v[16:17], off
	v_lshlrev_b64 v[10:11], 3, v[1:2]
	v_add_u32_e32 v1, s6, v5
	v_lshlrev_b64 v[18:19], 3, v[1:2]
	v_add_co_u32_e32 v10, vcc, s8, v10
	v_addc_co_u32_e32 v11, vcc, v20, v11, vcc
	v_add_u32_e32 v1, s7, v6
	s_waitcnt vmcnt(0)
	v_fma_f64 v[12:13], -v[3:4], v[12:13], v[14:15]
	v_add_co_u32_e32 v14, vcc, s8, v18
	v_addc_co_u32_e32 v15, vcc, v21, v19, vcc
	global_store_dwordx2 v[16:17], v[12:13], off
	global_load_dwordx2 v[12:13], v[10:11], off
	s_nop 0
	global_load_dwordx2 v[16:17], v[14:15], off
	v_lshlrev_b64 v[10:11], 3, v[1:2]
	v_add_u32_e32 v1, s7, v5
	v_lshlrev_b64 v[18:19], 3, v[1:2]
	v_add_co_u32_e32 v10, vcc, s8, v10
	v_addc_co_u32_e32 v11, vcc, v20, v11, vcc
	;; [unrolled: 14-line block ×5, first 2 shown]
	v_add_u32_e32 v1, s15, v6
	s_waitcnt vmcnt(0)
	v_fma_f64 v[12:13], -v[3:4], v[12:13], v[14:15]
	v_add_co_u32_e32 v14, vcc, s8, v18
	v_addc_co_u32_e32 v15, vcc, v21, v19, vcc
	v_mov_b32_e32 v18, s9
	v_mov_b32_e32 v19, s9
	global_store_dwordx2 v[16:17], v[12:13], off
	global_load_dwordx2 v[12:13], v[10:11], off
	s_nop 0
	global_load_dwordx2 v[16:17], v[14:15], off
	v_lshlrev_b64 v[10:11], 3, v[1:2]
	v_add_u32_e32 v1, s15, v5
	v_lshlrev_b64 v[5:6], 3, v[1:2]
	v_add_co_u32_e32 v10, vcc, s8, v10
	v_addc_co_u32_e32 v11, vcc, v18, v11, vcc
	v_add_co_u32_e32 v5, vcc, s8, v5
	v_addc_co_u32_e32 v6, vcc, v19, v6, vcc
	v_mov_b32_e32 v1, s22
	s_waitcnt vmcnt(0)
	v_fma_f64 v[12:13], -v[3:4], v[12:13], v[16:17]
	global_store_dwordx2 v[14:15], v[12:13], off
	global_load_dwordx2 v[12:13], v[10:11], off
	s_nop 0
	global_load_dwordx2 v[14:15], v[5:6], off
	s_waitcnt vmcnt(0)
	v_fma_f64 v[3:4], -v[3:4], v[12:13], v[14:15]
	global_store_dwordx2 v[5:6], v[3:4], off
	s_branch .LBB140_24
.LBB140_29:
	s_endpgm
	.section	.rodata,"a",@progbits
	.p2align	6, 0x0
	.amdhsa_kernel _ZN9rocsparseL19gtsv_LBM_rhs_kernelILj256ELj32ELj8EdEEviiiPKT2_S3_S3_PS1_S3_PKi
		.amdhsa_group_segment_fixed_size 0
		.amdhsa_private_segment_fixed_size 0
		.amdhsa_kernarg_size 64
		.amdhsa_user_sgpr_count 6
		.amdhsa_user_sgpr_private_segment_buffer 1
		.amdhsa_user_sgpr_dispatch_ptr 0
		.amdhsa_user_sgpr_queue_ptr 0
		.amdhsa_user_sgpr_kernarg_segment_ptr 1
		.amdhsa_user_sgpr_dispatch_id 0
		.amdhsa_user_sgpr_flat_scratch_init 0
		.amdhsa_user_sgpr_private_segment_size 0
		.amdhsa_uses_dynamic_stack 0
		.amdhsa_system_sgpr_private_segment_wavefront_offset 0
		.amdhsa_system_sgpr_workgroup_id_x 1
		.amdhsa_system_sgpr_workgroup_id_y 1
		.amdhsa_system_sgpr_workgroup_id_z 0
		.amdhsa_system_sgpr_workgroup_info 0
		.amdhsa_system_vgpr_workitem_id 0
		.amdhsa_next_free_vgpr 117
		.amdhsa_next_free_sgpr 37
		.amdhsa_reserve_vcc 1
		.amdhsa_reserve_flat_scratch 0
		.amdhsa_float_round_mode_32 0
		.amdhsa_float_round_mode_16_64 0
		.amdhsa_float_denorm_mode_32 3
		.amdhsa_float_denorm_mode_16_64 3
		.amdhsa_dx10_clamp 1
		.amdhsa_ieee_mode 1
		.amdhsa_fp16_overflow 0
		.amdhsa_exception_fp_ieee_invalid_op 0
		.amdhsa_exception_fp_denorm_src 0
		.amdhsa_exception_fp_ieee_div_zero 0
		.amdhsa_exception_fp_ieee_overflow 0
		.amdhsa_exception_fp_ieee_underflow 0
		.amdhsa_exception_fp_ieee_inexact 0
		.amdhsa_exception_int_div_zero 0
	.end_amdhsa_kernel
	.section	.text._ZN9rocsparseL19gtsv_LBM_rhs_kernelILj256ELj32ELj8EdEEviiiPKT2_S3_S3_PS1_S3_PKi,"axG",@progbits,_ZN9rocsparseL19gtsv_LBM_rhs_kernelILj256ELj32ELj8EdEEviiiPKT2_S3_S3_PS1_S3_PKi,comdat
.Lfunc_end140:
	.size	_ZN9rocsparseL19gtsv_LBM_rhs_kernelILj256ELj32ELj8EdEEviiiPKT2_S3_S3_PS1_S3_PKi, .Lfunc_end140-_ZN9rocsparseL19gtsv_LBM_rhs_kernelILj256ELj32ELj8EdEEviiiPKT2_S3_S3_PS1_S3_PKi
                                        ; -- End function
	.set _ZN9rocsparseL19gtsv_LBM_rhs_kernelILj256ELj32ELj8EdEEviiiPKT2_S3_S3_PS1_S3_PKi.num_vgpr, 117
	.set _ZN9rocsparseL19gtsv_LBM_rhs_kernelILj256ELj32ELj8EdEEviiiPKT2_S3_S3_PS1_S3_PKi.num_agpr, 0
	.set _ZN9rocsparseL19gtsv_LBM_rhs_kernelILj256ELj32ELj8EdEEviiiPKT2_S3_S3_PS1_S3_PKi.numbered_sgpr, 37
	.set _ZN9rocsparseL19gtsv_LBM_rhs_kernelILj256ELj32ELj8EdEEviiiPKT2_S3_S3_PS1_S3_PKi.num_named_barrier, 0
	.set _ZN9rocsparseL19gtsv_LBM_rhs_kernelILj256ELj32ELj8EdEEviiiPKT2_S3_S3_PS1_S3_PKi.private_seg_size, 0
	.set _ZN9rocsparseL19gtsv_LBM_rhs_kernelILj256ELj32ELj8EdEEviiiPKT2_S3_S3_PS1_S3_PKi.uses_vcc, 1
	.set _ZN9rocsparseL19gtsv_LBM_rhs_kernelILj256ELj32ELj8EdEEviiiPKT2_S3_S3_PS1_S3_PKi.uses_flat_scratch, 0
	.set _ZN9rocsparseL19gtsv_LBM_rhs_kernelILj256ELj32ELj8EdEEviiiPKT2_S3_S3_PS1_S3_PKi.has_dyn_sized_stack, 0
	.set _ZN9rocsparseL19gtsv_LBM_rhs_kernelILj256ELj32ELj8EdEEviiiPKT2_S3_S3_PS1_S3_PKi.has_recursion, 0
	.set _ZN9rocsparseL19gtsv_LBM_rhs_kernelILj256ELj32ELj8EdEEviiiPKT2_S3_S3_PS1_S3_PKi.has_indirect_call, 0
	.section	.AMDGPU.csdata,"",@progbits
; Kernel info:
; codeLenInByte = 4984
; TotalNumSgprs: 41
; NumVgprs: 117
; ScratchSize: 0
; MemoryBound: 0
; FloatMode: 240
; IeeeMode: 1
; LDSByteSize: 0 bytes/workgroup (compile time only)
; SGPRBlocks: 5
; VGPRBlocks: 29
; NumSGPRsForWavesPerEU: 41
; NumVGPRsForWavesPerEU: 117
; Occupancy: 2
; WaveLimiterHint : 0
; COMPUTE_PGM_RSRC2:SCRATCH_EN: 0
; COMPUTE_PGM_RSRC2:USER_SGPR: 6
; COMPUTE_PGM_RSRC2:TRAP_HANDLER: 0
; COMPUTE_PGM_RSRC2:TGID_X_EN: 1
; COMPUTE_PGM_RSRC2:TGID_Y_EN: 1
; COMPUTE_PGM_RSRC2:TGID_Z_EN: 0
; COMPUTE_PGM_RSRC2:TIDIG_COMP_CNT: 0
	.section	.text._ZN9rocsparseL19gtsv_LBM_rhs_kernelILj256ELj32ELj4EdEEviiiPKT2_S3_S3_PS1_S3_PKi,"axG",@progbits,_ZN9rocsparseL19gtsv_LBM_rhs_kernelILj256ELj32ELj4EdEEviiiPKT2_S3_S3_PS1_S3_PKi,comdat
	.globl	_ZN9rocsparseL19gtsv_LBM_rhs_kernelILj256ELj32ELj4EdEEviiiPKT2_S3_S3_PS1_S3_PKi ; -- Begin function _ZN9rocsparseL19gtsv_LBM_rhs_kernelILj256ELj32ELj4EdEEviiiPKT2_S3_S3_PS1_S3_PKi
	.p2align	8
	.type	_ZN9rocsparseL19gtsv_LBM_rhs_kernelILj256ELj32ELj4EdEEviiiPKT2_S3_S3_PS1_S3_PKi,@function
_ZN9rocsparseL19gtsv_LBM_rhs_kernelILj256ELj32ELj4EdEEviiiPKT2_S3_S3_PS1_S3_PKi: ; @_ZN9rocsparseL19gtsv_LBM_rhs_kernelILj256ELj32ELj4EdEEviiiPKT2_S3_S3_PS1_S3_PKi
; %bb.0:
	s_load_dword s23, s[4:5], 0x0
	v_lshl_or_b32 v0, s6, 8, v0
	s_waitcnt lgkmcnt(0)
	s_lshr_b32 s22, s23, 5
	v_cmp_gt_i32_e32 vcc, s22, v0
	s_and_saveexec_b64 s[0:1], vcc
	s_cbranch_execz .LBB141_29
; %bb.1:
	s_load_dwordx4 s[8:11], s[4:5], 0x28
	s_load_dwordx2 s[16:17], s[4:5], 0x38
	s_cmp_lt_i32 s23, 1
	v_add_u32_e32 v39, s22, v0
	s_mul_i32 s24, s7, s23
	s_cbranch_scc1 .LBB141_21
; %bb.2:
	s_load_dwordx4 s[12:15], s[4:5], 0x10
	s_load_dwordx2 s[6:7], s[4:5], 0x20
	v_ashrrev_i32_e32 v1, 31, v0
	v_lshlrev_b64 v[1:2], 3, v[0:1]
	s_lshl_b32 s28, s24, 2
	s_waitcnt lgkmcnt(0)
	v_mov_b32_e32 v3, s15
	v_add_co_u32_e32 v1, vcc, s14, v1
	v_addc_co_u32_e32 v2, vcc, v3, v2, vcc
	global_load_dwordx2 v[5:6], v[1:2], off
	s_add_i32 s29, s28, s23
	s_add_i32 s30, s29, s23
	s_mul_i32 s25, s22, 31
	s_mul_i32 s26, s22, 30
	s_lshl_b32 s27, s22, 1
	v_add_u32_e32 v41, s22, v39
	s_add_i32 s31, s30, s23
	v_mov_b32_e32 v2, 0
	s_mov_b64 s[18:19], 0
	v_mov_b32_e32 v42, s7
	v_mov_b32_e32 v40, 0
	s_branch .LBB141_5
.LBB141_3:                              ;   in Loop: Header=BB141_5 Depth=1
	s_or_b64 exec, exec, s[4:5]
	v_fma_f64 v[5:6], -v[5:6], v[29:30], v[7:8]
	v_mov_b32_e32 v1, s22
.LBB141_4:                              ;   in Loop: Header=BB141_5 Depth=1
	s_or_b64 exec, exec, s[2:3]
	v_add_u32_e32 v40, v1, v40
	v_cmp_le_i32_e32 vcc, s23, v40
	s_or_b64 s[18:19], vcc, s[18:19]
	s_andn2_b64 exec, exec, s[18:19]
	s_cbranch_execz .LBB141_20
.LBB141_5:                              ; =>This Inner Loop Header: Depth=1
	v_add_u32_e32 v15, v40, v0
	v_ashrrev_i32_e32 v16, 31, v15
	v_lshlrev_b64 v[3:4], 3, v[15:16]
	v_mov_b32_e32 v7, 0
	v_add_co_u32_e32 v3, vcc, s6, v3
	v_addc_co_u32_e32 v4, vcc, v42, v4, vcc
	global_load_dwordx2 v[13:14], v[3:4], off
	v_mov_b32_e32 v3, 0
	v_mov_b32_e32 v8, 0
	;; [unrolled: 1-line block ×3, first 2 shown]
	v_cmp_gt_u32_e64 s[0:1], s25, v40
	s_and_saveexec_b64 s[2:3], s[0:1]
	s_cbranch_execz .LBB141_7
; %bb.6:                                ;   in Loop: Header=BB141_5 Depth=1
	v_add_u32_e32 v3, v39, v40
	v_ashrrev_i32_e32 v4, 31, v3
	v_lshlrev_b64 v[3:4], 3, v[3:4]
	v_mov_b32_e32 v1, s13
	v_add_co_u32_e32 v3, vcc, s12, v3
	v_addc_co_u32_e32 v4, vcc, v1, v4, vcc
	global_load_dwordx2 v[3:4], v[3:4], off
.LBB141_7:                              ;   in Loop: Header=BB141_5 Depth=1
	s_or_b64 exec, exec, s[2:3]
	s_and_saveexec_b64 s[2:3], s[0:1]
	s_cbranch_execz .LBB141_9
; %bb.8:                                ;   in Loop: Header=BB141_5 Depth=1
	v_add_u32_e32 v7, v39, v40
	v_ashrrev_i32_e32 v8, 31, v7
	v_lshlrev_b64 v[7:8], 3, v[7:8]
	v_mov_b32_e32 v1, s15
	v_add_co_u32_e32 v7, vcc, s14, v7
	v_addc_co_u32_e32 v8, vcc, v1, v8, vcc
	global_load_dwordx2 v[7:8], v[7:8], off
.LBB141_9:                              ;   in Loop: Header=BB141_5 Depth=1
	s_or_b64 exec, exec, s[2:3]
	v_mov_b32_e32 v11, 0
	v_mov_b32_e32 v9, 0
	;; [unrolled: 1-line block ×4, first 2 shown]
	s_and_saveexec_b64 s[2:3], s[0:1]
	s_cbranch_execz .LBB141_11
; %bb.10:                               ;   in Loop: Header=BB141_5 Depth=1
	v_add_u32_e32 v9, v39, v40
	v_ashrrev_i32_e32 v10, 31, v9
	v_lshlrev_b64 v[9:10], 3, v[9:10]
	v_mov_b32_e32 v1, s7
	v_add_co_u32_e32 v9, vcc, s6, v9
	v_addc_co_u32_e32 v10, vcc, v1, v10, vcc
	global_load_dwordx2 v[9:10], v[9:10], off
.LBB141_11:                             ;   in Loop: Header=BB141_5 Depth=1
	s_or_b64 exec, exec, s[2:3]
	v_cmp_gt_u32_e64 s[2:3], s26, v40
	s_and_saveexec_b64 s[4:5], s[2:3]
	s_cbranch_execz .LBB141_13
; %bb.12:                               ;   in Loop: Header=BB141_5 Depth=1
	v_add_u32_e32 v11, v41, v40
	v_ashrrev_i32_e32 v12, 31, v11
	v_lshlrev_b64 v[11:12], 3, v[11:12]
	v_mov_b32_e32 v1, s13
	v_add_co_u32_e32 v11, vcc, s12, v11
	v_addc_co_u32_e32 v12, vcc, v1, v12, vcc
	global_load_dwordx2 v[11:12], v[11:12], off
.LBB141_13:                             ;   in Loop: Header=BB141_5 Depth=1
	s_or_b64 exec, exec, s[4:5]
	v_lshlrev_b64 v[16:17], 2, v[15:16]
	v_mov_b32_e32 v1, s17
	v_add_co_u32_e32 v16, vcc, s16, v16
	v_addc_co_u32_e32 v17, vcc, v1, v17, vcc
	global_load_dword v1, v[16:17], off
	v_cmp_ne_u32_e64 s[4:5], s25, v40
	s_waitcnt vmcnt(2)
	v_mov_b32_e32 v27, s9
	s_waitcnt vmcnt(1)
	v_mul_f64 v[29:30], v[13:14], v[3:4]
	s_waitcnt vmcnt(0)
	v_cmp_ne_u32_e32 vcc, 1, v1
	v_add_u32_e32 v1, s28, v15
	v_lshlrev_b64 v[16:17], 3, v[1:2]
	s_and_b64 s[4:5], s[4:5], vcc
	v_add_co_u32_e32 v21, vcc, s8, v16
	v_add_u32_e32 v1, s29, v15
	v_addc_co_u32_e32 v22, vcc, v27, v17, vcc
	v_lshlrev_b64 v[17:18], 3, v[1:2]
	v_add_u32_e32 v1, s30, v15
	v_add_co_u32_e32 v17, vcc, s8, v17
	v_lshlrev_b64 v[19:20], 3, v[1:2]
	v_addc_co_u32_e32 v18, vcc, v27, v18, vcc
	v_add_u32_e32 v1, s31, v15
	v_add_co_u32_e32 v19, vcc, s8, v19
	v_lshlrev_b64 v[15:16], 3, v[1:2]
	v_addc_co_u32_e32 v20, vcc, v27, v20, vcc
	v_add_co_u32_e32 v15, vcc, s8, v15
	v_addc_co_u32_e32 v16, vcc, v27, v16, vcc
	global_load_dwordx2 v[31:32], v[21:22], off
	global_load_dwordx2 v[23:24], v[17:18], off
	;; [unrolled: 1-line block ×4, first 2 shown]
	s_and_saveexec_b64 s[20:21], s[4:5]
	s_xor_b64 s[4:5], exec, s[20:21]
	s_cbranch_execz .LBB141_17
; %bb.14:                               ;   in Loop: Header=BB141_5 Depth=1
	v_fma_f64 v[29:30], v[5:6], v[7:8], -v[29:30]
	v_div_scale_f64 v[33:34], s[20:21], v[29:30], v[29:30], 1.0
	v_rcp_f64_e32 v[35:36], v[33:34]
	v_fma_f64 v[37:38], -v[33:34], v[35:36], 1.0
	v_fma_f64 v[35:36], v[35:36], v[37:38], v[35:36]
	v_fma_f64 v[37:38], -v[33:34], v[35:36], 1.0
	v_fma_f64 v[35:36], v[35:36], v[37:38], v[35:36]
	v_div_scale_f64 v[37:38], vcc, 1.0, v[29:30], 1.0
	v_mul_f64 v[43:44], v[37:38], v[35:36]
	v_fma_f64 v[33:34], -v[33:34], v[43:44], v[37:38]
	v_add_u32_e32 v37, v39, v40
	v_add_u32_e32 v1, s28, v37
	v_mov_b32_e32 v38, s9
	v_div_fmas_f64 v[33:34], v[33:34], v[35:36], v[43:44]
	v_lshlrev_b64 v[35:36], 3, v[1:2]
	v_add_u32_e32 v1, s29, v37
	v_add_co_u32_e32 v43, vcc, s8, v35
	v_addc_co_u32_e32 v44, vcc, v38, v36, vcc
	v_lshlrev_b64 v[35:36], 3, v[1:2]
	v_add_u32_e32 v1, s30, v37
	v_add_co_u32_e32 v45, vcc, s8, v35
	v_addc_co_u32_e32 v46, vcc, v38, v36, vcc
	v_lshlrev_b64 v[35:36], 3, v[1:2]
	v_add_u32_e32 v1, s31, v37
	v_add_co_u32_e32 v47, vcc, s8, v35
	v_div_fixup_f64 v[29:30], v[33:34], v[29:30], 1.0
	global_load_dwordx2 v[33:34], v[43:44], off
	v_addc_co_u32_e32 v48, vcc, v38, v36, vcc
	v_lshlrev_b64 v[35:36], 3, v[1:2]
	v_add_co_u32_e32 v49, vcc, s8, v35
	v_addc_co_u32_e32 v50, vcc, v38, v36, vcc
	global_load_dwordx2 v[37:38], v[45:46], off
	global_load_dwordx2 v[51:52], v[47:48], off
	;; [unrolled: 1-line block ×3, first 2 shown]
	s_waitcnt vmcnt(7)
	v_mul_f64 v[31:32], v[29:30], v[31:32]
	s_waitcnt vmcnt(3)
	v_mul_f64 v[35:36], v[29:30], v[33:34]
	;; [unrolled: 2-line block ×3, first 2 shown]
	v_mul_f64 v[33:34], v[13:14], v[35:36]
	v_fma_f64 v[33:34], v[7:8], v[31:32], -v[33:34]
	global_store_dwordx2 v[21:22], v[33:34], off
	v_mul_f64 v[33:34], v[29:30], v[23:24]
	v_mul_f64 v[21:22], v[13:14], v[37:38]
	v_fma_f64 v[21:22], v[7:8], v[33:34], -v[21:22]
	global_store_dwordx2 v[17:18], v[21:22], off
	s_waitcnt vmcnt(3)
	v_mul_f64 v[21:22], v[29:30], v[51:52]
	v_mul_f64 v[17:18], v[29:30], v[25:26]
	;; [unrolled: 1-line block ×3, first 2 shown]
	v_fma_f64 v[23:24], v[7:8], v[17:18], -v[23:24]
	global_store_dwordx2 v[19:20], v[23:24], off
	s_waitcnt vmcnt(3)
	v_mul_f64 v[19:20], v[29:30], v[53:54]
	v_mul_f64 v[23:24], v[29:30], v[27:28]
	;; [unrolled: 1-line block ×3, first 2 shown]
	v_fma_f64 v[7:8], v[7:8], v[23:24], -v[13:14]
	v_mul_f64 v[13:14], v[3:4], v[17:18]
	global_store_dwordx2 v[15:16], v[7:8], off
	v_mul_f64 v[7:8], v[3:4], v[31:32]
	v_fma_f64 v[13:14], v[5:6], v[21:22], -v[13:14]
	v_fma_f64 v[7:8], v[5:6], v[35:36], -v[7:8]
	global_store_dwordx2 v[43:44], v[7:8], off
	v_mul_f64 v[7:8], v[3:4], v[33:34]
	v_fma_f64 v[7:8], v[5:6], v[37:38], -v[7:8]
	global_store_dwordx2 v[45:46], v[7:8], off
	v_mul_f64 v[7:8], v[3:4], v[23:24]
	v_fma_f64 v[15:16], v[5:6], v[19:20], -v[7:8]
	v_mov_b32_e32 v7, 0
	v_mov_b32_e32 v8, 0
	global_store_dwordx2 v[47:48], v[13:14], off
	global_store_dwordx2 v[49:50], v[15:16], off
	s_and_saveexec_b64 s[20:21], s[2:3]
	s_cbranch_execz .LBB141_16
; %bb.15:                               ;   in Loop: Header=BB141_5 Depth=1
	v_add_u32_e32 v7, v41, v40
	v_add_u32_e32 v1, s28, v7
	v_lshlrev_b64 v[13:14], 3, v[1:2]
	v_add_u32_e32 v1, s29, v7
	v_mov_b32_e32 v43, s9
	v_add_co_u32_e32 v13, vcc, s8, v13
	v_lshlrev_b64 v[15:16], 3, v[1:2]
	v_addc_co_u32_e32 v14, vcc, v43, v14, vcc
	v_add_co_u32_e32 v15, vcc, s8, v15
	v_addc_co_u32_e32 v16, vcc, v43, v16, vcc
	global_load_dwordx2 v[25:26], v[13:14], off
	global_load_dwordx2 v[27:28], v[15:16], off
	v_mul_f64 v[5:6], v[5:6], v[11:12]
	v_mul_f64 v[3:4], v[3:4], v[11:12]
	v_add_u32_e32 v1, s30, v7
	v_ashrrev_i32_e32 v8, 31, v7
	v_mul_f64 v[11:12], v[5:6], v[35:36]
	v_mul_f64 v[35:36], v[5:6], v[37:38]
	v_mov_b32_e32 v37, s15
	v_mul_f64 v[19:20], v[5:6], v[19:20]
	v_fma_f64 v[11:12], v[3:4], v[31:32], -v[11:12]
	v_fma_f64 v[31:32], v[3:4], v[33:34], -v[35:36]
	v_lshlrev_b64 v[35:36], 3, v[1:2]
	v_add_u32_e32 v1, s31, v7
	v_lshlrev_b64 v[33:34], 3, v[7:8]
	v_lshlrev_b64 v[7:8], 3, v[1:2]
	s_waitcnt vmcnt(1)
	v_add_f64 v[11:12], v[11:12], v[25:26]
	s_waitcnt vmcnt(0)
	v_add_f64 v[25:26], v[31:32], v[27:28]
	v_add_co_u32_e32 v27, vcc, s8, v35
	v_addc_co_u32_e32 v28, vcc, v43, v36, vcc
	v_add_co_u32_e32 v31, vcc, s8, v7
	v_addc_co_u32_e32 v32, vcc, v43, v8, vcc
	global_store_dwordx2 v[13:14], v[11:12], off
	global_store_dwordx2 v[15:16], v[25:26], off
	v_add_co_u32_e32 v13, vcc, s14, v33
	v_addc_co_u32_e32 v14, vcc, v37, v34, vcc
	global_load_dwordx2 v[7:8], v[27:28], off
	global_load_dwordx2 v[11:12], v[31:32], off
	v_mul_f64 v[15:16], v[5:6], v[21:22]
	global_load_dwordx2 v[13:14], v[13:14], off
	v_mul_f64 v[5:6], v[9:10], v[5:6]
	v_fma_f64 v[15:16], v[3:4], v[17:18], -v[15:16]
	v_fma_f64 v[3:4], v[3:4], v[23:24], -v[19:20]
	s_waitcnt vmcnt(2)
	v_add_f64 v[9:10], v[15:16], v[7:8]
	s_waitcnt vmcnt(1)
	v_add_f64 v[3:4], v[3:4], v[11:12]
	global_store_dwordx2 v[27:28], v[9:10], off
	global_store_dwordx2 v[31:32], v[3:4], off
	s_waitcnt vmcnt(2)
	v_fma_f64 v[7:8], -v[29:30], v[5:6], v[13:14]
.LBB141_16:                             ;   in Loop: Header=BB141_5 Depth=1
	s_or_b64 exec, exec, s[20:21]
	v_mov_b32_e32 v5, v7
	v_mov_b32_e32 v6, v8
                                        ; implicit-def: $vgpr3_vgpr4
                                        ; implicit-def: $vgpr7_vgpr8
                                        ; implicit-def: $vgpr29_vgpr30
                                        ; implicit-def: $vgpr21_vgpr22
                                        ; implicit-def: $vgpr31_vgpr32
                                        ; implicit-def: $vgpr17_vgpr18
                                        ; implicit-def: $vgpr23_vgpr24
                                        ; implicit-def: $vgpr19_vgpr20
                                        ; implicit-def: $vgpr25_vgpr26
                                        ; implicit-def: $vgpr15_vgpr16
                                        ; implicit-def: $vgpr27_vgpr28
.LBB141_17:                             ;   in Loop: Header=BB141_5 Depth=1
	s_or_saveexec_b64 s[2:3], s[4:5]
	v_mov_b32_e32 v1, s27
	s_xor_b64 exec, exec, s[2:3]
	s_cbranch_execz .LBB141_4
; %bb.18:                               ;   in Loop: Header=BB141_5 Depth=1
	v_div_scale_f64 v[9:10], s[4:5], v[5:6], v[5:6], 1.0
	v_rcp_f64_e32 v[11:12], v[9:10]
	v_fma_f64 v[13:14], -v[9:10], v[11:12], 1.0
	v_fma_f64 v[11:12], v[11:12], v[13:14], v[11:12]
	v_div_scale_f64 v[13:14], vcc, 1.0, v[5:6], 1.0
	v_fma_f64 v[33:34], -v[9:10], v[11:12], 1.0
	v_fma_f64 v[11:12], v[11:12], v[33:34], v[11:12]
	v_mul_f64 v[33:34], v[13:14], v[11:12]
	v_fma_f64 v[9:10], -v[9:10], v[33:34], v[13:14]
	v_div_fmas_f64 v[9:10], v[9:10], v[11:12], v[33:34]
	v_div_fixup_f64 v[5:6], v[9:10], v[5:6], 1.0
	s_waitcnt vmcnt(3)
	v_mul_f64 v[13:14], v[5:6], v[31:32]
	s_waitcnt vmcnt(2)
	v_mul_f64 v[23:24], v[5:6], v[23:24]
	;; [unrolled: 2-line block ×4, first 2 shown]
	global_store_dwordx2 v[21:22], v[13:14], off
	global_store_dwordx2 v[17:18], v[23:24], off
	;; [unrolled: 1-line block ×4, first 2 shown]
	s_and_saveexec_b64 s[4:5], s[0:1]
	s_cbranch_execz .LBB141_3
; %bb.19:                               ;   in Loop: Header=BB141_5 Depth=1
	v_add_u32_e32 v27, v39, v40
	v_add_u32_e32 v1, s28, v27
	v_lshlrev_b64 v[15:16], 3, v[1:2]
	v_add_u32_e32 v1, s29, v27
	v_mov_b32_e32 v31, s9
	v_add_co_u32_e32 v15, vcc, s8, v15
	v_lshlrev_b64 v[17:18], 3, v[1:2]
	v_addc_co_u32_e32 v16, vcc, v31, v16, vcc
	v_add_co_u32_e32 v17, vcc, s8, v17
	v_addc_co_u32_e32 v18, vcc, v31, v18, vcc
	global_load_dwordx2 v[19:20], v[15:16], off
	global_load_dwordx2 v[21:22], v[17:18], off
	v_add_u32_e32 v1, s30, v27
	v_lshlrev_b64 v[25:26], 3, v[1:2]
	v_add_u32_e32 v1, s31, v27
	v_lshlrev_b64 v[27:28], 3, v[1:2]
	s_waitcnt vmcnt(1)
	v_fma_f64 v[13:14], -v[3:4], v[13:14], v[19:20]
	s_waitcnt vmcnt(0)
	v_fma_f64 v[19:20], -v[3:4], v[23:24], v[21:22]
	v_add_co_u32_e32 v21, vcc, s8, v25
	v_addc_co_u32_e32 v22, vcc, v31, v26, vcc
	v_add_co_u32_e32 v23, vcc, s8, v27
	global_store_dwordx2 v[15:16], v[13:14], off
	global_store_dwordx2 v[17:18], v[19:20], off
	v_addc_co_u32_e32 v24, vcc, v31, v28, vcc
	global_load_dwordx2 v[13:14], v[21:22], off
	global_load_dwordx2 v[15:16], v[23:24], off
	s_waitcnt vmcnt(1)
	v_fma_f64 v[9:10], -v[3:4], v[9:10], v[13:14]
	s_waitcnt vmcnt(0)
	v_fma_f64 v[3:4], -v[3:4], v[11:12], v[15:16]
	global_store_dwordx2 v[21:22], v[9:10], off
	global_store_dwordx2 v[23:24], v[3:4], off
	s_branch .LBB141_3
.LBB141_20:
	s_or_b64 exec, exec, s[18:19]
	s_branch .LBB141_22
.LBB141_21:
	v_mov_b32_e32 v40, 0
.LBB141_22:
	v_subrev_u32_e32 v3, s22, v40
	v_add_u32_e32 v1, v3, v0
	v_ashrrev_i32_e32 v2, 31, v1
	v_lshlrev_b64 v[1:2], 2, v[1:2]
	s_waitcnt lgkmcnt(0)
	v_mov_b32_e32 v4, s17
	v_add_co_u32_e32 v1, vcc, s16, v1
	v_addc_co_u32_e32 v2, vcc, v4, v2, vcc
	s_waitcnt vmcnt(0)
	buffer_wbinvl1_vol
	global_load_dword v1, v[1:2], off
	s_waitcnt vmcnt(0)
	v_mul_lo_u32 v1, v1, s22
	v_sub_u32_e32 v7, v3, v1
	v_cmp_lt_i32_e32 vcc, -1, v7
	s_and_b64 exec, exec, vcc
	s_cbranch_execz .LBB141_29
; %bb.23:
	s_lshl_b32 s4, s24, 2
	s_add_i32 s5, s4, s23
	s_add_i32 s6, s5, s23
	s_add_i32 s7, s6, s23
	s_lshl_b32 s12, s22, 1
	s_mov_b64 s[0:1], 0
	v_mov_b32_e32 v8, s17
	v_mov_b32_e32 v9, s11
	;; [unrolled: 1-line block ×3, first 2 shown]
	s_branch .LBB141_25
.LBB141_24:                             ;   in Loop: Header=BB141_25 Depth=1
	s_or_b64 exec, exec, s[2:3]
	v_sub_u32_e32 v7, v7, v1
	v_cmp_gt_i32_e32 vcc, 0, v7
	s_or_b64 s[0:1], vcc, s[0:1]
	s_andn2_b64 exec, exec, s[0:1]
	s_cbranch_execz .LBB141_29
.LBB141_25:                             ; =>This Inner Loop Header: Depth=1
	v_add_u32_e32 v5, v7, v0
	v_ashrrev_i32_e32 v6, 31, v5
	s_waitcnt vmcnt(0)
	v_lshlrev_b64 v[3:4], 2, v[5:6]
	v_add_co_u32_e32 v3, vcc, s16, v3
	v_addc_co_u32_e32 v4, vcc, v8, v4, vcc
	global_load_dword v1, v[3:4], off
	v_lshlrev_b64 v[3:4], 3, v[5:6]
	v_add_co_u32_e32 v3, vcc, s10, v3
	v_addc_co_u32_e32 v4, vcc, v9, v4, vcc
	global_load_dwordx2 v[3:4], v[3:4], off
	s_waitcnt vmcnt(1)
	v_cmp_ne_u32_e32 vcc, 1, v1
	s_and_saveexec_b64 s[2:3], vcc
	s_xor_b64 s[2:3], exec, s[2:3]
	s_cbranch_execz .LBB141_27
; %bb.26:                               ;   in Loop: Header=BB141_25 Depth=1
	v_add_u32_e32 v6, v39, v7
	v_add_u32_e32 v1, s4, v6
	v_lshlrev_b64 v[10:11], 3, v[1:2]
	v_mov_b32_e32 v1, s9
	v_add_co_u32_e32 v10, vcc, s8, v10
	v_addc_co_u32_e32 v11, vcc, v1, v11, vcc
	v_add_u32_e32 v1, s5, v6
	v_lshlrev_b64 v[12:13], 3, v[1:2]
	v_add_u32_e32 v1, s6, v6
	v_lshlrev_b64 v[14:15], 3, v[1:2]
	;; [unrolled: 2-line block ×4, first 2 shown]
	v_mov_b32_e32 v1, s9
	v_add_co_u32_e32 v18, vcc, s8, v18
	v_addc_co_u32_e32 v19, vcc, v1, v19, vcc
	global_load_dwordx2 v[10:11], v[10:11], off
	v_add_co_u32_e32 v12, vcc, s8, v12
	global_load_dwordx2 v[20:21], v[18:19], off
	v_addc_co_u32_e32 v13, vcc, v1, v13, vcc
	v_mov_b32_e32 v6, s9
	v_add_co_u32_e32 v14, vcc, s8, v14
	v_addc_co_u32_e32 v15, vcc, v6, v15, vcc
	v_mov_b32_e32 v22, s9
	v_add_co_u32_e32 v16, vcc, s8, v16
	v_addc_co_u32_e32 v17, vcc, v22, v17, vcc
	global_load_dwordx2 v[22:23], v[12:13], off
	global_load_dwordx2 v[24:25], v[14:15], off
	;; [unrolled: 1-line block ×3, first 2 shown]
	v_add_u32_e32 v1, s5, v5
	v_lshlrev_b64 v[14:15], 3, v[1:2]
	v_add_u32_e32 v1, s6, v5
	v_add_co_u32_e32 v14, vcc, s8, v14
	v_addc_co_u32_e32 v15, vcc, v6, v15, vcc
	v_lshlrev_b64 v[16:17], 3, v[1:2]
	v_add_u32_e32 v1, s7, v5
	v_add_co_u32_e32 v16, vcc, s8, v16
	v_addc_co_u32_e32 v17, vcc, v6, v17, vcc
	v_lshlrev_b64 v[5:6], 3, v[1:2]
	v_subrev_u32_e32 v1, s22, v7
	v_add_co_u32_e32 v5, vcc, s8, v5
	s_waitcnt vmcnt(3)
	v_fma_f64 v[12:13], -v[3:4], v[10:11], v[20:21]
	global_store_dwordx2 v[18:19], v[12:13], off
	global_load_dwordx2 v[12:13], v[14:15], off
	s_waitcnt vmcnt(0)
	v_fma_f64 v[12:13], -v[3:4], v[22:23], v[12:13]
	global_store_dwordx2 v[14:15], v[12:13], off
	global_load_dwordx2 v[12:13], v[16:17], off
	v_mov_b32_e32 v14, s9
	v_addc_co_u32_e32 v6, vcc, v14, v6, vcc
	v_add_u32_e32 v14, v1, v0
	v_ashrrev_i32_e32 v15, 31, v14
	v_add_u32_e32 v1, s4, v14
	s_waitcnt vmcnt(0)
	v_fma_f64 v[12:13], -v[3:4], v[24:25], v[12:13]
	global_store_dwordx2 v[16:17], v[12:13], off
	global_load_dwordx2 v[12:13], v[5:6], off
	v_lshlrev_b64 v[15:16], 3, v[14:15]
	v_mov_b32_e32 v17, s9
	v_add_co_u32_e32 v15, vcc, s10, v15
	v_addc_co_u32_e32 v16, vcc, v9, v16, vcc
	s_waitcnt vmcnt(0)
	v_fma_f64 v[3:4], -v[3:4], v[26:27], v[12:13]
	global_load_dwordx2 v[12:13], v[15:16], off
	v_lshlrev_b64 v[15:16], 3, v[1:2]
	v_add_u32_e32 v1, s5, v14
	v_add_co_u32_e32 v15, vcc, s8, v15
	v_addc_co_u32_e32 v16, vcc, v17, v16, vcc
	global_store_dwordx2 v[5:6], v[3:4], off
	global_load_dwordx2 v[3:4], v[15:16], off
	v_lshlrev_b64 v[5:6], 3, v[1:2]
	v_add_u32_e32 v1, s6, v14
	v_add_co_u32_e32 v5, vcc, s8, v5
	s_waitcnt vmcnt(0)
	v_fma_f64 v[3:4], -v[12:13], v[10:11], v[3:4]
	v_mov_b32_e32 v10, s9
	v_addc_co_u32_e32 v6, vcc, v10, v6, vcc
	v_lshlrev_b64 v[10:11], 3, v[1:2]
	v_add_u32_e32 v1, s7, v14
	v_add_co_u32_e32 v10, vcc, s8, v10
	global_store_dwordx2 v[15:16], v[3:4], off
	global_load_dwordx2 v[3:4], v[5:6], off
	v_mov_b32_e32 v15, s9
	v_addc_co_u32_e32 v11, vcc, v15, v11, vcc
	s_waitcnt vmcnt(0)
	v_fma_f64 v[3:4], -v[12:13], v[22:23], v[3:4]
	global_store_dwordx2 v[5:6], v[3:4], off
	global_load_dwordx2 v[3:4], v[10:11], off
	v_lshlrev_b64 v[5:6], 3, v[1:2]
	s_waitcnt vmcnt(0)
	v_fma_f64 v[3:4], -v[12:13], v[24:25], v[3:4]
	global_store_dwordx2 v[10:11], v[3:4], off
	v_add_co_u32_e32 v3, vcc, s8, v5
	v_addc_co_u32_e32 v4, vcc, v15, v6, vcc
	global_load_dwordx2 v[5:6], v[3:4], off
	s_waitcnt vmcnt(0)
	v_fma_f64 v[5:6], -v[12:13], v[26:27], v[5:6]
	global_store_dwordx2 v[3:4], v[5:6], off
                                        ; implicit-def: $vgpr5
                                        ; implicit-def: $vgpr3_vgpr4
.LBB141_27:                             ;   in Loop: Header=BB141_25 Depth=1
	s_or_saveexec_b64 s[2:3], s[2:3]
	v_mov_b32_e32 v1, s12
	s_xor_b64 exec, exec, s[2:3]
	s_cbranch_execz .LBB141_24
; %bb.28:                               ;   in Loop: Header=BB141_25 Depth=1
	v_add_u32_e32 v6, v39, v7
	v_add_u32_e32 v1, s4, v6
	v_lshlrev_b64 v[10:11], 3, v[1:2]
	v_mov_b32_e32 v1, s9
	v_add_co_u32_e32 v10, vcc, s8, v10
	v_addc_co_u32_e32 v11, vcc, v1, v11, vcc
	v_add_u32_e32 v1, s4, v5
	v_lshlrev_b64 v[12:13], 3, v[1:2]
	v_mov_b32_e32 v1, s9
	v_add_co_u32_e32 v12, vcc, s8, v12
	v_addc_co_u32_e32 v13, vcc, v1, v13, vcc
	global_load_dwordx2 v[14:15], v[10:11], off
	global_load_dwordx2 v[16:17], v[12:13], off
	v_add_u32_e32 v1, s5, v6
	v_lshlrev_b64 v[10:11], 3, v[1:2]
	v_add_u32_e32 v1, s5, v5
	v_mov_b32_e32 v20, s9
	v_lshlrev_b64 v[18:19], 3, v[1:2]
	v_add_co_u32_e32 v10, vcc, s8, v10
	v_addc_co_u32_e32 v11, vcc, v20, v11, vcc
	v_mov_b32_e32 v21, s9
	v_add_u32_e32 v1, s6, v6
	s_waitcnt vmcnt(0)
	v_fma_f64 v[14:15], -v[3:4], v[14:15], v[16:17]
	v_add_co_u32_e32 v16, vcc, s8, v18
	v_addc_co_u32_e32 v17, vcc, v21, v19, vcc
	global_store_dwordx2 v[12:13], v[14:15], off
	global_load_dwordx2 v[12:13], v[10:11], off
	s_nop 0
	global_load_dwordx2 v[14:15], v[16:17], off
	v_lshlrev_b64 v[10:11], 3, v[1:2]
	v_add_u32_e32 v1, s6, v5
	v_lshlrev_b64 v[18:19], 3, v[1:2]
	v_add_co_u32_e32 v10, vcc, s8, v10
	v_addc_co_u32_e32 v11, vcc, v20, v11, vcc
	v_add_u32_e32 v1, s7, v6
	s_waitcnt vmcnt(0)
	v_fma_f64 v[12:13], -v[3:4], v[12:13], v[14:15]
	v_add_co_u32_e32 v14, vcc, s8, v18
	v_addc_co_u32_e32 v15, vcc, v21, v19, vcc
	v_mov_b32_e32 v18, s9
	v_mov_b32_e32 v19, s9
	global_store_dwordx2 v[16:17], v[12:13], off
	global_load_dwordx2 v[12:13], v[10:11], off
	s_nop 0
	global_load_dwordx2 v[16:17], v[14:15], off
	v_lshlrev_b64 v[10:11], 3, v[1:2]
	v_add_u32_e32 v1, s7, v5
	v_lshlrev_b64 v[5:6], 3, v[1:2]
	v_add_co_u32_e32 v10, vcc, s8, v10
	v_addc_co_u32_e32 v11, vcc, v18, v11, vcc
	v_add_co_u32_e32 v5, vcc, s8, v5
	v_addc_co_u32_e32 v6, vcc, v19, v6, vcc
	v_mov_b32_e32 v1, s22
	s_waitcnt vmcnt(0)
	v_fma_f64 v[12:13], -v[3:4], v[12:13], v[16:17]
	global_store_dwordx2 v[14:15], v[12:13], off
	global_load_dwordx2 v[12:13], v[10:11], off
	s_nop 0
	global_load_dwordx2 v[14:15], v[5:6], off
	s_waitcnt vmcnt(0)
	v_fma_f64 v[3:4], -v[3:4], v[12:13], v[14:15]
	global_store_dwordx2 v[5:6], v[3:4], off
	s_branch .LBB141_24
.LBB141_29:
	s_endpgm
	.section	.rodata,"a",@progbits
	.p2align	6, 0x0
	.amdhsa_kernel _ZN9rocsparseL19gtsv_LBM_rhs_kernelILj256ELj32ELj4EdEEviiiPKT2_S3_S3_PS1_S3_PKi
		.amdhsa_group_segment_fixed_size 0
		.amdhsa_private_segment_fixed_size 0
		.amdhsa_kernarg_size 64
		.amdhsa_user_sgpr_count 6
		.amdhsa_user_sgpr_private_segment_buffer 1
		.amdhsa_user_sgpr_dispatch_ptr 0
		.amdhsa_user_sgpr_queue_ptr 0
		.amdhsa_user_sgpr_kernarg_segment_ptr 1
		.amdhsa_user_sgpr_dispatch_id 0
		.amdhsa_user_sgpr_flat_scratch_init 0
		.amdhsa_user_sgpr_private_segment_size 0
		.amdhsa_uses_dynamic_stack 0
		.amdhsa_system_sgpr_private_segment_wavefront_offset 0
		.amdhsa_system_sgpr_workgroup_id_x 1
		.amdhsa_system_sgpr_workgroup_id_y 1
		.amdhsa_system_sgpr_workgroup_id_z 0
		.amdhsa_system_sgpr_workgroup_info 0
		.amdhsa_system_vgpr_workitem_id 0
		.amdhsa_next_free_vgpr 55
		.amdhsa_next_free_sgpr 32
		.amdhsa_reserve_vcc 1
		.amdhsa_reserve_flat_scratch 0
		.amdhsa_float_round_mode_32 0
		.amdhsa_float_round_mode_16_64 0
		.amdhsa_float_denorm_mode_32 3
		.amdhsa_float_denorm_mode_16_64 3
		.amdhsa_dx10_clamp 1
		.amdhsa_ieee_mode 1
		.amdhsa_fp16_overflow 0
		.amdhsa_exception_fp_ieee_invalid_op 0
		.amdhsa_exception_fp_denorm_src 0
		.amdhsa_exception_fp_ieee_div_zero 0
		.amdhsa_exception_fp_ieee_overflow 0
		.amdhsa_exception_fp_ieee_underflow 0
		.amdhsa_exception_fp_ieee_inexact 0
		.amdhsa_exception_int_div_zero 0
	.end_amdhsa_kernel
	.section	.text._ZN9rocsparseL19gtsv_LBM_rhs_kernelILj256ELj32ELj4EdEEviiiPKT2_S3_S3_PS1_S3_PKi,"axG",@progbits,_ZN9rocsparseL19gtsv_LBM_rhs_kernelILj256ELj32ELj4EdEEviiiPKT2_S3_S3_PS1_S3_PKi,comdat
.Lfunc_end141:
	.size	_ZN9rocsparseL19gtsv_LBM_rhs_kernelILj256ELj32ELj4EdEEviiiPKT2_S3_S3_PS1_S3_PKi, .Lfunc_end141-_ZN9rocsparseL19gtsv_LBM_rhs_kernelILj256ELj32ELj4EdEEviiiPKT2_S3_S3_PS1_S3_PKi
                                        ; -- End function
	.set _ZN9rocsparseL19gtsv_LBM_rhs_kernelILj256ELj32ELj4EdEEviiiPKT2_S3_S3_PS1_S3_PKi.num_vgpr, 55
	.set _ZN9rocsparseL19gtsv_LBM_rhs_kernelILj256ELj32ELj4EdEEviiiPKT2_S3_S3_PS1_S3_PKi.num_agpr, 0
	.set _ZN9rocsparseL19gtsv_LBM_rhs_kernelILj256ELj32ELj4EdEEviiiPKT2_S3_S3_PS1_S3_PKi.numbered_sgpr, 32
	.set _ZN9rocsparseL19gtsv_LBM_rhs_kernelILj256ELj32ELj4EdEEviiiPKT2_S3_S3_PS1_S3_PKi.num_named_barrier, 0
	.set _ZN9rocsparseL19gtsv_LBM_rhs_kernelILj256ELj32ELj4EdEEviiiPKT2_S3_S3_PS1_S3_PKi.private_seg_size, 0
	.set _ZN9rocsparseL19gtsv_LBM_rhs_kernelILj256ELj32ELj4EdEEviiiPKT2_S3_S3_PS1_S3_PKi.uses_vcc, 1
	.set _ZN9rocsparseL19gtsv_LBM_rhs_kernelILj256ELj32ELj4EdEEviiiPKT2_S3_S3_PS1_S3_PKi.uses_flat_scratch, 0
	.set _ZN9rocsparseL19gtsv_LBM_rhs_kernelILj256ELj32ELj4EdEEviiiPKT2_S3_S3_PS1_S3_PKi.has_dyn_sized_stack, 0
	.set _ZN9rocsparseL19gtsv_LBM_rhs_kernelILj256ELj32ELj4EdEEviiiPKT2_S3_S3_PS1_S3_PKi.has_recursion, 0
	.set _ZN9rocsparseL19gtsv_LBM_rhs_kernelILj256ELj32ELj4EdEEviiiPKT2_S3_S3_PS1_S3_PKi.has_indirect_call, 0
	.section	.AMDGPU.csdata,"",@progbits
; Kernel info:
; codeLenInByte = 3096
; TotalNumSgprs: 36
; NumVgprs: 55
; ScratchSize: 0
; MemoryBound: 0
; FloatMode: 240
; IeeeMode: 1
; LDSByteSize: 0 bytes/workgroup (compile time only)
; SGPRBlocks: 4
; VGPRBlocks: 13
; NumSGPRsForWavesPerEU: 36
; NumVGPRsForWavesPerEU: 55
; Occupancy: 4
; WaveLimiterHint : 0
; COMPUTE_PGM_RSRC2:SCRATCH_EN: 0
; COMPUTE_PGM_RSRC2:USER_SGPR: 6
; COMPUTE_PGM_RSRC2:TRAP_HANDLER: 0
; COMPUTE_PGM_RSRC2:TGID_X_EN: 1
; COMPUTE_PGM_RSRC2:TGID_Y_EN: 1
; COMPUTE_PGM_RSRC2:TGID_Z_EN: 0
; COMPUTE_PGM_RSRC2:TIDIG_COMP_CNT: 0
	.section	.text._ZN9rocsparseL19gtsv_LBM_rhs_kernelILj256ELj32ELj2EdEEviiiPKT2_S3_S3_PS1_S3_PKi,"axG",@progbits,_ZN9rocsparseL19gtsv_LBM_rhs_kernelILj256ELj32ELj2EdEEviiiPKT2_S3_S3_PS1_S3_PKi,comdat
	.globl	_ZN9rocsparseL19gtsv_LBM_rhs_kernelILj256ELj32ELj2EdEEviiiPKT2_S3_S3_PS1_S3_PKi ; -- Begin function _ZN9rocsparseL19gtsv_LBM_rhs_kernelILj256ELj32ELj2EdEEviiiPKT2_S3_S3_PS1_S3_PKi
	.p2align	8
	.type	_ZN9rocsparseL19gtsv_LBM_rhs_kernelILj256ELj32ELj2EdEEviiiPKT2_S3_S3_PS1_S3_PKi,@function
_ZN9rocsparseL19gtsv_LBM_rhs_kernelILj256ELj32ELj2EdEEviiiPKT2_S3_S3_PS1_S3_PKi: ; @_ZN9rocsparseL19gtsv_LBM_rhs_kernelILj256ELj32ELj2EdEEviiiPKT2_S3_S3_PS1_S3_PKi
; %bb.0:
	s_load_dword s23, s[4:5], 0x0
	v_lshl_or_b32 v0, s6, 8, v0
	s_waitcnt lgkmcnt(0)
	s_lshr_b32 s22, s23, 5
	v_cmp_gt_i32_e32 vcc, s22, v0
	s_and_saveexec_b64 s[0:1], vcc
	s_cbranch_execz .LBB142_29
; %bb.1:
	s_load_dwordx4 s[8:11], s[4:5], 0x28
	s_load_dwordx2 s[16:17], s[4:5], 0x38
	s_cmp_lt_i32 s23, 1
	v_add_u32_e32 v29, s22, v0
	s_mul_i32 s24, s7, s23
	s_cbranch_scc1 .LBB142_21
; %bb.2:
	s_load_dwordx4 s[12:15], s[4:5], 0x10
	s_load_dwordx2 s[6:7], s[4:5], 0x20
	v_ashrrev_i32_e32 v1, 31, v0
	v_lshlrev_b64 v[1:2], 3, v[0:1]
	s_lshl_b32 s28, s24, 1
	s_waitcnt lgkmcnt(0)
	v_mov_b32_e32 v3, s15
	v_add_co_u32_e32 v1, vcc, s14, v1
	v_addc_co_u32_e32 v2, vcc, v3, v2, vcc
	global_load_dwordx2 v[3:4], v[1:2], off
	s_mul_i32 s25, s22, 31
	s_mul_i32 s26, s22, 30
	s_lshl_b32 s27, s22, 1
	v_add_u32_e32 v31, s22, v29
	s_add_i32 s29, s28, s23
	v_mov_b32_e32 v2, 0
	s_mov_b64 s[18:19], 0
	v_mov_b32_e32 v32, s7
	v_mov_b32_e32 v30, 0
	s_branch .LBB142_5
.LBB142_3:                              ;   in Loop: Header=BB142_5 Depth=1
	s_or_b64 exec, exec, s[4:5]
	v_fma_f64 v[3:4], -v[3:4], v[21:22], v[7:8]
	v_mov_b32_e32 v1, s22
.LBB142_4:                              ;   in Loop: Header=BB142_5 Depth=1
	s_or_b64 exec, exec, s[2:3]
	v_add_u32_e32 v30, v1, v30
	v_cmp_le_i32_e32 vcc, s23, v30
	s_or_b64 s[18:19], vcc, s[18:19]
	s_andn2_b64 exec, exec, s[18:19]
	s_cbranch_execz .LBB142_20
.LBB142_5:                              ; =>This Inner Loop Header: Depth=1
	v_add_u32_e32 v17, v30, v0
	v_ashrrev_i32_e32 v18, 31, v17
	v_lshlrev_b64 v[5:6], 3, v[17:18]
	v_mov_b32_e32 v7, 0
	v_add_co_u32_e32 v5, vcc, s6, v5
	v_addc_co_u32_e32 v6, vcc, v32, v6, vcc
	global_load_dwordx2 v[13:14], v[5:6], off
	v_mov_b32_e32 v5, 0
	v_mov_b32_e32 v8, 0
	;; [unrolled: 1-line block ×3, first 2 shown]
	v_cmp_gt_u32_e64 s[0:1], s25, v30
	s_and_saveexec_b64 s[2:3], s[0:1]
	s_cbranch_execz .LBB142_7
; %bb.6:                                ;   in Loop: Header=BB142_5 Depth=1
	v_add_u32_e32 v5, v29, v30
	v_ashrrev_i32_e32 v6, 31, v5
	v_lshlrev_b64 v[5:6], 3, v[5:6]
	v_mov_b32_e32 v1, s13
	v_add_co_u32_e32 v5, vcc, s12, v5
	v_addc_co_u32_e32 v6, vcc, v1, v6, vcc
	global_load_dwordx2 v[5:6], v[5:6], off
.LBB142_7:                              ;   in Loop: Header=BB142_5 Depth=1
	s_or_b64 exec, exec, s[2:3]
	s_and_saveexec_b64 s[2:3], s[0:1]
	s_cbranch_execz .LBB142_9
; %bb.8:                                ;   in Loop: Header=BB142_5 Depth=1
	v_add_u32_e32 v7, v29, v30
	v_ashrrev_i32_e32 v8, 31, v7
	v_lshlrev_b64 v[7:8], 3, v[7:8]
	v_mov_b32_e32 v1, s15
	v_add_co_u32_e32 v7, vcc, s14, v7
	v_addc_co_u32_e32 v8, vcc, v1, v8, vcc
	global_load_dwordx2 v[7:8], v[7:8], off
.LBB142_9:                              ;   in Loop: Header=BB142_5 Depth=1
	s_or_b64 exec, exec, s[2:3]
	v_mov_b32_e32 v11, 0
	v_mov_b32_e32 v9, 0
	;; [unrolled: 1-line block ×4, first 2 shown]
	s_and_saveexec_b64 s[2:3], s[0:1]
	s_cbranch_execz .LBB142_11
; %bb.10:                               ;   in Loop: Header=BB142_5 Depth=1
	v_add_u32_e32 v9, v29, v30
	v_ashrrev_i32_e32 v10, 31, v9
	v_lshlrev_b64 v[9:10], 3, v[9:10]
	v_mov_b32_e32 v1, s7
	v_add_co_u32_e32 v9, vcc, s6, v9
	v_addc_co_u32_e32 v10, vcc, v1, v10, vcc
	global_load_dwordx2 v[9:10], v[9:10], off
.LBB142_11:                             ;   in Loop: Header=BB142_5 Depth=1
	s_or_b64 exec, exec, s[2:3]
	v_cmp_gt_u32_e64 s[2:3], s26, v30
	s_and_saveexec_b64 s[4:5], s[2:3]
	s_cbranch_execz .LBB142_13
; %bb.12:                               ;   in Loop: Header=BB142_5 Depth=1
	v_add_u32_e32 v11, v31, v30
	v_ashrrev_i32_e32 v12, 31, v11
	v_lshlrev_b64 v[11:12], 3, v[11:12]
	v_mov_b32_e32 v1, s13
	v_add_co_u32_e32 v11, vcc, s12, v11
	v_addc_co_u32_e32 v12, vcc, v1, v12, vcc
	global_load_dwordx2 v[11:12], v[11:12], off
.LBB142_13:                             ;   in Loop: Header=BB142_5 Depth=1
	s_or_b64 exec, exec, s[4:5]
	v_lshlrev_b64 v[15:16], 2, v[17:18]
	v_mov_b32_e32 v1, s17
	v_add_co_u32_e32 v15, vcc, s16, v15
	v_addc_co_u32_e32 v16, vcc, v1, v16, vcc
	global_load_dword v1, v[15:16], off
	v_cmp_ne_u32_e64 s[4:5], s25, v30
	s_waitcnt vmcnt(2)
	v_mov_b32_e32 v19, s9
	s_waitcnt vmcnt(1)
	v_mul_f64 v[21:22], v[13:14], v[5:6]
	s_waitcnt vmcnt(0)
	v_cmp_ne_u32_e32 vcc, 1, v1
	v_add_u32_e32 v1, s28, v17
	v_lshlrev_b64 v[15:16], 3, v[1:2]
	v_add_u32_e32 v1, s29, v17
	s_and_b64 s[4:5], s[4:5], vcc
	v_add_co_u32_e32 v15, vcc, s8, v15
	v_lshlrev_b64 v[17:18], 3, v[1:2]
	v_addc_co_u32_e32 v16, vcc, v19, v16, vcc
	v_add_co_u32_e32 v17, vcc, s8, v17
	v_addc_co_u32_e32 v18, vcc, v19, v18, vcc
	global_load_dwordx2 v[23:24], v[15:16], off
	global_load_dwordx2 v[19:20], v[17:18], off
	s_and_saveexec_b64 s[20:21], s[4:5]
	s_xor_b64 s[4:5], exec, s[20:21]
	s_cbranch_execz .LBB142_17
; %bb.14:                               ;   in Loop: Header=BB142_5 Depth=1
	v_fma_f64 v[21:22], v[3:4], v[7:8], -v[21:22]
	v_div_scale_f64 v[25:26], s[20:21], v[21:22], v[21:22], 1.0
	v_rcp_f64_e32 v[27:28], v[25:26]
	v_fma_f64 v[33:34], -v[25:26], v[27:28], 1.0
	v_fma_f64 v[27:28], v[27:28], v[33:34], v[27:28]
	v_fma_f64 v[33:34], -v[25:26], v[27:28], 1.0
	v_fma_f64 v[27:28], v[27:28], v[33:34], v[27:28]
	v_div_scale_f64 v[33:34], vcc, 1.0, v[21:22], 1.0
	v_mul_f64 v[35:36], v[33:34], v[27:28]
	v_fma_f64 v[25:26], -v[25:26], v[35:36], v[33:34]
	s_nop 1
	v_div_fmas_f64 v[25:26], v[25:26], v[27:28], v[35:36]
	v_add_u32_e32 v35, v29, v30
	v_add_u32_e32 v1, s28, v35
	v_lshlrev_b64 v[27:28], 3, v[1:2]
	v_mov_b32_e32 v36, s9
	v_add_co_u32_e32 v33, vcc, s8, v27
	v_addc_co_u32_e32 v34, vcc, v36, v28, vcc
	v_add_u32_e32 v1, s29, v35
	v_lshlrev_b64 v[27:28], 3, v[1:2]
	v_add_co_u32_e32 v35, vcc, s8, v27
	v_addc_co_u32_e32 v36, vcc, v36, v28, vcc
	v_div_fixup_f64 v[21:22], v[25:26], v[21:22], 1.0
	global_load_dwordx2 v[25:26], v[33:34], off
	global_load_dwordx2 v[37:38], v[35:36], off
	s_waitcnt vmcnt(3)
	v_mul_f64 v[23:24], v[21:22], v[23:24]
	s_waitcnt vmcnt(1)
	v_mul_f64 v[25:26], v[21:22], v[25:26]
	v_mul_f64 v[27:28], v[13:14], v[25:26]
	v_fma_f64 v[27:28], v[7:8], v[23:24], -v[27:28]
	global_store_dwordx2 v[15:16], v[27:28], off
	s_waitcnt vmcnt(1)
	v_mul_f64 v[27:28], v[21:22], v[37:38]
	v_mul_f64 v[15:16], v[21:22], v[19:20]
	v_mul_f64 v[13:14], v[13:14], v[27:28]
	v_fma_f64 v[7:8], v[7:8], v[15:16], -v[13:14]
	global_store_dwordx2 v[17:18], v[7:8], off
	v_mul_f64 v[7:8], v[5:6], v[23:24]
	v_fma_f64 v[7:8], v[3:4], v[25:26], -v[7:8]
	global_store_dwordx2 v[33:34], v[7:8], off
	v_mul_f64 v[7:8], v[5:6], v[15:16]
	v_fma_f64 v[13:14], v[3:4], v[27:28], -v[7:8]
	v_mov_b32_e32 v7, 0
	v_mov_b32_e32 v8, 0
	global_store_dwordx2 v[35:36], v[13:14], off
	s_and_saveexec_b64 s[20:21], s[2:3]
	s_cbranch_execz .LBB142_16
; %bb.15:                               ;   in Loop: Header=BB142_5 Depth=1
	v_add_u32_e32 v7, v31, v30
	v_add_u32_e32 v1, s28, v7
	v_lshlrev_b64 v[13:14], 3, v[1:2]
	v_add_u32_e32 v1, s29, v7
	v_mov_b32_e32 v8, s9
	v_add_co_u32_e32 v13, vcc, s8, v13
	v_lshlrev_b64 v[17:18], 3, v[1:2]
	v_addc_co_u32_e32 v14, vcc, v8, v14, vcc
	v_add_co_u32_e32 v17, vcc, s8, v17
	v_addc_co_u32_e32 v18, vcc, v8, v18, vcc
	v_ashrrev_i32_e32 v8, 31, v7
	v_lshlrev_b64 v[7:8], 3, v[7:8]
	v_mov_b32_e32 v1, s15
	v_add_co_u32_e32 v7, vcc, s14, v7
	v_addc_co_u32_e32 v8, vcc, v1, v8, vcc
	global_load_dwordx2 v[19:20], v[13:14], off
	global_load_dwordx2 v[33:34], v[17:18], off
	v_mul_f64 v[3:4], v[3:4], v[11:12]
	global_load_dwordx2 v[7:8], v[7:8], off
	v_mul_f64 v[5:6], v[5:6], v[11:12]
	v_mul_f64 v[11:12], v[3:4], v[25:26]
	;; [unrolled: 1-line block ×4, first 2 shown]
	v_fma_f64 v[11:12], v[5:6], v[23:24], -v[11:12]
	v_fma_f64 v[5:6], v[5:6], v[15:16], -v[25:26]
	s_waitcnt vmcnt(2)
	v_add_f64 v[9:10], v[11:12], v[19:20]
	s_waitcnt vmcnt(1)
	v_add_f64 v[5:6], v[5:6], v[33:34]
	global_store_dwordx2 v[13:14], v[9:10], off
	global_store_dwordx2 v[17:18], v[5:6], off
	s_waitcnt vmcnt(2)
	v_fma_f64 v[7:8], -v[21:22], v[3:4], v[7:8]
.LBB142_16:                             ;   in Loop: Header=BB142_5 Depth=1
	s_or_b64 exec, exec, s[20:21]
	v_mov_b32_e32 v3, v7
	v_mov_b32_e32 v4, v8
                                        ; implicit-def: $vgpr21_vgpr22
                                        ; implicit-def: $vgpr7_vgpr8
                                        ; implicit-def: $vgpr23_vgpr24
                                        ; implicit-def: $vgpr19_vgpr20
                                        ; implicit-def: $vgpr15_vgpr16
                                        ; implicit-def: $vgpr17_vgpr18
                                        ; implicit-def: $vgpr5_vgpr6
.LBB142_17:                             ;   in Loop: Header=BB142_5 Depth=1
	s_or_saveexec_b64 s[2:3], s[4:5]
	v_mov_b32_e32 v1, s27
	s_xor_b64 exec, exec, s[2:3]
	s_cbranch_execz .LBB142_4
; %bb.18:                               ;   in Loop: Header=BB142_5 Depth=1
	v_div_scale_f64 v[9:10], s[4:5], v[3:4], v[3:4], 1.0
	v_rcp_f64_e32 v[11:12], v[9:10]
	v_fma_f64 v[13:14], -v[9:10], v[11:12], 1.0
	v_fma_f64 v[11:12], v[11:12], v[13:14], v[11:12]
	v_div_scale_f64 v[13:14], vcc, 1.0, v[3:4], 1.0
	v_fma_f64 v[25:26], -v[9:10], v[11:12], 1.0
	v_fma_f64 v[11:12], v[11:12], v[25:26], v[11:12]
	v_mul_f64 v[25:26], v[13:14], v[11:12]
	v_fma_f64 v[9:10], -v[9:10], v[25:26], v[13:14]
	v_div_fmas_f64 v[9:10], v[9:10], v[11:12], v[25:26]
	v_div_fixup_f64 v[3:4], v[9:10], v[3:4], 1.0
	s_waitcnt vmcnt(1)
	v_mul_f64 v[9:10], v[3:4], v[23:24]
	s_waitcnt vmcnt(0)
	v_mul_f64 v[11:12], v[3:4], v[19:20]
	global_store_dwordx2 v[15:16], v[9:10], off
	global_store_dwordx2 v[17:18], v[11:12], off
	s_and_saveexec_b64 s[4:5], s[0:1]
	s_cbranch_execz .LBB142_3
; %bb.19:                               ;   in Loop: Header=BB142_5 Depth=1
	v_add_u32_e32 v15, v29, v30
	v_add_u32_e32 v1, s28, v15
	v_lshlrev_b64 v[13:14], 3, v[1:2]
	v_add_u32_e32 v1, s29, v15
	v_mov_b32_e32 v17, s9
	v_add_co_u32_e32 v13, vcc, s8, v13
	v_lshlrev_b64 v[15:16], 3, v[1:2]
	v_addc_co_u32_e32 v14, vcc, v17, v14, vcc
	v_add_co_u32_e32 v15, vcc, s8, v15
	v_addc_co_u32_e32 v16, vcc, v17, v16, vcc
	global_load_dwordx2 v[17:18], v[13:14], off
	global_load_dwordx2 v[19:20], v[15:16], off
	s_waitcnt vmcnt(1)
	v_fma_f64 v[9:10], -v[5:6], v[9:10], v[17:18]
	s_waitcnt vmcnt(0)
	v_fma_f64 v[5:6], -v[5:6], v[11:12], v[19:20]
	global_store_dwordx2 v[13:14], v[9:10], off
	global_store_dwordx2 v[15:16], v[5:6], off
	s_branch .LBB142_3
.LBB142_20:
	s_or_b64 exec, exec, s[18:19]
	s_branch .LBB142_22
.LBB142_21:
	v_mov_b32_e32 v30, 0
.LBB142_22:
	v_subrev_u32_e32 v3, s22, v30
	v_add_u32_e32 v1, v3, v0
	v_ashrrev_i32_e32 v2, 31, v1
	v_lshlrev_b64 v[1:2], 2, v[1:2]
	s_waitcnt lgkmcnt(0)
	v_mov_b32_e32 v4, s17
	v_add_co_u32_e32 v1, vcc, s16, v1
	v_addc_co_u32_e32 v2, vcc, v4, v2, vcc
	s_waitcnt vmcnt(0)
	buffer_wbinvl1_vol
	global_load_dword v1, v[1:2], off
	s_waitcnt vmcnt(0)
	v_mul_lo_u32 v1, v1, s22
	v_sub_u32_e32 v7, v3, v1
	v_cmp_lt_i32_e32 vcc, -1, v7
	s_and_b64 exec, exec, vcc
	s_cbranch_execz .LBB142_29
; %bb.23:
	s_lshl_b32 s4, s24, 1
	s_add_i32 s5, s4, s23
	s_lshl_b32 s6, s22, 1
	s_mov_b64 s[0:1], 0
	v_mov_b32_e32 v8, s17
	v_mov_b32_e32 v9, s11
	;; [unrolled: 1-line block ×3, first 2 shown]
	s_branch .LBB142_25
.LBB142_24:                             ;   in Loop: Header=BB142_25 Depth=1
	s_or_b64 exec, exec, s[2:3]
	v_sub_u32_e32 v7, v7, v1
	v_cmp_gt_i32_e32 vcc, 0, v7
	s_or_b64 s[0:1], vcc, s[0:1]
	s_andn2_b64 exec, exec, s[0:1]
	s_cbranch_execz .LBB142_29
.LBB142_25:                             ; =>This Inner Loop Header: Depth=1
	v_add_u32_e32 v5, v7, v0
	v_ashrrev_i32_e32 v6, 31, v5
	s_waitcnt vmcnt(0)
	v_lshlrev_b64 v[3:4], 2, v[5:6]
	v_add_co_u32_e32 v3, vcc, s16, v3
	v_addc_co_u32_e32 v4, vcc, v8, v4, vcc
	global_load_dword v1, v[3:4], off
	v_lshlrev_b64 v[3:4], 3, v[5:6]
	v_add_co_u32_e32 v3, vcc, s10, v3
	v_addc_co_u32_e32 v4, vcc, v9, v4, vcc
	global_load_dwordx2 v[3:4], v[3:4], off
	s_waitcnt vmcnt(1)
	v_cmp_ne_u32_e32 vcc, 1, v1
	s_and_saveexec_b64 s[2:3], vcc
	s_xor_b64 s[2:3], exec, s[2:3]
	s_cbranch_execz .LBB142_27
; %bb.26:                               ;   in Loop: Header=BB142_25 Depth=1
	v_add_u32_e32 v6, v29, v7
	v_add_u32_e32 v1, s4, v6
	v_lshlrev_b64 v[10:11], 3, v[1:2]
	v_mov_b32_e32 v1, s9
	v_add_co_u32_e32 v10, vcc, s8, v10
	v_addc_co_u32_e32 v11, vcc, v1, v11, vcc
	v_add_u32_e32 v1, s5, v6
	v_lshlrev_b64 v[12:13], 3, v[1:2]
	v_add_u32_e32 v1, s4, v5
	v_lshlrev_b64 v[14:15], 3, v[1:2]
	v_mov_b32_e32 v1, s9
	v_add_co_u32_e32 v14, vcc, s8, v14
	v_addc_co_u32_e32 v15, vcc, v1, v15, vcc
	global_load_dwordx2 v[16:17], v[10:11], off
	global_load_dwordx2 v[18:19], v[14:15], off
	v_add_co_u32_e32 v10, vcc, s8, v12
	v_addc_co_u32_e32 v11, vcc, v1, v13, vcc
	v_add_u32_e32 v1, s5, v5
	v_lshlrev_b64 v[5:6], 3, v[1:2]
	global_load_dwordx2 v[10:11], v[10:11], off
	v_add_co_u32_e32 v5, vcc, s8, v5
	v_subrev_u32_e32 v1, s22, v7
	v_mov_b32_e32 v20, s9
	s_waitcnt vmcnt(1)
	v_fma_f64 v[12:13], -v[3:4], v[16:17], v[18:19]
	v_mov_b32_e32 v18, s9
	v_addc_co_u32_e32 v6, vcc, v18, v6, vcc
	global_store_dwordx2 v[14:15], v[12:13], off
	global_load_dwordx2 v[12:13], v[5:6], off
	v_add_u32_e32 v14, v1, v0
	v_ashrrev_i32_e32 v15, 31, v14
	v_lshlrev_b64 v[18:19], 3, v[14:15]
	v_add_u32_e32 v1, s4, v14
	v_add_co_u32_e32 v18, vcc, s10, v18
	v_addc_co_u32_e32 v19, vcc, v9, v19, vcc
	v_mov_b32_e32 v15, s9
	s_waitcnt vmcnt(0)
	v_fma_f64 v[3:4], -v[3:4], v[10:11], v[12:13]
	global_load_dwordx2 v[12:13], v[18:19], off
	v_lshlrev_b64 v[18:19], 3, v[1:2]
	v_add_u32_e32 v1, s5, v14
	v_add_co_u32_e32 v18, vcc, s8, v18
	v_addc_co_u32_e32 v19, vcc, v20, v19, vcc
	global_store_dwordx2 v[5:6], v[3:4], off
	global_load_dwordx2 v[3:4], v[18:19], off
	v_lshlrev_b64 v[5:6], 3, v[1:2]
	s_waitcnt vmcnt(0)
	v_fma_f64 v[3:4], -v[12:13], v[16:17], v[3:4]
	global_store_dwordx2 v[18:19], v[3:4], off
	v_add_co_u32_e32 v3, vcc, s8, v5
	v_addc_co_u32_e32 v4, vcc, v15, v6, vcc
	global_load_dwordx2 v[5:6], v[3:4], off
	s_waitcnt vmcnt(0)
	v_fma_f64 v[5:6], -v[12:13], v[10:11], v[5:6]
	global_store_dwordx2 v[3:4], v[5:6], off
                                        ; implicit-def: $vgpr5
                                        ; implicit-def: $vgpr3_vgpr4
.LBB142_27:                             ;   in Loop: Header=BB142_25 Depth=1
	s_or_saveexec_b64 s[2:3], s[2:3]
	v_mov_b32_e32 v1, s6
	s_xor_b64 exec, exec, s[2:3]
	s_cbranch_execz .LBB142_24
; %bb.28:                               ;   in Loop: Header=BB142_25 Depth=1
	v_add_u32_e32 v6, v29, v7
	v_add_u32_e32 v1, s4, v6
	v_lshlrev_b64 v[10:11], 3, v[1:2]
	v_mov_b32_e32 v1, s9
	v_add_co_u32_e32 v10, vcc, s8, v10
	v_addc_co_u32_e32 v11, vcc, v1, v11, vcc
	v_add_u32_e32 v1, s4, v5
	v_lshlrev_b64 v[12:13], 3, v[1:2]
	v_mov_b32_e32 v1, s9
	v_add_co_u32_e32 v12, vcc, s8, v12
	v_addc_co_u32_e32 v13, vcc, v1, v13, vcc
	global_load_dwordx2 v[14:15], v[10:11], off
	global_load_dwordx2 v[16:17], v[12:13], off
	v_add_u32_e32 v1, s5, v6
	v_lshlrev_b64 v[10:11], 3, v[1:2]
	v_add_u32_e32 v1, s5, v5
	v_mov_b32_e32 v18, s9
	v_lshlrev_b64 v[5:6], 3, v[1:2]
	v_add_co_u32_e32 v10, vcc, s8, v10
	v_addc_co_u32_e32 v11, vcc, v18, v11, vcc
	v_mov_b32_e32 v19, s9
	v_add_co_u32_e32 v5, vcc, s8, v5
	v_addc_co_u32_e32 v6, vcc, v19, v6, vcc
	v_mov_b32_e32 v1, s22
	s_waitcnt vmcnt(0)
	v_fma_f64 v[14:15], -v[3:4], v[14:15], v[16:17]
	global_store_dwordx2 v[12:13], v[14:15], off
	global_load_dwordx2 v[12:13], v[10:11], off
	s_nop 0
	global_load_dwordx2 v[14:15], v[5:6], off
	s_waitcnt vmcnt(0)
	v_fma_f64 v[3:4], -v[3:4], v[12:13], v[14:15]
	global_store_dwordx2 v[5:6], v[3:4], off
	s_branch .LBB142_24
.LBB142_29:
	s_endpgm
	.section	.rodata,"a",@progbits
	.p2align	6, 0x0
	.amdhsa_kernel _ZN9rocsparseL19gtsv_LBM_rhs_kernelILj256ELj32ELj2EdEEviiiPKT2_S3_S3_PS1_S3_PKi
		.amdhsa_group_segment_fixed_size 0
		.amdhsa_private_segment_fixed_size 0
		.amdhsa_kernarg_size 64
		.amdhsa_user_sgpr_count 6
		.amdhsa_user_sgpr_private_segment_buffer 1
		.amdhsa_user_sgpr_dispatch_ptr 0
		.amdhsa_user_sgpr_queue_ptr 0
		.amdhsa_user_sgpr_kernarg_segment_ptr 1
		.amdhsa_user_sgpr_dispatch_id 0
		.amdhsa_user_sgpr_flat_scratch_init 0
		.amdhsa_user_sgpr_private_segment_size 0
		.amdhsa_uses_dynamic_stack 0
		.amdhsa_system_sgpr_private_segment_wavefront_offset 0
		.amdhsa_system_sgpr_workgroup_id_x 1
		.amdhsa_system_sgpr_workgroup_id_y 1
		.amdhsa_system_sgpr_workgroup_id_z 0
		.amdhsa_system_sgpr_workgroup_info 0
		.amdhsa_system_vgpr_workitem_id 0
		.amdhsa_next_free_vgpr 39
		.amdhsa_next_free_sgpr 30
		.amdhsa_reserve_vcc 1
		.amdhsa_reserve_flat_scratch 0
		.amdhsa_float_round_mode_32 0
		.amdhsa_float_round_mode_16_64 0
		.amdhsa_float_denorm_mode_32 3
		.amdhsa_float_denorm_mode_16_64 3
		.amdhsa_dx10_clamp 1
		.amdhsa_ieee_mode 1
		.amdhsa_fp16_overflow 0
		.amdhsa_exception_fp_ieee_invalid_op 0
		.amdhsa_exception_fp_denorm_src 0
		.amdhsa_exception_fp_ieee_div_zero 0
		.amdhsa_exception_fp_ieee_overflow 0
		.amdhsa_exception_fp_ieee_underflow 0
		.amdhsa_exception_fp_ieee_inexact 0
		.amdhsa_exception_int_div_zero 0
	.end_amdhsa_kernel
	.section	.text._ZN9rocsparseL19gtsv_LBM_rhs_kernelILj256ELj32ELj2EdEEviiiPKT2_S3_S3_PS1_S3_PKi,"axG",@progbits,_ZN9rocsparseL19gtsv_LBM_rhs_kernelILj256ELj32ELj2EdEEviiiPKT2_S3_S3_PS1_S3_PKi,comdat
.Lfunc_end142:
	.size	_ZN9rocsparseL19gtsv_LBM_rhs_kernelILj256ELj32ELj2EdEEviiiPKT2_S3_S3_PS1_S3_PKi, .Lfunc_end142-_ZN9rocsparseL19gtsv_LBM_rhs_kernelILj256ELj32ELj2EdEEviiiPKT2_S3_S3_PS1_S3_PKi
                                        ; -- End function
	.set _ZN9rocsparseL19gtsv_LBM_rhs_kernelILj256ELj32ELj2EdEEviiiPKT2_S3_S3_PS1_S3_PKi.num_vgpr, 39
	.set _ZN9rocsparseL19gtsv_LBM_rhs_kernelILj256ELj32ELj2EdEEviiiPKT2_S3_S3_PS1_S3_PKi.num_agpr, 0
	.set _ZN9rocsparseL19gtsv_LBM_rhs_kernelILj256ELj32ELj2EdEEviiiPKT2_S3_S3_PS1_S3_PKi.numbered_sgpr, 30
	.set _ZN9rocsparseL19gtsv_LBM_rhs_kernelILj256ELj32ELj2EdEEviiiPKT2_S3_S3_PS1_S3_PKi.num_named_barrier, 0
	.set _ZN9rocsparseL19gtsv_LBM_rhs_kernelILj256ELj32ELj2EdEEviiiPKT2_S3_S3_PS1_S3_PKi.private_seg_size, 0
	.set _ZN9rocsparseL19gtsv_LBM_rhs_kernelILj256ELj32ELj2EdEEviiiPKT2_S3_S3_PS1_S3_PKi.uses_vcc, 1
	.set _ZN9rocsparseL19gtsv_LBM_rhs_kernelILj256ELj32ELj2EdEEviiiPKT2_S3_S3_PS1_S3_PKi.uses_flat_scratch, 0
	.set _ZN9rocsparseL19gtsv_LBM_rhs_kernelILj256ELj32ELj2EdEEviiiPKT2_S3_S3_PS1_S3_PKi.has_dyn_sized_stack, 0
	.set _ZN9rocsparseL19gtsv_LBM_rhs_kernelILj256ELj32ELj2EdEEviiiPKT2_S3_S3_PS1_S3_PKi.has_recursion, 0
	.set _ZN9rocsparseL19gtsv_LBM_rhs_kernelILj256ELj32ELj2EdEEviiiPKT2_S3_S3_PS1_S3_PKi.has_indirect_call, 0
	.section	.AMDGPU.csdata,"",@progbits
; Kernel info:
; codeLenInByte = 2144
; TotalNumSgprs: 34
; NumVgprs: 39
; ScratchSize: 0
; MemoryBound: 0
; FloatMode: 240
; IeeeMode: 1
; LDSByteSize: 0 bytes/workgroup (compile time only)
; SGPRBlocks: 4
; VGPRBlocks: 9
; NumSGPRsForWavesPerEU: 34
; NumVGPRsForWavesPerEU: 39
; Occupancy: 6
; WaveLimiterHint : 0
; COMPUTE_PGM_RSRC2:SCRATCH_EN: 0
; COMPUTE_PGM_RSRC2:USER_SGPR: 6
; COMPUTE_PGM_RSRC2:TRAP_HANDLER: 0
; COMPUTE_PGM_RSRC2:TGID_X_EN: 1
; COMPUTE_PGM_RSRC2:TGID_Y_EN: 1
; COMPUTE_PGM_RSRC2:TGID_Z_EN: 0
; COMPUTE_PGM_RSRC2:TIDIG_COMP_CNT: 0
	.section	.text._ZN9rocsparseL19gtsv_LBM_rhs_kernelILj256ELj32ELj1EdEEviiiPKT2_S3_S3_PS1_S3_PKi,"axG",@progbits,_ZN9rocsparseL19gtsv_LBM_rhs_kernelILj256ELj32ELj1EdEEviiiPKT2_S3_S3_PS1_S3_PKi,comdat
	.globl	_ZN9rocsparseL19gtsv_LBM_rhs_kernelILj256ELj32ELj1EdEEviiiPKT2_S3_S3_PS1_S3_PKi ; -- Begin function _ZN9rocsparseL19gtsv_LBM_rhs_kernelILj256ELj32ELj1EdEEviiiPKT2_S3_S3_PS1_S3_PKi
	.p2align	8
	.type	_ZN9rocsparseL19gtsv_LBM_rhs_kernelILj256ELj32ELj1EdEEviiiPKT2_S3_S3_PS1_S3_PKi,@function
_ZN9rocsparseL19gtsv_LBM_rhs_kernelILj256ELj32ELj1EdEEviiiPKT2_S3_S3_PS1_S3_PKi: ; @_ZN9rocsparseL19gtsv_LBM_rhs_kernelILj256ELj32ELj1EdEEviiiPKT2_S3_S3_PS1_S3_PKi
; %bb.0:
	s_load_dword s24, s[4:5], 0x0
	v_lshl_or_b32 v0, s6, 8, v0
	s_waitcnt lgkmcnt(0)
	s_lshr_b32 s22, s24, 5
	v_cmp_gt_i32_e32 vcc, s22, v0
	s_and_saveexec_b64 s[0:1], vcc
	s_cbranch_execz .LBB143_29
; %bb.1:
	s_load_dwordx4 s[8:11], s[4:5], 0x28
	s_load_dwordx2 s[16:17], s[4:5], 0x38
	s_cmp_lt_i32 s24, 1
	s_mul_i32 s23, s24, s7
	s_cbranch_scc1 .LBB143_21
; %bb.2:
	s_load_dwordx4 s[12:15], s[4:5], 0x10
	s_load_dwordx2 s[6:7], s[4:5], 0x20
	v_ashrrev_i32_e32 v1, 31, v0
	v_lshlrev_b64 v[1:2], 3, v[0:1]
	v_add_u32_e32 v24, s22, v0
	s_waitcnt lgkmcnt(0)
	v_mov_b32_e32 v3, s15
	v_add_co_u32_e32 v1, vcc, s14, v1
	v_addc_co_u32_e32 v2, vcc, v3, v2, vcc
	global_load_dwordx2 v[3:4], v[1:2], off
	s_mul_i32 s25, s22, 31
	s_mul_i32 s26, s22, 30
	s_lshl_b32 s27, s22, 1
	v_add_u32_e32 v25, s22, v24
	v_add_u32_e32 v26, s23, v24
	v_mov_b32_e32 v2, 0
	s_mov_b64 s[18:19], 0
	v_mov_b32_e32 v27, s7
	v_mov_b32_e32 v23, 0
	s_branch .LBB143_5
.LBB143_3:                              ;   in Loop: Header=BB143_5 Depth=1
	s_or_b64 exec, exec, s[4:5]
	v_fma_f64 v[3:4], -v[3:4], v[19:20], v[7:8]
	v_mov_b32_e32 v1, s22
.LBB143_4:                              ;   in Loop: Header=BB143_5 Depth=1
	s_or_b64 exec, exec, s[2:3]
	v_add_u32_e32 v23, v1, v23
	v_cmp_le_i32_e32 vcc, s24, v23
	s_or_b64 s[18:19], vcc, s[18:19]
	s_andn2_b64 exec, exec, s[18:19]
	s_cbranch_execz .LBB143_20
.LBB143_5:                              ; =>This Inner Loop Header: Depth=1
	v_add_u32_e32 v15, v23, v0
	v_ashrrev_i32_e32 v16, 31, v15
	v_lshlrev_b64 v[5:6], 3, v[15:16]
	v_mov_b32_e32 v7, 0
	v_add_co_u32_e32 v5, vcc, s6, v5
	v_addc_co_u32_e32 v6, vcc, v27, v6, vcc
	global_load_dwordx2 v[9:10], v[5:6], off
	v_mov_b32_e32 v5, 0
	v_cmp_gt_u32_e64 s[0:1], s25, v23
	v_mov_b32_e32 v8, 0
	v_mov_b32_e32 v6, 0
	s_waitcnt vmcnt(1)
	v_add_u32_e32 v17, v24, v23
	s_and_saveexec_b64 s[2:3], s[0:1]
	s_cbranch_execz .LBB143_7
; %bb.6:                                ;   in Loop: Header=BB143_5 Depth=1
	v_ashrrev_i32_e32 v18, 31, v17
	v_lshlrev_b64 v[5:6], 3, v[17:18]
	v_mov_b32_e32 v1, s13
	v_add_co_u32_e32 v5, vcc, s12, v5
	v_addc_co_u32_e32 v6, vcc, v1, v6, vcc
	global_load_dwordx2 v[5:6], v[5:6], off
.LBB143_7:                              ;   in Loop: Header=BB143_5 Depth=1
	s_or_b64 exec, exec, s[2:3]
	s_and_saveexec_b64 s[2:3], s[0:1]
	s_cbranch_execz .LBB143_9
; %bb.8:                                ;   in Loop: Header=BB143_5 Depth=1
	v_ashrrev_i32_e32 v18, 31, v17
	v_lshlrev_b64 v[7:8], 3, v[17:18]
	v_mov_b32_e32 v1, s15
	v_add_co_u32_e32 v7, vcc, s14, v7
	v_addc_co_u32_e32 v8, vcc, v1, v8, vcc
	global_load_dwordx2 v[7:8], v[7:8], off
.LBB143_9:                              ;   in Loop: Header=BB143_5 Depth=1
	s_or_b64 exec, exec, s[2:3]
	v_mov_b32_e32 v13, 0
	v_mov_b32_e32 v11, 0
	;; [unrolled: 1-line block ×4, first 2 shown]
	s_and_saveexec_b64 s[2:3], s[0:1]
	s_cbranch_execz .LBB143_11
; %bb.10:                               ;   in Loop: Header=BB143_5 Depth=1
	v_ashrrev_i32_e32 v18, 31, v17
	v_lshlrev_b64 v[11:12], 3, v[17:18]
	v_mov_b32_e32 v1, s7
	v_add_co_u32_e32 v11, vcc, s6, v11
	v_addc_co_u32_e32 v12, vcc, v1, v12, vcc
	global_load_dwordx2 v[11:12], v[11:12], off
.LBB143_11:                             ;   in Loop: Header=BB143_5 Depth=1
	s_or_b64 exec, exec, s[2:3]
	v_cmp_gt_u32_e64 s[2:3], s26, v23
	s_and_saveexec_b64 s[4:5], s[2:3]
	s_cbranch_execz .LBB143_13
; %bb.12:                               ;   in Loop: Header=BB143_5 Depth=1
	v_add_u32_e32 v13, v25, v23
	v_ashrrev_i32_e32 v14, 31, v13
	v_lshlrev_b64 v[13:14], 3, v[13:14]
	v_mov_b32_e32 v1, s13
	v_add_co_u32_e32 v13, vcc, s12, v13
	v_addc_co_u32_e32 v14, vcc, v1, v14, vcc
	global_load_dwordx2 v[13:14], v[13:14], off
.LBB143_13:                             ;   in Loop: Header=BB143_5 Depth=1
	s_or_b64 exec, exec, s[4:5]
	v_lshlrev_b64 v[16:17], 2, v[15:16]
	v_mov_b32_e32 v1, s17
	v_add_co_u32_e32 v16, vcc, s16, v16
	v_addc_co_u32_e32 v17, vcc, v1, v17, vcc
	v_add_u32_e32 v1, s23, v15
	global_load_dword v21, v[16:17], off
	v_lshlrev_b64 v[15:16], 3, v[1:2]
	v_mov_b32_e32 v1, s9
	v_add_co_u32_e32 v15, vcc, s8, v15
	v_addc_co_u32_e32 v16, vcc, v1, v16, vcc
	global_load_dwordx2 v[17:18], v[15:16], off
	s_waitcnt vmcnt(2)
	v_mul_f64 v[19:20], v[9:10], v[5:6]
	v_cmp_ne_u32_e64 s[4:5], s25, v23
	s_waitcnt vmcnt(1)
	v_cmp_ne_u32_e32 vcc, 1, v21
	s_and_b64 s[4:5], s[4:5], vcc
	s_and_saveexec_b64 s[20:21], s[4:5]
	s_xor_b64 s[4:5], exec, s[20:21]
	s_cbranch_execz .LBB143_17
; %bb.14:                               ;   in Loop: Header=BB143_5 Depth=1
	v_fma_f64 v[19:20], v[3:4], v[7:8], -v[19:20]
	v_add_u32_e32 v1, v26, v23
	v_div_scale_f64 v[21:22], s[20:21], v[19:20], v[19:20], 1.0
	v_rcp_f64_e32 v[28:29], v[21:22]
	v_fma_f64 v[30:31], -v[21:22], v[28:29], 1.0
	v_fma_f64 v[28:29], v[28:29], v[30:31], v[28:29]
	v_fma_f64 v[30:31], -v[21:22], v[28:29], 1.0
	v_fma_f64 v[28:29], v[28:29], v[30:31], v[28:29]
	v_div_scale_f64 v[30:31], vcc, 1.0, v[19:20], 1.0
	v_mul_f64 v[32:33], v[30:31], v[28:29]
	v_fma_f64 v[21:22], -v[21:22], v[32:33], v[30:31]
	v_mov_b32_e32 v30, s9
	s_nop 0
	v_div_fmas_f64 v[21:22], v[21:22], v[28:29], v[32:33]
	v_lshlrev_b64 v[28:29], 3, v[1:2]
	v_add_co_u32_e32 v28, vcc, s8, v28
	v_addc_co_u32_e32 v29, vcc, v30, v29, vcc
	v_div_fixup_f64 v[19:20], v[21:22], v[19:20], 1.0
	global_load_dwordx2 v[21:22], v[28:29], off
	s_waitcnt vmcnt(1)
	v_mul_f64 v[17:18], v[19:20], v[17:18]
	s_waitcnt vmcnt(0)
	v_mul_f64 v[21:22], v[19:20], v[21:22]
	v_mul_f64 v[9:10], v[9:10], v[21:22]
	v_fma_f64 v[7:8], v[7:8], v[17:18], -v[9:10]
	global_store_dwordx2 v[15:16], v[7:8], off
	v_mul_f64 v[7:8], v[5:6], v[17:18]
	v_fma_f64 v[9:10], v[3:4], v[21:22], -v[7:8]
	v_mov_b32_e32 v7, 0
	v_mov_b32_e32 v8, 0
	global_store_dwordx2 v[28:29], v[9:10], off
	s_and_saveexec_b64 s[20:21], s[2:3]
	s_cbranch_execz .LBB143_16
; %bb.15:                               ;   in Loop: Header=BB143_5 Depth=1
	v_add_u32_e32 v7, v25, v23
	v_add_u32_e32 v1, s23, v7
	v_lshlrev_b64 v[8:9], 3, v[1:2]
	v_mov_b32_e32 v1, s9
	v_add_co_u32_e32 v15, vcc, s8, v8
	v_ashrrev_i32_e32 v8, 31, v7
	v_lshlrev_b64 v[7:8], 3, v[7:8]
	v_addc_co_u32_e32 v16, vcc, v1, v9, vcc
	v_mov_b32_e32 v1, s15
	v_add_co_u32_e32 v7, vcc, s14, v7
	v_addc_co_u32_e32 v8, vcc, v1, v8, vcc
	global_load_dwordx2 v[9:10], v[15:16], off
	v_mul_f64 v[3:4], v[3:4], v[13:14]
	global_load_dwordx2 v[7:8], v[7:8], off
	v_mul_f64 v[5:6], v[5:6], v[13:14]
	v_mul_f64 v[13:14], v[3:4], v[21:22]
	;; [unrolled: 1-line block ×3, first 2 shown]
	v_fma_f64 v[5:6], v[5:6], v[17:18], -v[13:14]
	s_waitcnt vmcnt(1)
	v_add_f64 v[5:6], v[5:6], v[9:10]
	s_waitcnt vmcnt(0)
	v_fma_f64 v[7:8], -v[19:20], v[3:4], v[7:8]
	global_store_dwordx2 v[15:16], v[5:6], off
.LBB143_16:                             ;   in Loop: Header=BB143_5 Depth=1
	s_or_b64 exec, exec, s[20:21]
	v_mov_b32_e32 v3, v7
	v_mov_b32_e32 v4, v8
                                        ; implicit-def: $vgpr19_vgpr20
                                        ; implicit-def: $vgpr7_vgpr8
                                        ; implicit-def: $vgpr17_vgpr18
                                        ; implicit-def: $vgpr15_vgpr16
                                        ; implicit-def: $vgpr5_vgpr6
.LBB143_17:                             ;   in Loop: Header=BB143_5 Depth=1
	s_or_saveexec_b64 s[2:3], s[4:5]
	v_mov_b32_e32 v1, s27
	s_xor_b64 exec, exec, s[2:3]
	s_cbranch_execz .LBB143_4
; %bb.18:                               ;   in Loop: Header=BB143_5 Depth=1
	v_div_scale_f64 v[9:10], s[4:5], v[3:4], v[3:4], 1.0
	v_div_scale_f64 v[21:22], vcc, 1.0, v[3:4], 1.0
	v_rcp_f64_e32 v[11:12], v[9:10]
	v_fma_f64 v[13:14], -v[9:10], v[11:12], 1.0
	v_fma_f64 v[11:12], v[11:12], v[13:14], v[11:12]
	v_fma_f64 v[13:14], -v[9:10], v[11:12], 1.0
	v_fma_f64 v[11:12], v[11:12], v[13:14], v[11:12]
	v_mul_f64 v[13:14], v[21:22], v[11:12]
	v_fma_f64 v[9:10], -v[9:10], v[13:14], v[21:22]
	v_div_fmas_f64 v[9:10], v[9:10], v[11:12], v[13:14]
	v_div_fixup_f64 v[3:4], v[9:10], v[3:4], 1.0
	s_waitcnt vmcnt(0)
	v_mul_f64 v[9:10], v[3:4], v[17:18]
	global_store_dwordx2 v[15:16], v[9:10], off
	s_and_saveexec_b64 s[4:5], s[0:1]
	s_cbranch_execz .LBB143_3
; %bb.19:                               ;   in Loop: Header=BB143_5 Depth=1
	v_add_u32_e32 v1, v26, v23
	v_lshlrev_b64 v[11:12], 3, v[1:2]
	v_mov_b32_e32 v1, s9
	v_add_co_u32_e32 v11, vcc, s8, v11
	v_addc_co_u32_e32 v12, vcc, v1, v12, vcc
	global_load_dwordx2 v[13:14], v[11:12], off
	s_waitcnt vmcnt(0)
	v_fma_f64 v[5:6], -v[5:6], v[9:10], v[13:14]
	global_store_dwordx2 v[11:12], v[5:6], off
	s_branch .LBB143_3
.LBB143_20:
	s_or_b64 exec, exec, s[18:19]
	s_branch .LBB143_22
.LBB143_21:
	v_mov_b32_e32 v23, 0
.LBB143_22:
	v_subrev_u32_e32 v3, s22, v23
	v_add_u32_e32 v1, v3, v0
	v_ashrrev_i32_e32 v2, 31, v1
	v_lshlrev_b64 v[1:2], 2, v[1:2]
	s_waitcnt lgkmcnt(0)
	v_mov_b32_e32 v4, s17
	v_add_co_u32_e32 v1, vcc, s16, v1
	v_addc_co_u32_e32 v2, vcc, v4, v2, vcc
	s_waitcnt vmcnt(0)
	buffer_wbinvl1_vol
	global_load_dword v1, v[1:2], off
	s_waitcnt vmcnt(0)
	v_mul_lo_u32 v1, v1, s22
	v_sub_u32_e32 v7, v3, v1
	v_cmp_lt_i32_e32 vcc, -1, v7
	s_and_b64 exec, exec, vcc
	s_cbranch_execz .LBB143_29
; %bb.23:
	s_add_i32 s0, s23, s22
	v_add_u32_e32 v8, s0, v0
	s_lshl_b32 s4, s22, 1
	s_mov_b64 s[0:1], 0
	v_mov_b32_e32 v9, s17
	v_mov_b32_e32 v10, s11
	;; [unrolled: 1-line block ×3, first 2 shown]
	s_branch .LBB143_25
.LBB143_24:                             ;   in Loop: Header=BB143_25 Depth=1
	s_or_b64 exec, exec, s[2:3]
	v_sub_u32_e32 v7, v7, v1
	v_cmp_gt_i32_e32 vcc, 0, v7
	s_or_b64 s[0:1], vcc, s[0:1]
	s_andn2_b64 exec, exec, s[0:1]
	s_cbranch_execz .LBB143_29
.LBB143_25:                             ; =>This Inner Loop Header: Depth=1
	v_add_u32_e32 v5, v7, v0
	v_ashrrev_i32_e32 v6, 31, v5
	s_waitcnt vmcnt(0)
	v_lshlrev_b64 v[3:4], 2, v[5:6]
	v_add_co_u32_e32 v3, vcc, s16, v3
	v_addc_co_u32_e32 v4, vcc, v9, v4, vcc
	global_load_dword v1, v[3:4], off
	v_lshlrev_b64 v[3:4], 3, v[5:6]
	v_add_co_u32_e32 v3, vcc, s10, v3
	v_addc_co_u32_e32 v4, vcc, v10, v4, vcc
	global_load_dwordx2 v[3:4], v[3:4], off
	s_waitcnt vmcnt(1)
	v_cmp_ne_u32_e32 vcc, 1, v1
	s_and_saveexec_b64 s[2:3], vcc
	s_xor_b64 s[2:3], exec, s[2:3]
	s_cbranch_execz .LBB143_27
; %bb.26:                               ;   in Loop: Header=BB143_25 Depth=1
	v_add_u32_e32 v1, v8, v7
	v_lshlrev_b64 v[11:12], 3, v[1:2]
	v_mov_b32_e32 v1, s9
	v_add_co_u32_e32 v11, vcc, s8, v11
	v_addc_co_u32_e32 v12, vcc, v1, v12, vcc
	v_add_u32_e32 v1, s23, v5
	v_lshlrev_b64 v[5:6], 3, v[1:2]
	v_mov_b32_e32 v1, s9
	v_add_co_u32_e32 v5, vcc, s8, v5
	v_addc_co_u32_e32 v6, vcc, v1, v6, vcc
	global_load_dwordx2 v[13:14], v[11:12], off
	global_load_dwordx2 v[15:16], v[5:6], off
	v_subrev_u32_e32 v1, s22, v7
	v_add_u32_e32 v11, v1, v0
	v_ashrrev_i32_e32 v12, 31, v11
	v_add_u32_e32 v1, s23, v11
	v_lshlrev_b64 v[11:12], 3, v[11:12]
	v_mov_b32_e32 v17, s9
	v_add_co_u32_e32 v11, vcc, s10, v11
	v_addc_co_u32_e32 v12, vcc, v10, v12, vcc
	global_load_dwordx2 v[11:12], v[11:12], off
	s_waitcnt vmcnt(1)
	v_fma_f64 v[3:4], -v[3:4], v[13:14], v[15:16]
	v_lshlrev_b64 v[15:16], 3, v[1:2]
	global_store_dwordx2 v[5:6], v[3:4], off
	v_add_co_u32_e32 v3, vcc, s8, v15
	v_addc_co_u32_e32 v4, vcc, v17, v16, vcc
	global_load_dwordx2 v[5:6], v[3:4], off
	s_waitcnt vmcnt(0)
	v_fma_f64 v[5:6], -v[11:12], v[13:14], v[5:6]
	global_store_dwordx2 v[3:4], v[5:6], off
                                        ; implicit-def: $vgpr5
                                        ; implicit-def: $vgpr3_vgpr4
.LBB143_27:                             ;   in Loop: Header=BB143_25 Depth=1
	s_or_saveexec_b64 s[2:3], s[2:3]
	v_mov_b32_e32 v1, s4
	s_xor_b64 exec, exec, s[2:3]
	s_cbranch_execz .LBB143_24
; %bb.28:                               ;   in Loop: Header=BB143_25 Depth=1
	v_add_u32_e32 v1, v8, v7
	v_lshlrev_b64 v[11:12], 3, v[1:2]
	v_mov_b32_e32 v1, s9
	v_add_co_u32_e32 v11, vcc, s8, v11
	v_addc_co_u32_e32 v12, vcc, v1, v12, vcc
	v_add_u32_e32 v1, s23, v5
	v_lshlrev_b64 v[5:6], 3, v[1:2]
	v_mov_b32_e32 v1, s9
	v_add_co_u32_e32 v5, vcc, s8, v5
	v_addc_co_u32_e32 v6, vcc, v1, v6, vcc
	global_load_dwordx2 v[13:14], v[11:12], off
	global_load_dwordx2 v[15:16], v[5:6], off
	v_mov_b32_e32 v1, s22
	s_waitcnt vmcnt(0)
	v_fma_f64 v[3:4], -v[3:4], v[13:14], v[15:16]
	global_store_dwordx2 v[5:6], v[3:4], off
	s_branch .LBB143_24
.LBB143_29:
	s_endpgm
	.section	.rodata,"a",@progbits
	.p2align	6, 0x0
	.amdhsa_kernel _ZN9rocsparseL19gtsv_LBM_rhs_kernelILj256ELj32ELj1EdEEviiiPKT2_S3_S3_PS1_S3_PKi
		.amdhsa_group_segment_fixed_size 0
		.amdhsa_private_segment_fixed_size 0
		.amdhsa_kernarg_size 64
		.amdhsa_user_sgpr_count 6
		.amdhsa_user_sgpr_private_segment_buffer 1
		.amdhsa_user_sgpr_dispatch_ptr 0
		.amdhsa_user_sgpr_queue_ptr 0
		.amdhsa_user_sgpr_kernarg_segment_ptr 1
		.amdhsa_user_sgpr_dispatch_id 0
		.amdhsa_user_sgpr_flat_scratch_init 0
		.amdhsa_user_sgpr_private_segment_size 0
		.amdhsa_uses_dynamic_stack 0
		.amdhsa_system_sgpr_private_segment_wavefront_offset 0
		.amdhsa_system_sgpr_workgroup_id_x 1
		.amdhsa_system_sgpr_workgroup_id_y 1
		.amdhsa_system_sgpr_workgroup_id_z 0
		.amdhsa_system_sgpr_workgroup_info 0
		.amdhsa_system_vgpr_workitem_id 0
		.amdhsa_next_free_vgpr 34
		.amdhsa_next_free_sgpr 28
		.amdhsa_reserve_vcc 1
		.amdhsa_reserve_flat_scratch 0
		.amdhsa_float_round_mode_32 0
		.amdhsa_float_round_mode_16_64 0
		.amdhsa_float_denorm_mode_32 3
		.amdhsa_float_denorm_mode_16_64 3
		.amdhsa_dx10_clamp 1
		.amdhsa_ieee_mode 1
		.amdhsa_fp16_overflow 0
		.amdhsa_exception_fp_ieee_invalid_op 0
		.amdhsa_exception_fp_denorm_src 0
		.amdhsa_exception_fp_ieee_div_zero 0
		.amdhsa_exception_fp_ieee_overflow 0
		.amdhsa_exception_fp_ieee_underflow 0
		.amdhsa_exception_fp_ieee_inexact 0
		.amdhsa_exception_int_div_zero 0
	.end_amdhsa_kernel
	.section	.text._ZN9rocsparseL19gtsv_LBM_rhs_kernelILj256ELj32ELj1EdEEviiiPKT2_S3_S3_PS1_S3_PKi,"axG",@progbits,_ZN9rocsparseL19gtsv_LBM_rhs_kernelILj256ELj32ELj1EdEEviiiPKT2_S3_S3_PS1_S3_PKi,comdat
.Lfunc_end143:
	.size	_ZN9rocsparseL19gtsv_LBM_rhs_kernelILj256ELj32ELj1EdEEviiiPKT2_S3_S3_PS1_S3_PKi, .Lfunc_end143-_ZN9rocsparseL19gtsv_LBM_rhs_kernelILj256ELj32ELj1EdEEviiiPKT2_S3_S3_PS1_S3_PKi
                                        ; -- End function
	.set _ZN9rocsparseL19gtsv_LBM_rhs_kernelILj256ELj32ELj1EdEEviiiPKT2_S3_S3_PS1_S3_PKi.num_vgpr, 34
	.set _ZN9rocsparseL19gtsv_LBM_rhs_kernelILj256ELj32ELj1EdEEviiiPKT2_S3_S3_PS1_S3_PKi.num_agpr, 0
	.set _ZN9rocsparseL19gtsv_LBM_rhs_kernelILj256ELj32ELj1EdEEviiiPKT2_S3_S3_PS1_S3_PKi.numbered_sgpr, 28
	.set _ZN9rocsparseL19gtsv_LBM_rhs_kernelILj256ELj32ELj1EdEEviiiPKT2_S3_S3_PS1_S3_PKi.num_named_barrier, 0
	.set _ZN9rocsparseL19gtsv_LBM_rhs_kernelILj256ELj32ELj1EdEEviiiPKT2_S3_S3_PS1_S3_PKi.private_seg_size, 0
	.set _ZN9rocsparseL19gtsv_LBM_rhs_kernelILj256ELj32ELj1EdEEviiiPKT2_S3_S3_PS1_S3_PKi.uses_vcc, 1
	.set _ZN9rocsparseL19gtsv_LBM_rhs_kernelILj256ELj32ELj1EdEEviiiPKT2_S3_S3_PS1_S3_PKi.uses_flat_scratch, 0
	.set _ZN9rocsparseL19gtsv_LBM_rhs_kernelILj256ELj32ELj1EdEEviiiPKT2_S3_S3_PS1_S3_PKi.has_dyn_sized_stack, 0
	.set _ZN9rocsparseL19gtsv_LBM_rhs_kernelILj256ELj32ELj1EdEEviiiPKT2_S3_S3_PS1_S3_PKi.has_recursion, 0
	.set _ZN9rocsparseL19gtsv_LBM_rhs_kernelILj256ELj32ELj1EdEEviiiPKT2_S3_S3_PS1_S3_PKi.has_indirect_call, 0
	.section	.AMDGPU.csdata,"",@progbits
; Kernel info:
; codeLenInByte = 1640
; TotalNumSgprs: 32
; NumVgprs: 34
; ScratchSize: 0
; MemoryBound: 0
; FloatMode: 240
; IeeeMode: 1
; LDSByteSize: 0 bytes/workgroup (compile time only)
; SGPRBlocks: 3
; VGPRBlocks: 8
; NumSGPRsForWavesPerEU: 32
; NumVGPRsForWavesPerEU: 34
; Occupancy: 7
; WaveLimiterHint : 0
; COMPUTE_PGM_RSRC2:SCRATCH_EN: 0
; COMPUTE_PGM_RSRC2:USER_SGPR: 6
; COMPUTE_PGM_RSRC2:TRAP_HANDLER: 0
; COMPUTE_PGM_RSRC2:TGID_X_EN: 1
; COMPUTE_PGM_RSRC2:TGID_Y_EN: 1
; COMPUTE_PGM_RSRC2:TGID_Z_EN: 0
; COMPUTE_PGM_RSRC2:TIDIG_COMP_CNT: 0
	.section	.text._ZN9rocsparseL29gtsv_spike_block_level_kernelILj256ELj32EdEEviiiPT1_PKS1_S4_S2_S2_S2_S2_S2_,"axG",@progbits,_ZN9rocsparseL29gtsv_spike_block_level_kernelILj256ELj32EdEEviiiPT1_PKS1_S4_S2_S2_S2_S2_S2_,comdat
	.globl	_ZN9rocsparseL29gtsv_spike_block_level_kernelILj256ELj32EdEEviiiPT1_PKS1_S4_S2_S2_S2_S2_S2_ ; -- Begin function _ZN9rocsparseL29gtsv_spike_block_level_kernelILj256ELj32EdEEviiiPT1_PKS1_S4_S2_S2_S2_S2_S2_
	.p2align	8
	.type	_ZN9rocsparseL29gtsv_spike_block_level_kernelILj256ELj32EdEEviiiPT1_PKS1_S4_S2_S2_S2_S2_S2_,@function
_ZN9rocsparseL29gtsv_spike_block_level_kernelILj256ELj32EdEEviiiPT1_PKS1_S4_S2_S2_S2_S2_S2_: ; @_ZN9rocsparseL29gtsv_spike_block_level_kernelILj256ELj32EdEEviiiPT1_PKS1_S4_S2_S2_S2_S2_S2_
; %bb.0:
	s_load_dword s14, s[4:5], 0x0
	s_load_dwordx2 s[8:9], s[4:5], 0x18
	v_lshl_or_b32 v1, s6, 8, v0
	v_mov_b32_e32 v3, 0
	v_mov_b32_e32 v5, 0
	s_waitcnt lgkmcnt(0)
	s_lshr_b32 s18, s14, 5
	v_mov_b32_e32 v4, 0
	v_mov_b32_e32 v6, 0
	v_cmp_gt_i32_e64 s[0:1], s18, v1
	s_and_saveexec_b64 s[2:3], s[0:1]
	s_cbranch_execz .LBB144_2
; %bb.1:
	v_ashrrev_i32_e32 v2, 31, v1
	v_lshlrev_b64 v[5:6], 3, v[1:2]
	v_mov_b32_e32 v2, s9
	v_add_co_u32_e32 v5, vcc, s8, v5
	v_addc_co_u32_e32 v6, vcc, v2, v6, vcc
	global_load_dwordx2 v[5:6], v[5:6], off
.LBB144_2:
	s_or_b64 exec, exec, s[2:3]
	s_load_dwordx2 s[2:3], s[4:5], 0x20
	v_lshlrev_b32_e32 v9, 3, v0
	v_or_b32_e32 v10, 0x1000, v9
	s_waitcnt vmcnt(0)
	ds_write_b64 v9, v[5:6] offset:4096
	s_and_saveexec_b64 s[10:11], s[0:1]
	s_cbranch_execz .LBB144_4
; %bb.3:
	v_mad_u64_u32 v[2:3], s[12:13], s18, 31, v[1:2]
	v_mov_b32_e32 v3, 0
	v_mov_b32_e32 v4, s9
	v_lshlrev_b64 v[2:3], 3, v[2:3]
	v_add_co_u32_e32 v2, vcc, s8, v2
	v_addc_co_u32_e32 v3, vcc, v4, v3, vcc
	global_load_dwordx2 v[3:4], v[2:3], off
.LBB144_4:
	s_or_b64 exec, exec, s[10:11]
	v_mov_b32_e32 v5, 0
	v_mov_b32_e32 v7, 0
	;; [unrolled: 1-line block ×4, first 2 shown]
	s_waitcnt vmcnt(0)
	ds_write_b64 v10, v[3:4] offset:2048
	s_and_saveexec_b64 s[8:9], s[0:1]
	s_cbranch_execz .LBB144_6
; %bb.5:
	v_ashrrev_i32_e32 v2, 31, v1
	v_lshlrev_b64 v[2:3], 3, v[1:2]
	s_waitcnt lgkmcnt(0)
	v_mov_b32_e32 v4, s3
	v_add_co_u32_e32 v2, vcc, s2, v2
	v_addc_co_u32_e32 v3, vcc, v4, v3, vcc
	global_load_dwordx2 v[7:8], v[2:3], off
.LBB144_6:
	s_or_b64 exec, exec, s[8:9]
	s_load_dwordx2 s[12:13], s[4:5], 0x10
	s_waitcnt vmcnt(0)
	ds_write_b64 v9, v[7:8]
	s_and_saveexec_b64 s[8:9], s[0:1]
	s_cbranch_execz .LBB144_8
; %bb.7:
	v_mad_u64_u32 v[2:3], s[10:11], s18, 31, v[1:2]
	v_mov_b32_e32 v3, 0
	s_waitcnt lgkmcnt(0)
	v_mov_b32_e32 v4, s3
	v_lshlrev_b64 v[2:3], 3, v[2:3]
	v_add_co_u32_e32 v2, vcc, s2, v2
	v_addc_co_u32_e32 v3, vcc, v4, v3, vcc
	global_load_dwordx2 v[5:6], v[2:3], off
.LBB144_8:
	s_or_b64 exec, exec, s[8:9]
	s_waitcnt vmcnt(0)
	ds_write_b64 v9, v[5:6] offset:2048
	v_mov_b32_e32 v5, 0
	s_mul_i32 s14, s14, s7
	v_mov_b32_e32 v7, 0
	v_mov_b32_e32 v6, 0
	;; [unrolled: 1-line block ×3, first 2 shown]
	v_add_u32_e32 v3, s14, v1
	s_waitcnt lgkmcnt(0)
	s_and_saveexec_b64 s[2:3], s[0:1]
	s_cbranch_execz .LBB144_10
; %bb.9:
	v_ashrrev_i32_e32 v4, 31, v3
	v_lshlrev_b64 v[7:8], 3, v[3:4]
	v_mov_b32_e32 v2, s13
	v_add_co_u32_e32 v7, vcc, s12, v7
	v_addc_co_u32_e32 v8, vcc, v2, v8, vcc
	global_load_dwordx2 v[7:8], v[7:8], off
.LBB144_10:
	s_or_b64 exec, exec, s[2:3]
	v_or_b32_e32 v4, 0x2000, v9
	s_mul_i32 s19, s18, 31
	s_waitcnt vmcnt(0)
	ds_write_b64 v9, v[7:8] offset:8192
	s_and_saveexec_b64 s[2:3], s[0:1]
	s_cbranch_execz .LBB144_12
; %bb.11:
	s_mul_i32 s8, s18, 31
	s_add_i32 s8, s8, s14
	v_add_u32_e32 v5, s8, v1
	v_mov_b32_e32 v6, 0
	v_lshlrev_b64 v[5:6], 3, v[5:6]
	v_mov_b32_e32 v2, s13
	v_add_co_u32_e32 v5, vcc, s12, v5
	v_addc_co_u32_e32 v6, vcc, v2, v6, vcc
	global_load_dwordx2 v[5:6], v[5:6], off
.LBB144_12:
	s_or_b64 exec, exec, s[2:3]
	s_movk_i32 s2, 0x80
	v_cmp_gt_u32_e32 vcc, s2, v0
	s_waitcnt vmcnt(0)
	ds_write_b64 v4, v[5:6] offset:2048
	s_waitcnt lgkmcnt(0)
	s_barrier
	s_and_saveexec_b64 s[2:3], vcc
	s_cbranch_execz .LBB144_14
; %bb.13:
	v_add_u32_e32 v2, v10, v9
	ds_read_b128 v[5:8], v2
	v_add_u32_e32 v37, v9, v9
	ds_read_b128 v[11:14], v37 offset:2048
	ds_read_b128 v[15:18], v37
	ds_read_b128 v[19:22], v2 offset:2048
	v_add_u32_e32 v38, v4, v9
	s_waitcnt lgkmcnt(2)
	v_fma_f64 v[31:32], -v[7:8], v[11:12], 1.0
	v_div_scale_f64 v[23:24], s[8:9], v[31:32], v[31:32], 1.0
	v_rcp_f64_e32 v[25:26], v[23:24]
	v_fma_f64 v[27:28], -v[23:24], v[25:26], 1.0
	v_fma_f64 v[25:26], v[25:26], v[27:28], v[25:26]
	v_div_scale_f64 v[27:28], vcc, 1.0, v[31:32], 1.0
	v_fma_f64 v[29:30], -v[23:24], v[25:26], 1.0
	v_fma_f64 v[25:26], v[25:26], v[29:30], v[25:26]
	v_mul_f64 v[29:30], v[27:28], v[25:26]
	v_fma_f64 v[23:24], -v[23:24], v[29:30], v[27:28]
	v_div_fmas_f64 v[33:34], v[23:24], v[25:26], v[29:30]
	ds_read_b128 v[23:26], v38 offset:2048
	ds_read_b128 v[27:30], v38
	s_waitcnt lgkmcnt(0)
	v_fma_f64 v[35:36], -v[7:8], v[23:24], v[29:30]
	v_fma_f64 v[23:24], -v[11:12], v[29:30], v[23:24]
	v_mul_f64 v[7:8], v[7:8], v[19:20]
	v_mul_f64 v[11:12], v[11:12], v[17:18]
	v_div_fixup_f64 v[31:32], v[33:34], v[31:32], 1.0
	v_mul_f64 v[29:30], v[35:36], v[31:32]
	v_mul_f64 v[23:24], v[31:32], v[23:24]
	v_mul_f64 v[7:8], v[7:8], -v[31:32]
	v_mul_f64 v[17:18], v[31:32], v[17:18]
	v_mul_f64 v[11:12], v[11:12], -v[31:32]
	v_mul_f64 v[19:20], v[31:32], v[19:20]
	v_fma_f64 v[27:28], -v[29:30], v[15:16], v[27:28]
	v_fma_f64 v[25:26], -v[21:22], v[23:24], v[25:26]
	;; [unrolled: 1-line block ×3, first 2 shown]
	v_mul_f64 v[15:16], v[17:18], -v[15:16]
	v_fma_f64 v[13:14], -v[11:12], v[21:22], v[13:14]
	v_mul_f64 v[21:22], v[19:20], -v[21:22]
	ds_write_b128 v38, v[27:30]
	ds_write_b128 v38, v[23:26] offset:2048
	ds_write_b128 v2, v[5:8]
	ds_write_b128 v37, v[15:18]
	ds_write_b128 v37, v[11:14] offset:2048
	ds_write_b128 v2, v[19:22] offset:2048
.LBB144_14:
	s_or_b64 exec, exec, s[2:3]
	v_cmp_gt_u32_e32 vcc, 64, v0
	s_waitcnt lgkmcnt(0)
	s_barrier
	s_and_saveexec_b64 s[2:3], vcc
	s_cbranch_execz .LBB144_16
; %bb.15:
	v_lshlrev_b32_e32 v2, 5, v0
	v_add_u32_e32 v37, 0x1000, v2
	v_add_u32_e32 v38, 0x800, v2
	ds_read2_b64 v[5:8], v37 offset1:2
	ds_read2_b64 v[11:14], v38 offset0:1 offset1:3
	v_mad_u32_u24 v39, v0, 24, v4
	v_add_u32_e32 v40, 0x800, v39
	v_add_u32_e32 v41, 0x1800, v2
	s_waitcnt lgkmcnt(0)
	v_fma_f64 v[31:32], -v[7:8], v[11:12], 1.0
	v_div_scale_f64 v[15:16], s[8:9], v[31:32], v[31:32], 1.0
	v_rcp_f64_e32 v[17:18], v[15:16]
	v_fma_f64 v[19:20], -v[15:16], v[17:18], 1.0
	v_fma_f64 v[17:18], v[17:18], v[19:20], v[17:18]
	v_div_scale_f64 v[19:20], vcc, 1.0, v[31:32], 1.0
	v_fma_f64 v[21:22], -v[15:16], v[17:18], 1.0
	v_fma_f64 v[17:18], v[17:18], v[21:22], v[17:18]
	v_mul_f64 v[21:22], v[19:20], v[17:18]
	v_fma_f64 v[15:16], -v[15:16], v[21:22], v[19:20]
	v_div_fmas_f64 v[33:34], v[15:16], v[17:18], v[21:22]
	ds_read2_b64 v[15:18], v39 offset1:2
	ds_read2_b64 v[19:22], v40 offset0:1 offset1:3
	ds_read2_b64 v[23:26], v41 offset0:1 offset1:3
	ds_read2_b64 v[27:30], v2 offset1:2
	s_waitcnt lgkmcnt(2)
	v_fma_f64 v[35:36], -v[7:8], v[19:20], v[17:18]
	v_fma_f64 v[17:18], -v[11:12], v[17:18], v[19:20]
	s_waitcnt lgkmcnt(1)
	v_mul_f64 v[7:8], v[7:8], v[23:24]
	s_waitcnt lgkmcnt(0)
	v_mul_f64 v[11:12], v[11:12], v[29:30]
	v_div_fixup_f64 v[31:32], v[33:34], v[31:32], 1.0
	v_mul_f64 v[19:20], v[35:36], v[31:32]
	v_mul_f64 v[17:18], v[31:32], v[17:18]
	v_mul_f64 v[7:8], v[7:8], -v[31:32]
	v_mul_f64 v[29:30], v[31:32], v[29:30]
	v_mul_f64 v[11:12], v[11:12], -v[31:32]
	v_mul_f64 v[23:24], v[31:32], v[23:24]
	v_fma_f64 v[15:16], -v[19:20], v[27:28], v[15:16]
	v_fma_f64 v[21:22], -v[25:26], v[17:18], v[21:22]
	;; [unrolled: 1-line block ×3, first 2 shown]
	v_mul_f64 v[27:28], v[29:30], -v[27:28]
	v_fma_f64 v[13:14], -v[11:12], v[25:26], v[13:14]
	v_mul_f64 v[25:26], v[23:24], -v[25:26]
	ds_write2_b64 v39, v[15:16], v[19:20] offset1:2
	ds_write2_b64 v40, v[17:18], v[21:22] offset0:1 offset1:3
	ds_write2_b64 v37, v[5:6], v[7:8] offset1:2
	ds_write2_b64 v2, v[27:28], v[29:30] offset1:2
	ds_write2_b64 v38, v[11:12], v[13:14] offset0:1 offset1:3
	ds_write2_b64 v41, v[23:24], v[25:26] offset0:1 offset1:3
.LBB144_16:
	s_or_b64 exec, exec, s[2:3]
	v_cmp_gt_u32_e32 vcc, 32, v0
	s_waitcnt lgkmcnt(0)
	s_barrier
	s_and_saveexec_b64 s[2:3], vcc
	s_cbranch_execz .LBB144_18
; %bb.17:
	v_lshlrev_b32_e32 v2, 6, v0
	v_add_u32_e32 v37, 0x1000, v2
	v_add_u32_e32 v38, 0x800, v2
	ds_read2_b64 v[5:8], v37 offset1:4
	ds_read2_b64 v[11:14], v38 offset0:3 offset1:7
	v_add_u32_e32 v39, 0x2800, v2
	v_add_u32_e32 v40, 0x2000, v2
	v_add_u32_e32 v41, 0x1800, v2
	s_waitcnt lgkmcnt(0)
	v_fma_f64 v[31:32], -v[7:8], v[11:12], 1.0
	v_div_scale_f64 v[15:16], s[8:9], v[31:32], v[31:32], 1.0
	v_rcp_f64_e32 v[17:18], v[15:16]
	v_fma_f64 v[19:20], -v[15:16], v[17:18], 1.0
	v_fma_f64 v[17:18], v[17:18], v[19:20], v[17:18]
	v_div_scale_f64 v[19:20], vcc, 1.0, v[31:32], 1.0
	v_fma_f64 v[21:22], -v[15:16], v[17:18], 1.0
	v_fma_f64 v[17:18], v[17:18], v[21:22], v[17:18]
	v_mul_f64 v[21:22], v[19:20], v[17:18]
	v_fma_f64 v[15:16], -v[15:16], v[21:22], v[19:20]
	v_div_fmas_f64 v[33:34], v[15:16], v[17:18], v[21:22]
	ds_read2_b64 v[15:18], v39 offset0:3 offset1:7
	ds_read2_b64 v[19:22], v40 offset1:4
	ds_read2_b64 v[23:26], v41 offset0:3 offset1:7
	ds_read2_b64 v[27:30], v2 offset1:4
	s_waitcnt lgkmcnt(2)
	v_fma_f64 v[35:36], -v[7:8], v[15:16], v[21:22]
	v_fma_f64 v[15:16], -v[11:12], v[21:22], v[15:16]
	s_waitcnt lgkmcnt(1)
	v_mul_f64 v[7:8], v[7:8], v[23:24]
	s_waitcnt lgkmcnt(0)
	v_mul_f64 v[11:12], v[11:12], v[29:30]
	v_div_fixup_f64 v[31:32], v[33:34], v[31:32], 1.0
	v_mul_f64 v[21:22], v[35:36], v[31:32]
	v_mul_f64 v[15:16], v[31:32], v[15:16]
	v_mul_f64 v[7:8], v[7:8], -v[31:32]
	v_mul_f64 v[29:30], v[31:32], v[29:30]
	v_mul_f64 v[11:12], v[11:12], -v[31:32]
	v_mul_f64 v[23:24], v[31:32], v[23:24]
	v_fma_f64 v[19:20], -v[21:22], v[27:28], v[19:20]
	v_fma_f64 v[17:18], -v[25:26], v[15:16], v[17:18]
	v_fma_f64 v[5:6], -v[7:8], v[27:28], v[5:6]
	v_mul_f64 v[27:28], v[29:30], -v[27:28]
	v_fma_f64 v[13:14], -v[11:12], v[25:26], v[13:14]
	v_mul_f64 v[25:26], v[23:24], -v[25:26]
	ds_write2_b64 v40, v[19:20], v[21:22] offset1:4
	ds_write2_b64 v39, v[15:16], v[17:18] offset0:3 offset1:7
	ds_write2_b64 v37, v[5:6], v[7:8] offset1:4
	ds_write2_b64 v2, v[27:28], v[29:30] offset1:4
	ds_write2_b64 v38, v[11:12], v[13:14] offset0:3 offset1:7
	ds_write2_b64 v41, v[23:24], v[25:26] offset0:3 offset1:7
.LBB144_18:
	s_or_b64 exec, exec, s[2:3]
	v_cmp_gt_u32_e32 vcc, 16, v0
	s_waitcnt lgkmcnt(0)
	s_barrier
	s_and_saveexec_b64 s[2:3], vcc
	s_cbranch_execz .LBB144_20
; %bb.19:
	v_lshlrev_b32_e32 v2, 7, v0
	v_add_u32_e32 v37, 0x1000, v2
	v_add_u32_e32 v38, 0x800, v2
	ds_read2_b64 v[5:8], v37 offset1:8
	ds_read2_b64 v[11:14], v38 offset0:7 offset1:15
	v_add_u32_e32 v39, 0x2800, v2
	v_add_u32_e32 v40, 0x2000, v2
	v_add_u32_e32 v41, 0x1800, v2
	s_waitcnt lgkmcnt(0)
	v_fma_f64 v[31:32], -v[7:8], v[11:12], 1.0
	v_div_scale_f64 v[15:16], s[8:9], v[31:32], v[31:32], 1.0
	v_rcp_f64_e32 v[17:18], v[15:16]
	v_fma_f64 v[19:20], -v[15:16], v[17:18], 1.0
	v_fma_f64 v[17:18], v[17:18], v[19:20], v[17:18]
	v_div_scale_f64 v[19:20], vcc, 1.0, v[31:32], 1.0
	v_fma_f64 v[21:22], -v[15:16], v[17:18], 1.0
	v_fma_f64 v[17:18], v[17:18], v[21:22], v[17:18]
	v_mul_f64 v[21:22], v[19:20], v[17:18]
	v_fma_f64 v[15:16], -v[15:16], v[21:22], v[19:20]
	v_div_fmas_f64 v[33:34], v[15:16], v[17:18], v[21:22]
	ds_read2_b64 v[15:18], v39 offset0:7 offset1:15
	ds_read2_b64 v[19:22], v40 offset1:8
	ds_read2_b64 v[23:26], v41 offset0:7 offset1:15
	ds_read2_b64 v[27:30], v2 offset1:8
	s_waitcnt lgkmcnt(2)
	v_fma_f64 v[35:36], -v[7:8], v[15:16], v[21:22]
	v_fma_f64 v[15:16], -v[11:12], v[21:22], v[15:16]
	s_waitcnt lgkmcnt(1)
	v_mul_f64 v[7:8], v[7:8], v[23:24]
	s_waitcnt lgkmcnt(0)
	v_mul_f64 v[11:12], v[11:12], v[29:30]
	v_div_fixup_f64 v[31:32], v[33:34], v[31:32], 1.0
	v_mul_f64 v[21:22], v[35:36], v[31:32]
	v_mul_f64 v[15:16], v[31:32], v[15:16]
	v_mul_f64 v[7:8], v[7:8], -v[31:32]
	v_mul_f64 v[29:30], v[31:32], v[29:30]
	v_mul_f64 v[11:12], v[11:12], -v[31:32]
	v_mul_f64 v[23:24], v[31:32], v[23:24]
	v_fma_f64 v[19:20], -v[21:22], v[27:28], v[19:20]
	v_fma_f64 v[17:18], -v[25:26], v[15:16], v[17:18]
	v_fma_f64 v[5:6], -v[7:8], v[27:28], v[5:6]
	v_mul_f64 v[27:28], v[29:30], -v[27:28]
	v_fma_f64 v[13:14], -v[11:12], v[25:26], v[13:14]
	v_mul_f64 v[25:26], v[23:24], -v[25:26]
	ds_write2_b64 v40, v[19:20], v[21:22] offset1:8
	ds_write2_b64 v39, v[15:16], v[17:18] offset0:7 offset1:15
	ds_write2_b64 v37, v[5:6], v[7:8] offset1:8
	ds_write2_b64 v2, v[27:28], v[29:30] offset1:8
	ds_write2_b64 v38, v[11:12], v[13:14] offset0:7 offset1:15
	ds_write2_b64 v41, v[23:24], v[25:26] offset0:7 offset1:15
.LBB144_20:
	;; [unrolled: 58-line block ×4, first 2 shown]
	s_or_b64 exec, exec, s[2:3]
	v_cmp_gt_u32_e32 vcc, 2, v0
	s_waitcnt lgkmcnt(0)
	s_barrier
	s_and_saveexec_b64 s[2:3], vcc
	s_cbranch_execz .LBB144_26
; %bb.25:
	v_lshlrev_b32_e32 v2, 10, v0
	v_add_u32_e32 v37, 0x1f8, v2
	ds_read2st64_b64 v[5:8], v37 offset0:4 offset1:5
	ds_read2st64_b64 v[11:14], v2 offset0:8 offset1:9
	ds_read2st64_b64 v[15:18], v2 offset1:1
	ds_read2st64_b64 v[19:22], v37 offset0:12 offset1:13
	s_waitcnt lgkmcnt(2)
	v_fma_f64 v[31:32], -v[13:14], v[5:6], 1.0
	v_div_scale_f64 v[23:24], s[8:9], v[31:32], v[31:32], 1.0
	v_rcp_f64_e32 v[25:26], v[23:24]
	v_fma_f64 v[27:28], -v[23:24], v[25:26], 1.0
	v_fma_f64 v[25:26], v[25:26], v[27:28], v[25:26]
	v_div_scale_f64 v[27:28], vcc, 1.0, v[31:32], 1.0
	v_fma_f64 v[29:30], -v[23:24], v[25:26], 1.0
	v_fma_f64 v[25:26], v[25:26], v[29:30], v[25:26]
	v_mul_f64 v[29:30], v[27:28], v[25:26]
	v_fma_f64 v[23:24], -v[23:24], v[29:30], v[27:28]
	v_div_fmas_f64 v[33:34], v[23:24], v[25:26], v[29:30]
	ds_read2st64_b64 v[23:26], v2 offset0:16 offset1:17
	ds_read2st64_b64 v[27:30], v37 offset0:20 offset1:21
	s_waitcnt lgkmcnt(0)
	v_fma_f64 v[35:36], -v[13:14], v[27:28], v[25:26]
	v_fma_f64 v[25:26], -v[5:6], v[25:26], v[27:28]
	v_mul_f64 v[13:14], v[13:14], v[19:20]
	v_mul_f64 v[5:6], v[5:6], v[17:18]
	v_div_fixup_f64 v[31:32], v[33:34], v[31:32], 1.0
	v_mul_f64 v[27:28], v[35:36], v[31:32]
	v_mul_f64 v[25:26], v[31:32], v[25:26]
	v_mul_f64 v[13:14], v[13:14], -v[31:32]
	v_mul_f64 v[17:18], v[31:32], v[17:18]
	v_mul_f64 v[5:6], v[5:6], -v[31:32]
	v_mul_f64 v[19:20], v[31:32], v[19:20]
	v_fma_f64 v[23:24], -v[27:28], v[15:16], v[23:24]
	v_fma_f64 v[29:30], -v[21:22], v[25:26], v[29:30]
	;; [unrolled: 1-line block ×3, first 2 shown]
	v_mul_f64 v[15:16], v[17:18], -v[15:16]
	v_fma_f64 v[7:8], -v[5:6], v[21:22], v[7:8]
	v_mul_f64 v[21:22], v[19:20], -v[21:22]
	ds_write2st64_b64 v2, v[23:24], v[27:28] offset0:16 offset1:17
	ds_write2st64_b64 v37, v[25:26], v[29:30] offset0:20 offset1:21
	ds_write2st64_b64 v2, v[11:12], v[13:14] offset0:8 offset1:9
	ds_write2st64_b64 v2, v[15:16], v[17:18] offset1:1
	ds_write2st64_b64 v37, v[5:6], v[7:8] offset0:4 offset1:5
	ds_write2st64_b64 v37, v[19:20], v[21:22] offset0:12 offset1:13
.LBB144_26:
	s_or_b64 exec, exec, s[2:3]
	v_cmp_eq_u32_e64 s[2:3], 0, v0
	s_waitcnt lgkmcnt(0)
	s_barrier
	s_and_saveexec_b64 s[8:9], s[2:3]
	s_cbranch_execz .LBB144_28
; %bb.27:
	s_movk_i32 s10, 0x1400
	v_add_u32_e64 v2, s10, 0
	v_mov_b32_e32 v0, 0
	ds_read2_b64 v[5:8], v2 offset1:255
	ds_read_b64 v[19:20], v0 offset:3064
	ds_read_b64 v[21:22], v0 offset:12280
	v_mov_b32_e32 v32, 0x1ff8
	v_mov_b32_e32 v33, 0xff8
	s_waitcnt lgkmcnt(1)
	v_fma_f64 v[23:24], -v[5:6], v[19:20], 1.0
	v_div_scale_f64 v[11:12], s[10:11], v[23:24], v[23:24], 1.0
	s_movk_i32 s10, 0x2400
	v_add_u32_e64 v31, s10, 0
	v_rcp_f64_e32 v[13:14], v[11:12]
	v_fma_f64 v[15:16], -v[11:12], v[13:14], 1.0
	v_fma_f64 v[13:14], v[13:14], v[15:16], v[13:14]
	v_div_scale_f64 v[15:16], vcc, 1.0, v[23:24], 1.0
	v_fma_f64 v[17:18], -v[11:12], v[13:14], 1.0
	v_fma_f64 v[13:14], v[13:14], v[17:18], v[13:14]
	v_mul_f64 v[17:18], v[15:16], v[13:14]
	v_fma_f64 v[11:12], -v[11:12], v[17:18], v[15:16]
	v_div_fmas_f64 v[25:26], v[11:12], v[13:14], v[17:18]
	ds_read2_b64 v[11:14], v31 offset1:255
	ds_read2st64_b64 v[15:18], v0 offset1:2
	s_waitcnt lgkmcnt(1)
	v_fma_f64 v[27:28], -v[19:20], v[11:12], v[13:14]
	s_waitcnt lgkmcnt(0)
	v_mul_f64 v[19:20], v[19:20], v[17:18]
	v_div_fixup_f64 v[23:24], v[25:26], v[23:24], 1.0
	v_fma_f64 v[25:26], -v[5:6], v[13:14], v[11:12]
	v_mul_f64 v[5:6], v[5:6], v[7:8]
	ds_read2_b64 v[11:14], v32 offset1:1
	v_mul_f64 v[27:28], v[23:24], v[27:28]
	v_mul_f64 v[25:26], v[25:26], v[23:24]
	v_mul_f64 v[29:30], v[5:6], -v[23:24]
	v_mul_f64 v[17:18], v[23:24], v[17:18]
	v_mul_f64 v[19:20], v[19:20], -v[23:24]
	v_mul_f64 v[23:24], v[23:24], v[7:8]
	ds_read2_b64 v[5:8], v33 offset1:1
	s_waitcnt lgkmcnt(1)
	v_fma_f64 v[21:22], -v[11:12], v[27:28], v[21:22]
	v_fma_f64 v[13:14], -v[25:26], v[15:16], v[13:14]
	s_waitcnt lgkmcnt(0)
	v_fma_f64 v[7:8], -v[29:30], v[15:16], v[7:8]
	v_mul_f64 v[15:16], v[17:18], -v[15:16]
	v_fma_f64 v[5:6], -v[19:20], v[11:12], v[5:6]
	v_mul_f64 v[11:12], v[23:24], -v[11:12]
	ds_write2_b64 v31, v[25:26], v[27:28] offset1:255
	ds_write_b64 v0, v[19:20] offset:3064
	ds_write2_b64 v2, v[29:30], v[23:24] offset1:255
	ds_write_b64 v0, v[21:22] offset:12280
	ds_write2st64_b64 v0, v[15:16], v[17:18] offset1:2
	ds_write2_b64 v33, v[5:6], v[7:8] offset1:1
	ds_write2_b64 v32, v[11:12], v[13:14] offset1:1
.LBB144_28:
	s_or_b64 exec, exec, s[8:9]
	s_load_dwordx2 s[14:15], s[4:5], 0x48
	s_load_dwordx4 s[8:11], s[4:5], 0x38
	s_waitcnt lgkmcnt(0)
	s_barrier
	s_and_saveexec_b64 s[16:17], s[0:1]
	s_cbranch_execnz .LBB144_31
; %bb.29:
	s_or_b64 exec, exec, s[16:17]
	s_and_saveexec_b64 s[0:1], s[2:3]
	s_cbranch_execnz .LBB144_35
.LBB144_30:
	s_endpgm
.LBB144_31:
	s_cmp_eq_u32 s7, 0
	s_cbranch_scc1 .LBB144_39
; %bb.32:
	s_mul_i32 s18, s18, 31
	s_cbranch_execnz .LBB144_34
.LBB144_33:
	s_load_dwordx4 s[20:23], s[4:5], 0x28
	v_ashrrev_i32_e32 v2, 31, v1
	ds_read2st64_b64 v[5:8], v10 offset1:4
	v_lshlrev_b64 v[10:11], 3, v[1:2]
	s_mov_b32 s18, s19
	s_waitcnt lgkmcnt(0)
	v_mov_b32_e32 v0, s21
	v_add_co_u32_e32 v12, vcc, s20, v10
	v_addc_co_u32_e32 v13, vcc, v0, v11, vcc
	v_add_u32_e32 v0, s19, v1
	v_mov_b32_e32 v1, 0
	v_lshlrev_b64 v[0:1], 3, v[0:1]
	global_store_dwordx2 v[12:13], v[5:6], off
	v_mov_b32_e32 v2, s21
	v_add_co_u32_e32 v5, vcc, s20, v0
	v_addc_co_u32_e32 v6, vcc, v2, v1, vcc
	global_store_dwordx2 v[5:6], v[7:8], off
	ds_read2st64_b64 v[5:8], v9 offset1:4
	v_mov_b32_e32 v2, s23
	v_add_co_u32_e32 v9, vcc, s22, v10
	v_addc_co_u32_e32 v10, vcc, v2, v11, vcc
	v_add_co_u32_e32 v0, vcc, s22, v0
	v_addc_co_u32_e32 v1, vcc, v2, v1, vcc
	s_waitcnt lgkmcnt(0)
	global_store_dwordx2 v[9:10], v[5:6], off
	global_store_dwordx2 v[0:1], v[7:8], off
.LBB144_34:
	ds_read2st64_b64 v[5:8], v4 offset1:4
	v_ashrrev_i32_e32 v4, 31, v3
	v_lshlrev_b64 v[0:1], 3, v[3:4]
	v_mov_b32_e32 v2, s13
	v_add_co_u32_e32 v0, vcc, s12, v0
	v_addc_co_u32_e32 v1, vcc, v2, v1, vcc
	s_waitcnt lgkmcnt(0)
	global_store_dwordx2 v[0:1], v[5:6], off
	v_add_u32_e32 v0, s18, v3
	v_mov_b32_e32 v1, 0
	v_lshlrev_b64 v[0:1], 3, v[0:1]
	v_add_co_u32_e32 v0, vcc, s12, v0
	v_addc_co_u32_e32 v1, vcc, v2, v1, vcc
	global_store_dwordx2 v[0:1], v[7:8], off
	s_or_b64 exec, exec, s[16:17]
	s_and_saveexec_b64 s[0:1], s[2:3]
	s_cbranch_execz .LBB144_30
.LBB144_35:
	s_cmp_eq_u32 s7, 0
	s_cbranch_scc1 .LBB144_40
; %bb.36:
	s_load_dword s2, s[4:5], 0x50
	s_cbranch_execnz .LBB144_38
.LBB144_37:
	v_mov_b32_e32 v0, 0xff8
	ds_read2_b64 v[0:3], v0 offset1:1
	s_mov_b32 s0, s7
	s_ashr_i32 s7, s6, 31
	s_waitcnt lgkmcnt(0)
	s_load_dword s2, s[4:5], 0x50
	s_lshl_b64 s[12:13], s[6:7], 3
	s_mov_b32 s7, s0
	s_add_u32 s0, s10, s12
	s_addc_u32 s1, s11, s13
	v_mov_b32_e32 v6, 0
	ds_read_b64 v[4:5], v6
	global_store_dwordx2 v6, v[2:3], s[0:1]
	ds_read_b64 v[2:3], v6 offset:8184
	s_waitcnt lgkmcnt(0)
	s_add_i32 s0, s2, s6
	s_mov_b32 s1, 0
	s_lshl_b64 s[0:1], s[0:1], 3
	s_add_u32 s4, s10, s0
	s_addc_u32 s5, s11, s1
	global_store_dwordx2 v6, v[2:3], s[4:5]
	s_add_u32 s4, s14, s12
	s_addc_u32 s5, s15, s13
	s_add_u32 s0, s14, s0
	s_addc_u32 s1, s15, s1
	global_store_dwordx2 v6, v[4:5], s[4:5]
	global_store_dwordx2 v6, v[0:1], s[0:1]
.LBB144_38:
	s_waitcnt lgkmcnt(0)
	s_mul_i32 s0, s2, s7
	s_lshl_b32 s0, s0, 1
	s_add_i32 s0, s0, s6
	s_mov_b32 s1, 0
	v_mov_b32_e32 v4, 0
	s_lshl_b64 s[4:5], s[0:1], 3
	ds_read_b64 v[0:1], v4 offset:8192
	ds_read_b64 v[2:3], v4 offset:12280
	s_add_u32 s4, s8, s4
	s_addc_u32 s5, s9, s5
	s_add_i32 s0, s0, s2
	s_lshl_b64 s[0:1], s[0:1], 3
	s_add_u32 s0, s8, s0
	s_addc_u32 s1, s9, s1
	s_waitcnt lgkmcnt(1)
	global_store_dwordx2 v4, v[0:1], s[4:5]
	s_waitcnt lgkmcnt(0)
	global_store_dwordx2 v4, v[2:3], s[0:1]
	s_endpgm
.LBB144_39:
                                        ; implicit-def: $sgpr18
	s_branch .LBB144_33
.LBB144_40:
                                        ; implicit-def: $sgpr2
	s_branch .LBB144_37
	.section	.rodata,"a",@progbits
	.p2align	6, 0x0
	.amdhsa_kernel _ZN9rocsparseL29gtsv_spike_block_level_kernelILj256ELj32EdEEviiiPT1_PKS1_S4_S2_S2_S2_S2_S2_
		.amdhsa_group_segment_fixed_size 12288
		.amdhsa_private_segment_fixed_size 0
		.amdhsa_kernarg_size 336
		.amdhsa_user_sgpr_count 6
		.amdhsa_user_sgpr_private_segment_buffer 1
		.amdhsa_user_sgpr_dispatch_ptr 0
		.amdhsa_user_sgpr_queue_ptr 0
		.amdhsa_user_sgpr_kernarg_segment_ptr 1
		.amdhsa_user_sgpr_dispatch_id 0
		.amdhsa_user_sgpr_flat_scratch_init 0
		.amdhsa_user_sgpr_private_segment_size 0
		.amdhsa_uses_dynamic_stack 0
		.amdhsa_system_sgpr_private_segment_wavefront_offset 0
		.amdhsa_system_sgpr_workgroup_id_x 1
		.amdhsa_system_sgpr_workgroup_id_y 1
		.amdhsa_system_sgpr_workgroup_id_z 0
		.amdhsa_system_sgpr_workgroup_info 0
		.amdhsa_system_vgpr_workitem_id 0
		.amdhsa_next_free_vgpr 42
		.amdhsa_next_free_sgpr 98
		.amdhsa_reserve_vcc 1
		.amdhsa_reserve_flat_scratch 0
		.amdhsa_float_round_mode_32 0
		.amdhsa_float_round_mode_16_64 0
		.amdhsa_float_denorm_mode_32 3
		.amdhsa_float_denorm_mode_16_64 3
		.amdhsa_dx10_clamp 1
		.amdhsa_ieee_mode 1
		.amdhsa_fp16_overflow 0
		.amdhsa_exception_fp_ieee_invalid_op 0
		.amdhsa_exception_fp_denorm_src 0
		.amdhsa_exception_fp_ieee_div_zero 0
		.amdhsa_exception_fp_ieee_overflow 0
		.amdhsa_exception_fp_ieee_underflow 0
		.amdhsa_exception_fp_ieee_inexact 0
		.amdhsa_exception_int_div_zero 0
	.end_amdhsa_kernel
	.section	.text._ZN9rocsparseL29gtsv_spike_block_level_kernelILj256ELj32EdEEviiiPT1_PKS1_S4_S2_S2_S2_S2_S2_,"axG",@progbits,_ZN9rocsparseL29gtsv_spike_block_level_kernelILj256ELj32EdEEviiiPT1_PKS1_S4_S2_S2_S2_S2_S2_,comdat
.Lfunc_end144:
	.size	_ZN9rocsparseL29gtsv_spike_block_level_kernelILj256ELj32EdEEviiiPT1_PKS1_S4_S2_S2_S2_S2_S2_, .Lfunc_end144-_ZN9rocsparseL29gtsv_spike_block_level_kernelILj256ELj32EdEEviiiPT1_PKS1_S4_S2_S2_S2_S2_S2_
                                        ; -- End function
	.set _ZN9rocsparseL29gtsv_spike_block_level_kernelILj256ELj32EdEEviiiPT1_PKS1_S4_S2_S2_S2_S2_S2_.num_vgpr, 42
	.set _ZN9rocsparseL29gtsv_spike_block_level_kernelILj256ELj32EdEEviiiPT1_PKS1_S4_S2_S2_S2_S2_S2_.num_agpr, 0
	.set _ZN9rocsparseL29gtsv_spike_block_level_kernelILj256ELj32EdEEviiiPT1_PKS1_S4_S2_S2_S2_S2_S2_.numbered_sgpr, 24
	.set _ZN9rocsparseL29gtsv_spike_block_level_kernelILj256ELj32EdEEviiiPT1_PKS1_S4_S2_S2_S2_S2_S2_.num_named_barrier, 0
	.set _ZN9rocsparseL29gtsv_spike_block_level_kernelILj256ELj32EdEEviiiPT1_PKS1_S4_S2_S2_S2_S2_S2_.private_seg_size, 0
	.set _ZN9rocsparseL29gtsv_spike_block_level_kernelILj256ELj32EdEEviiiPT1_PKS1_S4_S2_S2_S2_S2_S2_.uses_vcc, 1
	.set _ZN9rocsparseL29gtsv_spike_block_level_kernelILj256ELj32EdEEviiiPT1_PKS1_S4_S2_S2_S2_S2_S2_.uses_flat_scratch, 0
	.set _ZN9rocsparseL29gtsv_spike_block_level_kernelILj256ELj32EdEEviiiPT1_PKS1_S4_S2_S2_S2_S2_S2_.has_dyn_sized_stack, 0
	.set _ZN9rocsparseL29gtsv_spike_block_level_kernelILj256ELj32EdEEviiiPT1_PKS1_S4_S2_S2_S2_S2_S2_.has_recursion, 0
	.set _ZN9rocsparseL29gtsv_spike_block_level_kernelILj256ELj32EdEEviiiPT1_PKS1_S4_S2_S2_S2_S2_S2_.has_indirect_call, 0
	.section	.AMDGPU.csdata,"",@progbits
; Kernel info:
; codeLenInByte = 4220
; TotalNumSgprs: 28
; NumVgprs: 42
; ScratchSize: 0
; MemoryBound: 0
; FloatMode: 240
; IeeeMode: 1
; LDSByteSize: 12288 bytes/workgroup (compile time only)
; SGPRBlocks: 12
; VGPRBlocks: 10
; NumSGPRsForWavesPerEU: 102
; NumVGPRsForWavesPerEU: 42
; Occupancy: 5
; WaveLimiterHint : 0
; COMPUTE_PGM_RSRC2:SCRATCH_EN: 0
; COMPUTE_PGM_RSRC2:USER_SGPR: 6
; COMPUTE_PGM_RSRC2:TRAP_HANDLER: 0
; COMPUTE_PGM_RSRC2:TGID_X_EN: 1
; COMPUTE_PGM_RSRC2:TGID_Y_EN: 1
; COMPUTE_PGM_RSRC2:TGID_Z_EN: 0
; COMPUTE_PGM_RSRC2:TIDIG_COMP_CNT: 0
	.section	.text._ZN9rocsparseL33gtsv_solve_spike_propagate_kernelILj256ELj32EdEEviiiPT1_PKS1_S4_S4_,"axG",@progbits,_ZN9rocsparseL33gtsv_solve_spike_propagate_kernelILj256ELj32EdEEviiiPT1_PKS1_S4_S4_,comdat
	.globl	_ZN9rocsparseL33gtsv_solve_spike_propagate_kernelILj256ELj32EdEEviiiPT1_PKS1_S4_S4_ ; -- Begin function _ZN9rocsparseL33gtsv_solve_spike_propagate_kernelILj256ELj32EdEEviiiPT1_PKS1_S4_S4_
	.p2align	8
	.type	_ZN9rocsparseL33gtsv_solve_spike_propagate_kernelILj256ELj32EdEEviiiPT1_PKS1_S4_S4_,@function
_ZN9rocsparseL33gtsv_solve_spike_propagate_kernelILj256ELj32EdEEviiiPT1_PKS1_S4_S4_: ; @_ZN9rocsparseL33gtsv_solve_spike_propagate_kernelILj256ELj32EdEEviiiPT1_PKS1_S4_S4_
; %bb.0:
	s_load_dword s10, s[4:5], 0x0
	v_lshl_or_b32 v1, s6, 8, v0
	v_mov_b32_e32 v3, 0
	v_mov_b32_e32 v5, 0
	;; [unrolled: 1-line block ×3, first 2 shown]
	s_waitcnt lgkmcnt(0)
	s_lshr_b32 s14, s10, 5
	v_cmp_le_i32_e64 s[0:1], s14, v1
	v_cmp_gt_i32_e32 vcc, s14, v1
	v_mov_b32_e32 v6, 0
	v_ashrrev_i32_e32 v2, 31, v1
	s_and_saveexec_b64 s[8:9], vcc
	s_cbranch_execz .LBB145_2
; %bb.1:
	s_load_dwordx2 s[12:13], s[4:5], 0x18
	v_lshlrev_b64 v[3:4], 3, v[1:2]
	v_mad_u64_u32 v[5:6], s[2:3], s14, 31, v[1:2]
	s_waitcnt lgkmcnt(0)
	v_mov_b32_e32 v6, s13
	v_add_co_u32_e64 v7, s[2:3], s12, v3
	v_addc_co_u32_e64 v8, s[2:3], v6, v4, s[2:3]
	v_mov_b32_e32 v6, 0
	v_lshlrev_b64 v[3:4], 3, v[5:6]
	v_mov_b32_e32 v5, s13
	v_add_co_u32_e64 v9, s[2:3], s12, v3
	v_addc_co_u32_e64 v10, s[2:3], v5, v4, s[2:3]
	global_load_dwordx2 v[3:4], v[7:8], off
	global_load_dwordx2 v[5:6], v[9:10], off
.LBB145_2:
	s_or_b64 exec, exec, s[8:9]
	s_load_dwordx2 s[2:3], s[4:5], 0x10
	v_lshlrev_b32_e32 v7, 3, v0
	v_add_u32_e32 v8, 16, v7
	s_waitcnt vmcnt(0)
	ds_write2st64_b64 v8, v[3:4], v[5:6] offset0:16 offset1:20
	s_and_saveexec_b64 s[8:9], s[0:1]
	s_xor_b64 s[0:1], exec, s[8:9]
; %bb.3:
	s_mov_b32 s8, 0
	s_mov_b32 s9, s8
	v_mov_b32_e32 v2, s8
	v_mov_b32_e32 v3, s9
	ds_write2st64_b64 v8, v[2:3], v[2:3] offset0:8 offset1:12
; %bb.4:
	s_or_saveexec_b64 s[8:9], s[0:1]
	v_mov_b32_e32 v3, 0
	v_mov_b32_e32 v5, 0
	;; [unrolled: 1-line block ×4, first 2 shown]
	s_mul_i32 s10, s10, s7
	s_xor_b64 exec, exec, s[8:9]
	s_cbranch_execz .LBB145_6
; %bb.5:
	s_load_dwordx2 s[12:13], s[4:5], 0x20
	v_mad_u64_u32 v[8:9], s[0:1], s14, 31, v[1:2]
	v_lshlrev_b64 v[5:6], 3, v[1:2]
	v_mov_b32_e32 v9, 0
	s_waitcnt lgkmcnt(0)
	v_mov_b32_e32 v2, s13
	v_add_co_u32_e64 v5, s[0:1], s12, v5
	v_lshlrev_b64 v[10:11], 3, v[8:9]
	v_addc_co_u32_e64 v6, s[0:1], v2, v6, s[0:1]
	v_add_co_u32_e64 v10, s[0:1], s12, v10
	v_add_u32_e32 v8, s10, v8
	v_addc_co_u32_e64 v11, s[0:1], v2, v11, s[0:1]
	global_load_dwordx2 v[12:13], v[5:6], off
	global_load_dwordx2 v[14:15], v[10:11], off
	v_lshlrev_b64 v[5:6], 3, v[8:9]
	v_mov_b32_e32 v2, s3
	v_add_co_u32_e64 v5, s[0:1], s2, v5
	v_addc_co_u32_e64 v6, s[0:1], v2, v6, s[0:1]
	global_load_dwordx2 v[5:6], v[5:6], off
	v_add_u32_e32 v2, 16, v7
	s_waitcnt vmcnt(1)
	ds_write2st64_b64 v2, v[12:13], v[14:15] offset0:8 offset1:12
.LBB145_6:
	s_or_b64 exec, exec, s[8:9]
	v_add_u32_e32 v1, s10, v1
	s_waitcnt vmcnt(0)
	ds_write_b64 v7, v[5:6] offset:8
	s_and_saveexec_b64 s[8:9], vcc
	s_cbranch_execz .LBB145_8
; %bb.7:
	v_ashrrev_i32_e32 v2, 31, v1
	v_lshlrev_b64 v[2:3], 3, v[1:2]
	s_waitcnt lgkmcnt(0)
	v_mov_b32_e32 v4, s3
	v_add_co_u32_e64 v2, s[0:1], s2, v2
	v_addc_co_u32_e64 v3, s[0:1], v4, v3, s[0:1]
	global_load_dwordx2 v[3:4], v[2:3], off
.LBB145_8:
	s_or_b64 exec, exec, s[8:9]
	v_cmp_eq_u32_e64 s[0:1], 0, v0
	s_waitcnt vmcnt(0)
	ds_write_b64 v7, v[3:4] offset:2056
	s_waitcnt lgkmcnt(0)
	s_barrier
	s_and_saveexec_b64 s[8:9], s[0:1]
	s_cbranch_execz .LBB145_14
; %bb.9:
	s_load_dword s15, s[4:5], 0x30
	s_load_dwordx2 s[10:11], s[4:5], 0x28
	s_cmp_lt_i32 s6, 1
	s_mov_b64 s[4:5], 0
	s_mov_b64 s[12:13], 0
	s_waitcnt lgkmcnt(0)
	s_mul_i32 s7, s7, s15
	s_cbranch_scc1 .LBB145_11
; %bb.10:
	s_lshl_b32 s12, s7, 1
	s_add_i32 s13, s6, s15
	s_add_i32 s12, s13, s12
	s_add_i32 s12, s12, -1
	s_mov_b32 s13, 0
	s_lshl_b64 s[12:13], s[12:13], 3
	s_add_u32 s12, s10, s12
	s_addc_u32 s13, s11, s13
	s_load_dwordx2 s[12:13], s[12:13], 0x0
.LBB145_11:
	s_waitcnt lgkmcnt(0)
	v_mov_b32_e32 v3, s12
	v_mov_b32_e32 v4, s13
	s_add_i32 s12, s15, -1
	v_mov_b32_e32 v2, 0
	s_cmp_ge_u32 s6, s12
	ds_write_b64 v2, v[3:4]
	s_cbranch_scc1 .LBB145_13
; %bb.12:
	s_lshl_b32 s4, s7, 1
	s_add_i32 s4, s6, s4
	s_add_i32 s4, s4, 1
	s_mov_b32 s5, 0
	s_lshl_b64 s[4:5], s[4:5], 3
	s_add_u32 s4, s10, s4
	s_addc_u32 s5, s11, s5
	s_load_dwordx2 s[4:5], s[4:5], 0x0
.LBB145_13:
	s_lshl_b32 s7, s7, 1
	s_add_i32 s6, s7, s6
	s_mov_b32 s7, 0
	s_lshl_b64 s[12:13], s[6:7], 3
	s_add_u32 s12, s10, s12
	s_addc_u32 s13, s11, s13
	s_add_i32 s6, s6, s15
	s_lshl_b64 s[6:7], s[6:7], 3
	s_add_u32 s6, s10, s6
	s_addc_u32 s7, s11, s7
	s_load_dwordx2 s[10:11], s[6:7], 0x0
	s_load_dwordx2 s[16:17], s[12:13], 0x0
	s_waitcnt lgkmcnt(0)
	v_mov_b32_e32 v3, s4
	v_mov_b32_e32 v4, s5
	ds_write_b64 v2, v[3:4] offset:4104
	v_mov_b32_e32 v3, s10
	v_mov_b32_e32 v4, s11
	;; [unrolled: 1-line block ×4, first 2 shown]
	ds_write_b128 v2, v[3:6] offset:2048
.LBB145_14:
	s_or_b64 exec, exec, s[8:9]
	s_waitcnt lgkmcnt(0)
	s_barrier
	s_and_saveexec_b64 s[4:5], s[0:1]
	s_cbranch_execz .LBB145_16
; %bb.15:
	s_movk_i32 s0, 0x1410
	v_mov_b32_e32 v6, 0
	v_add_u32_e64 v12, s0, 0
	v_add_u32_e64 v8, 8, 0
	ds_read2st64_b64 v[2:5], v6 offset1:2
	ds_read2st64_b64 v[8:11], v8 offset0:6 offset1:8
	ds_read2_b64 v[12:15], v12 offset1:255
	s_movk_i32 s0, 0x2410
	s_waitcnt lgkmcnt(0)
	v_fma_f64 v[4:5], -v[14:15], v[10:11], v[4:5]
	v_fma_f64 v[12:13], -v[12:13], v[10:11], v[8:9]
	v_add_u32_e64 v8, s0, 0
	ds_read2_b64 v[8:11], v8 offset1:255
	s_waitcnt lgkmcnt(0)
	v_fma_f64 v[4:5], -v[10:11], v[2:3], v[4:5]
	v_fma_f64 v[2:3], -v[8:9], v[2:3], v[12:13]
	ds_write_b64 v6, v[4:5] offset:1024
	ds_write_b64 v6, v[2:3] offset:3080
.LBB145_16:
	s_or_b64 exec, exec, s[4:5]
	v_cmp_gt_u32_e64 s[0:1], 2, v0
	s_waitcnt lgkmcnt(0)
	s_barrier
	s_and_saveexec_b64 s[4:5], s[0:1]
	s_cbranch_execz .LBB145_18
; %bb.17:
	s_movk_i32 s0, 0x3f8
	v_mad_u32_u24 v6, v0, s0, v7
	v_lshlrev_b32_e32 v16, 10, v0
	v_add_u32_e32 v8, 0x1210, v16
	v_add_u32_e32 v12, 8, v6
	ds_read2st64_b64 v[2:5], v6 offset1:1
	ds_read2_b64 v[8:11], v8 offset1:255
	ds_read2st64_b64 v[12:15], v12 offset0:5 offset1:6
	s_waitcnt lgkmcnt(0)
	v_fma_f64 v[4:5], -v[10:11], v[14:15], v[4:5]
	v_fma_f64 v[12:13], -v[8:9], v[14:15], v[12:13]
	v_add_u32_e32 v8, 0x2210, v16
	ds_read2_b64 v[8:11], v8 offset1:255
	s_waitcnt lgkmcnt(0)
	v_fma_f64 v[4:5], -v[10:11], v[2:3], v[4:5]
	v_fma_f64 v[2:3], -v[8:9], v[2:3], v[12:13]
	ds_write_b64 v6, v[4:5] offset:512
	ds_write_b64 v6, v[2:3] offset:2568
.LBB145_18:
	s_or_b64 exec, exec, s[4:5]
	v_cmp_gt_u32_e64 s[0:1], 4, v0
	s_waitcnt lgkmcnt(0)
	s_barrier
	s_and_saveexec_b64 s[4:5], s[0:1]
	s_cbranch_execz .LBB145_20
; %bb.19:
	v_lshlrev_b32_e32 v6, 9, v0
	v_add_u32_e32 v8, 0x1110, v6
	v_add_u32_e32 v12, 0x800, v6
	ds_read2_b64 v[2:5], v6 offset1:32
	ds_read2_b64 v[8:11], v8 offset1:255
	ds_read2_b64 v[12:15], v12 offset0:33 offset1:65
	s_waitcnt lgkmcnt(0)
	v_fma_f64 v[4:5], -v[10:11], v[14:15], v[4:5]
	v_fma_f64 v[12:13], -v[8:9], v[14:15], v[12:13]
	v_add_u32_e32 v8, 0x2110, v6
	ds_read2_b64 v[8:11], v8 offset1:255
	s_waitcnt lgkmcnt(0)
	v_fma_f64 v[4:5], -v[10:11], v[2:3], v[4:5]
	v_fma_f64 v[2:3], -v[8:9], v[2:3], v[12:13]
	ds_write_b64 v6, v[4:5] offset:256
	ds_write_b64 v6, v[2:3] offset:2312
.LBB145_20:
	s_or_b64 exec, exec, s[4:5]
	v_cmp_gt_u32_e64 s[0:1], 8, v0
	s_waitcnt lgkmcnt(0)
	s_barrier
	s_and_saveexec_b64 s[4:5], s[0:1]
	s_cbranch_execz .LBB145_22
; %bb.21:
	v_lshlrev_b32_e32 v6, 8, v0
	v_add_u32_e32 v8, 0x1090, v6
	v_add_u32_e32 v12, 0x800, v6
	ds_read2_b64 v[2:5], v6 offset1:16
	ds_read2_b64 v[8:11], v8 offset1:255
	ds_read2_b64 v[12:15], v12 offset0:17 offset1:33
	s_waitcnt lgkmcnt(0)
	v_fma_f64 v[4:5], -v[10:11], v[14:15], v[4:5]
	v_fma_f64 v[12:13], -v[8:9], v[14:15], v[12:13]
	v_add_u32_e32 v8, 0x2090, v6
	ds_read2_b64 v[8:11], v8 offset1:255
	s_waitcnt lgkmcnt(0)
	v_fma_f64 v[4:5], -v[10:11], v[2:3], v[4:5]
	v_fma_f64 v[2:3], -v[8:9], v[2:3], v[12:13]
	ds_write_b64 v6, v[4:5] offset:128
	ds_write_b64 v6, v[2:3] offset:2184
.LBB145_22:
	;; [unrolled: 24-line block ×5, first 2 shown]
	s_or_b64 exec, exec, s[4:5]
	s_movk_i32 s0, 0x80
	v_cmp_gt_u32_e64 s[0:1], s0, v0
	s_waitcnt lgkmcnt(0)
	s_barrier
	s_and_saveexec_b64 s[4:5], s[0:1]
	s_cbranch_execz .LBB145_30
; %bb.29:
	v_lshlrev_b32_e32 v0, 4, v0
	v_add_u32_e32 v6, 0x1018, v0
	ds_read_b128 v[2:5], v0
	ds_read_b128 v[8:11], v0 offset:2064
	ds_read2_b64 v[12:15], v6 offset1:255
	v_add_u32_e32 v6, 0x2018, v0
	s_waitcnt lgkmcnt(0)
	v_fma_f64 v[4:5], -v[14:15], v[10:11], v[4:5]
	v_fma_f64 v[12:13], -v[12:13], v[10:11], v[8:9]
	ds_read2_b64 v[8:11], v6 offset1:255
	s_waitcnt lgkmcnt(0)
	v_fma_f64 v[4:5], -v[10:11], v[2:3], v[4:5]
	v_fma_f64 v[2:3], -v[8:9], v[2:3], v[12:13]
	ds_write_b64 v0, v[4:5] offset:8
	ds_write_b64 v0, v[2:3] offset:2064
.LBB145_30:
	s_or_b64 exec, exec, s[4:5]
	s_waitcnt lgkmcnt(0)
	s_barrier
	s_and_saveexec_b64 s[0:1], vcc
	s_cbranch_execz .LBB145_32
; %bb.31:
	v_add_u32_e32 v0, 8, v7
	ds_read2st64_b64 v[3:6], v0 offset1:4
	v_ashrrev_i32_e32 v2, 31, v1
	v_lshlrev_b64 v[7:8], 3, v[1:2]
	v_mov_b32_e32 v2, s3
	v_mad_u64_u32 v[0:1], s[0:1], s14, 31, v[1:2]
	v_add_co_u32_e32 v1, vcc, s2, v7
	v_addc_co_u32_e32 v2, vcc, v2, v8, vcc
	s_waitcnt lgkmcnt(0)
	global_store_dwordx2 v[1:2], v[5:6], off
	v_mov_b32_e32 v1, 0
	v_lshlrev_b64 v[0:1], 3, v[0:1]
	v_mov_b32_e32 v2, s3
	v_add_co_u32_e32 v0, vcc, s2, v0
	v_addc_co_u32_e32 v1, vcc, v2, v1, vcc
	global_store_dwordx2 v[0:1], v[3:4], off
.LBB145_32:
	s_endpgm
	.section	.rodata,"a",@progbits
	.p2align	6, 0x0
	.amdhsa_kernel _ZN9rocsparseL33gtsv_solve_spike_propagate_kernelILj256ELj32EdEEviiiPT1_PKS1_S4_S4_
		.amdhsa_group_segment_fixed_size 12304
		.amdhsa_private_segment_fixed_size 0
		.amdhsa_kernarg_size 304
		.amdhsa_user_sgpr_count 6
		.amdhsa_user_sgpr_private_segment_buffer 1
		.amdhsa_user_sgpr_dispatch_ptr 0
		.amdhsa_user_sgpr_queue_ptr 0
		.amdhsa_user_sgpr_kernarg_segment_ptr 1
		.amdhsa_user_sgpr_dispatch_id 0
		.amdhsa_user_sgpr_flat_scratch_init 0
		.amdhsa_user_sgpr_private_segment_size 0
		.amdhsa_uses_dynamic_stack 0
		.amdhsa_system_sgpr_private_segment_wavefront_offset 0
		.amdhsa_system_sgpr_workgroup_id_x 1
		.amdhsa_system_sgpr_workgroup_id_y 1
		.amdhsa_system_sgpr_workgroup_id_z 0
		.amdhsa_system_sgpr_workgroup_info 0
		.amdhsa_system_vgpr_workitem_id 0
		.amdhsa_next_free_vgpr 41
		.amdhsa_next_free_sgpr 98
		.amdhsa_reserve_vcc 1
		.amdhsa_reserve_flat_scratch 0
		.amdhsa_float_round_mode_32 0
		.amdhsa_float_round_mode_16_64 0
		.amdhsa_float_denorm_mode_32 3
		.amdhsa_float_denorm_mode_16_64 3
		.amdhsa_dx10_clamp 1
		.amdhsa_ieee_mode 1
		.amdhsa_fp16_overflow 0
		.amdhsa_exception_fp_ieee_invalid_op 0
		.amdhsa_exception_fp_denorm_src 0
		.amdhsa_exception_fp_ieee_div_zero 0
		.amdhsa_exception_fp_ieee_overflow 0
		.amdhsa_exception_fp_ieee_underflow 0
		.amdhsa_exception_fp_ieee_inexact 0
		.amdhsa_exception_int_div_zero 0
	.end_amdhsa_kernel
	.section	.text._ZN9rocsparseL33gtsv_solve_spike_propagate_kernelILj256ELj32EdEEviiiPT1_PKS1_S4_S4_,"axG",@progbits,_ZN9rocsparseL33gtsv_solve_spike_propagate_kernelILj256ELj32EdEEviiiPT1_PKS1_S4_S4_,comdat
.Lfunc_end145:
	.size	_ZN9rocsparseL33gtsv_solve_spike_propagate_kernelILj256ELj32EdEEviiiPT1_PKS1_S4_S4_, .Lfunc_end145-_ZN9rocsparseL33gtsv_solve_spike_propagate_kernelILj256ELj32EdEEviiiPT1_PKS1_S4_S4_
                                        ; -- End function
	.set _ZN9rocsparseL33gtsv_solve_spike_propagate_kernelILj256ELj32EdEEviiiPT1_PKS1_S4_S4_.num_vgpr, 17
	.set _ZN9rocsparseL33gtsv_solve_spike_propagate_kernelILj256ELj32EdEEviiiPT1_PKS1_S4_S4_.num_agpr, 0
	.set _ZN9rocsparseL33gtsv_solve_spike_propagate_kernelILj256ELj32EdEEviiiPT1_PKS1_S4_S4_.numbered_sgpr, 18
	.set _ZN9rocsparseL33gtsv_solve_spike_propagate_kernelILj256ELj32EdEEviiiPT1_PKS1_S4_S4_.num_named_barrier, 0
	.set _ZN9rocsparseL33gtsv_solve_spike_propagate_kernelILj256ELj32EdEEviiiPT1_PKS1_S4_S4_.private_seg_size, 0
	.set _ZN9rocsparseL33gtsv_solve_spike_propagate_kernelILj256ELj32EdEEviiiPT1_PKS1_S4_S4_.uses_vcc, 1
	.set _ZN9rocsparseL33gtsv_solve_spike_propagate_kernelILj256ELj32EdEEviiiPT1_PKS1_S4_S4_.uses_flat_scratch, 0
	.set _ZN9rocsparseL33gtsv_solve_spike_propagate_kernelILj256ELj32EdEEviiiPT1_PKS1_S4_S4_.has_dyn_sized_stack, 0
	.set _ZN9rocsparseL33gtsv_solve_spike_propagate_kernelILj256ELj32EdEEviiiPT1_PKS1_S4_S4_.has_recursion, 0
	.set _ZN9rocsparseL33gtsv_solve_spike_propagate_kernelILj256ELj32EdEEviiiPT1_PKS1_S4_S4_.has_indirect_call, 0
	.section	.AMDGPU.csdata,"",@progbits
; Kernel info:
; codeLenInByte = 2036
; TotalNumSgprs: 22
; NumVgprs: 17
; ScratchSize: 0
; MemoryBound: 0
; FloatMode: 240
; IeeeMode: 1
; LDSByteSize: 12304 bytes/workgroup (compile time only)
; SGPRBlocks: 12
; VGPRBlocks: 10
; NumSGPRsForWavesPerEU: 102
; NumVGPRsForWavesPerEU: 41
; Occupancy: 5
; WaveLimiterHint : 0
; COMPUTE_PGM_RSRC2:SCRATCH_EN: 0
; COMPUTE_PGM_RSRC2:USER_SGPR: 6
; COMPUTE_PGM_RSRC2:TRAP_HANDLER: 0
; COMPUTE_PGM_RSRC2:TGID_X_EN: 1
; COMPUTE_PGM_RSRC2:TGID_Y_EN: 1
; COMPUTE_PGM_RSRC2:TGID_Z_EN: 0
; COMPUTE_PGM_RSRC2:TIDIG_COMP_CNT: 0
	.section	.text._ZN9rocsparseL39gtsv_spike_backward_substitution_kernelILj256ELj32EdEEviiiPT1_PKS1_S4_,"axG",@progbits,_ZN9rocsparseL39gtsv_spike_backward_substitution_kernelILj256ELj32EdEEviiiPT1_PKS1_S4_,comdat
	.globl	_ZN9rocsparseL39gtsv_spike_backward_substitution_kernelILj256ELj32EdEEviiiPT1_PKS1_S4_ ; -- Begin function _ZN9rocsparseL39gtsv_spike_backward_substitution_kernelILj256ELj32EdEEviiiPT1_PKS1_S4_
	.p2align	8
	.type	_ZN9rocsparseL39gtsv_spike_backward_substitution_kernelILj256ELj32EdEEviiiPT1_PKS1_S4_,@function
_ZN9rocsparseL39gtsv_spike_backward_substitution_kernelILj256ELj32EdEEviiiPT1_PKS1_S4_: ; @_ZN9rocsparseL39gtsv_spike_backward_substitution_kernelILj256ELj32EdEEviiiPT1_PKS1_S4_
; %bb.0:
	s_load_dword s12, s[4:5], 0x0
	s_lshl_b32 s6, s6, 8
	v_or_b32_e32 v5, s6, v0
	s_waitcnt lgkmcnt(0)
	s_lshr_b32 s10, s12, 5
	v_cmp_gt_i32_e32 vcc, s10, v5
	s_and_saveexec_b64 s[0:1], vcc
	s_cbranch_execz .LBB146_9
; %bb.1:
	s_load_dwordx2 s[8:9], s[4:5], 0x10
	v_mov_b32_e32 v1, 0
	v_cmp_lt_i32_e32 vcc, 0, v5
	v_mov_b32_e32 v2, 0
	s_mul_i32 s11, s12, s7
	s_and_saveexec_b64 s[0:1], vcc
	s_cbranch_execz .LBB146_3
; %bb.2:
	s_mul_i32 s2, s10, 31
	s_mul_i32 s3, s12, s7
	s_add_i32 s2, s2, s3
	v_add3_u32 v1, v5, s2, -1
	v_mov_b32_e32 v2, 0
	v_lshlrev_b64 v[1:2], 3, v[1:2]
	s_waitcnt lgkmcnt(0)
	v_mov_b32_e32 v3, s9
	v_add_co_u32_e32 v1, vcc, s8, v1
	v_addc_co_u32_e32 v2, vcc, v3, v2, vcc
	global_load_dwordx2 v[1:2], v[1:2], off
.LBB146_3:
	s_or_b64 exec, exec, s[0:1]
	s_load_dwordx4 s[0:3], s[4:5], 0x18
	v_add_u32_e32 v3, 32, v5
	v_cmp_le_u32_e32 vcc, s12, v3
	s_and_saveexec_b64 s[4:5], vcc
	s_xor_b64 s[4:5], exec, s[4:5]
; %bb.4:
                                        ; implicit-def: $vgpr5
; %bb.5:
	s_or_saveexec_b64 s[4:5], s[4:5]
	v_mov_b32_e32 v3, 0
	v_mov_b32_e32 v4, 0
	;; [unrolled: 1-line block ×3, first 2 shown]
	s_xor_b64 exec, exec, s[4:5]
	s_cbranch_execz .LBB146_7
; %bb.6:
	s_ashr_i32 s7, s11, 31
	v_ashrrev_i32_e32 v4, 31, v5
	v_mov_b32_e32 v6, s7
	v_add_co_u32_e32 v3, vcc, s11, v5
	v_addc_co_u32_e32 v4, vcc, v4, v6, vcc
	v_lshlrev_b64 v[3:4], 3, v[3:4]
	s_waitcnt lgkmcnt(0)
	v_mov_b32_e32 v5, s9
	v_add_co_u32_e32 v3, vcc, s8, v3
	v_addc_co_u32_e32 v4, vcc, v5, v4, vcc
	global_load_dwordx2 v[3:4], v[3:4], off offset:8
	v_mov_b32_e32 v15, s11
.LBB146_7:
	s_or_b64 exec, exec, s[4:5]
	v_add_u32_e32 v13, v0, v15
	s_lshl_b32 s5, s10, 1
	v_add_u32_e32 v5, s5, v13
	v_add_u32_e32 v6, s5, v0
	s_mul_i32 s5, s10, 3
	v_add_u32_e32 v7, s5, v13
	v_add_u32_e32 v8, s5, v0
	s_lshl_b32 s5, s10, 2
	s_mul_i32 s4, s10, 6
	v_add_u32_e32 v9, s5, v13
	v_add_u32_e32 v10, s5, v0
	s_mul_i32 s5, s10, 5
	v_add_u32_e32 v12, s5, v0
	v_add_u32_e32 v14, s4, v0
	;; [unrolled: 1-line block ×6, first 2 shown]
	s_mov_b32 s5, 30
	s_waitcnt lgkmcnt(0)
	v_mov_b32_e32 v16, s9
	v_mov_b32_e32 v17, s1
	;; [unrolled: 1-line block ×3, first 2 shown]
.LBB146_8:                              ; =>This Inner Loop Header: Depth=1
	v_add_u32_e32 v19, s6, v15
	v_ashrrev_i32_e32 v20, 31, v19
	v_add_u32_e32 v21, s6, v0
	v_lshlrev_b64 v[19:20], 3, v[19:20]
	v_ashrrev_i32_e32 v22, 31, v21
	v_lshlrev_b64 v[21:22], 3, v[21:22]
	v_add_co_u32_e32 v19, vcc, s8, v19
	v_addc_co_u32_e32 v20, vcc, v16, v20, vcc
	v_add_co_u32_e32 v23, vcc, s0, v21
	v_addc_co_u32_e32 v24, vcc, v17, v22, vcc
	global_load_dwordx2 v[27:28], v[23:24], off
	global_load_dwordx2 v[29:30], v[19:20], off
	v_add_co_u32_e32 v21, vcc, s2, v21
	v_addc_co_u32_e32 v22, vcc, v18, v22, vcc
	global_load_dwordx2 v[21:22], v[21:22], off
	v_add_u32_e32 v25, s6, v5
	v_ashrrev_i32_e32 v26, 31, v25
	v_lshlrev_b64 v[25:26], 3, v[25:26]
	s_add_i32 s5, s5, -6
	v_add_co_u32_e32 v25, vcc, s8, v25
	v_addc_co_u32_e32 v26, vcc, v16, v26, vcc
	v_add_u32_e32 v5, s4, v5
	v_add_u32_e32 v0, s4, v0
	;; [unrolled: 1-line block ×3, first 2 shown]
	s_cmp_lg_u32 s5, 0
	s_waitcnt vmcnt(1)
	v_fma_f64 v[23:24], -v[1:2], v[27:28], v[29:30]
	s_waitcnt vmcnt(0)
	v_fma_f64 v[21:22], -v[3:4], v[21:22], v[23:24]
	v_add_u32_e32 v23, s6, v6
	v_ashrrev_i32_e32 v24, 31, v23
	v_lshlrev_b64 v[23:24], 3, v[23:24]
	v_add_u32_e32 v6, s4, v6
	global_store_dwordx2 v[19:20], v[21:22], off
	v_add_co_u32_e32 v19, vcc, s0, v23
	v_addc_co_u32_e32 v20, vcc, v17, v24, vcc
	global_load_dwordx2 v[27:28], v[19:20], off
	global_load_dwordx2 v[29:30], v[25:26], off
	v_add_co_u32_e32 v21, vcc, s2, v23
	v_addc_co_u32_e32 v22, vcc, v18, v24, vcc
	global_load_dwordx2 v[21:22], v[21:22], off
	v_add_u32_e32 v23, s6, v7
	v_ashrrev_i32_e32 v24, 31, v23
	v_lshlrev_b64 v[23:24], 3, v[23:24]
	v_add_u32_e32 v7, s4, v7
	v_add_co_u32_e32 v23, vcc, s8, v23
	v_addc_co_u32_e32 v24, vcc, v16, v24, vcc
	s_waitcnt vmcnt(1)
	v_fma_f64 v[19:20], -v[1:2], v[27:28], v[29:30]
	s_waitcnt vmcnt(0)
	v_fma_f64 v[19:20], -v[3:4], v[21:22], v[19:20]
	v_add_u32_e32 v21, s6, v8
	v_ashrrev_i32_e32 v22, 31, v21
	v_lshlrev_b64 v[21:22], 3, v[21:22]
	v_add_u32_e32 v8, s4, v8
	global_store_dwordx2 v[25:26], v[19:20], off
	v_add_co_u32_e32 v19, vcc, s0, v21
	v_addc_co_u32_e32 v20, vcc, v17, v22, vcc
	global_load_dwordx2 v[27:28], v[19:20], off
	global_load_dwordx2 v[29:30], v[23:24], off
	v_add_co_u32_e32 v21, vcc, s2, v21
	v_addc_co_u32_e32 v22, vcc, v18, v22, vcc
	global_load_dwordx2 v[21:22], v[21:22], off
	v_add_u32_e32 v25, s6, v9
	v_ashrrev_i32_e32 v26, 31, v25
	v_lshlrev_b64 v[25:26], 3, v[25:26]
	v_add_u32_e32 v9, s4, v9
	v_add_co_u32_e32 v25, vcc, s8, v25
	v_addc_co_u32_e32 v26, vcc, v16, v26, vcc
	;; [unrolled: 22-line block ×4, first 2 shown]
	s_waitcnt vmcnt(1)
	v_fma_f64 v[19:20], -v[1:2], v[27:28], v[29:30]
	s_waitcnt vmcnt(0)
	v_fma_f64 v[19:20], -v[3:4], v[21:22], v[19:20]
	v_add_u32_e32 v21, s6, v14
	v_ashrrev_i32_e32 v22, 31, v21
	v_lshlrev_b64 v[21:22], 3, v[21:22]
	v_add_u32_e32 v14, s4, v14
	global_store_dwordx2 v[23:24], v[19:20], off
	v_add_co_u32_e32 v19, vcc, s0, v21
	v_addc_co_u32_e32 v20, vcc, v17, v22, vcc
	v_add_co_u32_e32 v21, vcc, s2, v21
	v_addc_co_u32_e32 v22, vcc, v18, v22, vcc
	global_load_dwordx2 v[23:24], v[19:20], off
	global_load_dwordx2 v[27:28], v[25:26], off
	;; [unrolled: 1-line block ×3, first 2 shown]
	s_waitcnt vmcnt(1)
	v_fma_f64 v[19:20], -v[1:2], v[23:24], v[27:28]
	s_waitcnt vmcnt(0)
	v_fma_f64 v[19:20], -v[3:4], v[29:30], v[19:20]
	global_store_dwordx2 v[25:26], v[19:20], off
	s_cbranch_scc1 .LBB146_8
.LBB146_9:
	s_endpgm
	.section	.rodata,"a",@progbits
	.p2align	6, 0x0
	.amdhsa_kernel _ZN9rocsparseL39gtsv_spike_backward_substitution_kernelILj256ELj32EdEEviiiPT1_PKS1_S4_
		.amdhsa_group_segment_fixed_size 0
		.amdhsa_private_segment_fixed_size 0
		.amdhsa_kernarg_size 40
		.amdhsa_user_sgpr_count 6
		.amdhsa_user_sgpr_private_segment_buffer 1
		.amdhsa_user_sgpr_dispatch_ptr 0
		.amdhsa_user_sgpr_queue_ptr 0
		.amdhsa_user_sgpr_kernarg_segment_ptr 1
		.amdhsa_user_sgpr_dispatch_id 0
		.amdhsa_user_sgpr_flat_scratch_init 0
		.amdhsa_user_sgpr_private_segment_size 0
		.amdhsa_uses_dynamic_stack 0
		.amdhsa_system_sgpr_private_segment_wavefront_offset 0
		.amdhsa_system_sgpr_workgroup_id_x 1
		.amdhsa_system_sgpr_workgroup_id_y 1
		.amdhsa_system_sgpr_workgroup_id_z 0
		.amdhsa_system_sgpr_workgroup_info 0
		.amdhsa_system_vgpr_workitem_id 0
		.amdhsa_next_free_vgpr 31
		.amdhsa_next_free_sgpr 13
		.amdhsa_reserve_vcc 1
		.amdhsa_reserve_flat_scratch 0
		.amdhsa_float_round_mode_32 0
		.amdhsa_float_round_mode_16_64 0
		.amdhsa_float_denorm_mode_32 3
		.amdhsa_float_denorm_mode_16_64 3
		.amdhsa_dx10_clamp 1
		.amdhsa_ieee_mode 1
		.amdhsa_fp16_overflow 0
		.amdhsa_exception_fp_ieee_invalid_op 0
		.amdhsa_exception_fp_denorm_src 0
		.amdhsa_exception_fp_ieee_div_zero 0
		.amdhsa_exception_fp_ieee_overflow 0
		.amdhsa_exception_fp_ieee_underflow 0
		.amdhsa_exception_fp_ieee_inexact 0
		.amdhsa_exception_int_div_zero 0
	.end_amdhsa_kernel
	.section	.text._ZN9rocsparseL39gtsv_spike_backward_substitution_kernelILj256ELj32EdEEviiiPT1_PKS1_S4_,"axG",@progbits,_ZN9rocsparseL39gtsv_spike_backward_substitution_kernelILj256ELj32EdEEviiiPT1_PKS1_S4_,comdat
.Lfunc_end146:
	.size	_ZN9rocsparseL39gtsv_spike_backward_substitution_kernelILj256ELj32EdEEviiiPT1_PKS1_S4_, .Lfunc_end146-_ZN9rocsparseL39gtsv_spike_backward_substitution_kernelILj256ELj32EdEEviiiPT1_PKS1_S4_
                                        ; -- End function
	.set _ZN9rocsparseL39gtsv_spike_backward_substitution_kernelILj256ELj32EdEEviiiPT1_PKS1_S4_.num_vgpr, 31
	.set _ZN9rocsparseL39gtsv_spike_backward_substitution_kernelILj256ELj32EdEEviiiPT1_PKS1_S4_.num_agpr, 0
	.set _ZN9rocsparseL39gtsv_spike_backward_substitution_kernelILj256ELj32EdEEviiiPT1_PKS1_S4_.numbered_sgpr, 13
	.set _ZN9rocsparseL39gtsv_spike_backward_substitution_kernelILj256ELj32EdEEviiiPT1_PKS1_S4_.num_named_barrier, 0
	.set _ZN9rocsparseL39gtsv_spike_backward_substitution_kernelILj256ELj32EdEEviiiPT1_PKS1_S4_.private_seg_size, 0
	.set _ZN9rocsparseL39gtsv_spike_backward_substitution_kernelILj256ELj32EdEEviiiPT1_PKS1_S4_.uses_vcc, 1
	.set _ZN9rocsparseL39gtsv_spike_backward_substitution_kernelILj256ELj32EdEEviiiPT1_PKS1_S4_.uses_flat_scratch, 0
	.set _ZN9rocsparseL39gtsv_spike_backward_substitution_kernelILj256ELj32EdEEviiiPT1_PKS1_S4_.has_dyn_sized_stack, 0
	.set _ZN9rocsparseL39gtsv_spike_backward_substitution_kernelILj256ELj32EdEEviiiPT1_PKS1_S4_.has_recursion, 0
	.set _ZN9rocsparseL39gtsv_spike_backward_substitution_kernelILj256ELj32EdEEviiiPT1_PKS1_S4_.has_indirect_call, 0
	.section	.AMDGPU.csdata,"",@progbits
; Kernel info:
; codeLenInByte = 1064
; TotalNumSgprs: 17
; NumVgprs: 31
; ScratchSize: 0
; MemoryBound: 0
; FloatMode: 240
; IeeeMode: 1
; LDSByteSize: 0 bytes/workgroup (compile time only)
; SGPRBlocks: 2
; VGPRBlocks: 7
; NumSGPRsForWavesPerEU: 17
; NumVGPRsForWavesPerEU: 31
; Occupancy: 8
; WaveLimiterHint : 0
; COMPUTE_PGM_RSRC2:SCRATCH_EN: 0
; COMPUTE_PGM_RSRC2:USER_SGPR: 6
; COMPUTE_PGM_RSRC2:TRAP_HANDLER: 0
; COMPUTE_PGM_RSRC2:TGID_X_EN: 1
; COMPUTE_PGM_RSRC2:TGID_Y_EN: 1
; COMPUTE_PGM_RSRC2:TGID_Z_EN: 0
; COMPUTE_PGM_RSRC2:TIDIG_COMP_CNT: 0
	.section	.text._ZN9rocsparseL32gtsv_transpose_back_array_kernelILj256ELj32EdEEviiiPKT1_PS1_,"axG",@progbits,_ZN9rocsparseL32gtsv_transpose_back_array_kernelILj256ELj32EdEEviiiPKT1_PS1_,comdat
	.globl	_ZN9rocsparseL32gtsv_transpose_back_array_kernelILj256ELj32EdEEviiiPKT1_PS1_ ; -- Begin function _ZN9rocsparseL32gtsv_transpose_back_array_kernelILj256ELj32EdEEviiiPKT1_PS1_
	.p2align	8
	.type	_ZN9rocsparseL32gtsv_transpose_back_array_kernelILj256ELj32EdEEviiiPKT1_PS1_,@function
_ZN9rocsparseL32gtsv_transpose_back_array_kernelILj256ELj32EdEEviiiPKT1_PS1_: ; @_ZN9rocsparseL32gtsv_transpose_back_array_kernelILj256ELj32EdEEviiiPKT1_PS1_
; %bb.0:
	s_load_dwordx4 s[0:3], s[4:5], 0x0
	v_lshl_or_b32 v0, s6, 8, v0
	v_lshlrev_b32_e32 v3, 5, v0
	s_waitcnt lgkmcnt(0)
	v_cvt_f32_u32_e32 v1, s1
	s_sub_i32 s3, 0, s1
	v_rcp_iflag_f32_e32 v1, v1
	v_mul_f32_e32 v1, 0x4f7ffffe, v1
	v_cvt_u32_f32_e32 v1, v1
	v_mul_lo_u32 v2, s3, v1
	v_mul_hi_u32 v2, v1, v2
	v_add_u32_e32 v1, v1, v2
	v_mul_hi_u32 v1, v3, v1
	v_mul_lo_u32 v2, v1, s1
	v_add_u32_e32 v4, 1, v1
	v_sub_u32_e32 v2, v3, v2
	v_cmp_le_u32_e32 vcc, s1, v2
	v_cndmask_b32_e32 v1, v1, v4, vcc
	v_subrev_u32_e32 v4, s1, v2
	v_cndmask_b32_e32 v2, v2, v4, vcc
	v_add_u32_e32 v4, 1, v1
	v_cmp_le_u32_e32 vcc, s1, v2
	v_cndmask_b32_e32 v1, v1, v4, vcc
	v_mul_lo_u32 v2, v1, s1
	v_sub_u32_e32 v2, v3, v2
	v_add_u32_e32 v1, v1, v2
	v_cmp_gt_i32_e32 vcc, s0, v1
	s_and_saveexec_b64 s[8:9], vcc
	s_cbranch_execz .LBB147_2
; %bb.1:
	s_load_dwordx4 s[8:11], s[4:5], 0x10
	s_mul_i32 s0, s1, s7
	v_add_u32_e32 v2, s0, v0
	v_ashrrev_i32_e32 v3, 31, v2
	v_lshlrev_b64 v[2:3], 3, v[2:3]
	s_waitcnt lgkmcnt(0)
	v_mov_b32_e32 v0, s9
	v_add_co_u32_e32 v2, vcc, s8, v2
	v_addc_co_u32_e32 v3, vcc, v0, v3, vcc
	global_load_dwordx2 v[2:3], v[2:3], off
	s_mul_i32 s0, s2, s7
	v_add_u32_e32 v0, s0, v1
	v_ashrrev_i32_e32 v1, 31, v0
	v_lshlrev_b64 v[0:1], 3, v[0:1]
	v_mov_b32_e32 v4, s11
	v_add_co_u32_e32 v0, vcc, s10, v0
	v_addc_co_u32_e32 v1, vcc, v4, v1, vcc
	s_waitcnt vmcnt(0)
	global_store_dwordx2 v[0:1], v[2:3], off
.LBB147_2:
	s_endpgm
	.section	.rodata,"a",@progbits
	.p2align	6, 0x0
	.amdhsa_kernel _ZN9rocsparseL32gtsv_transpose_back_array_kernelILj256ELj32EdEEviiiPKT1_PS1_
		.amdhsa_group_segment_fixed_size 0
		.amdhsa_private_segment_fixed_size 0
		.amdhsa_kernarg_size 32
		.amdhsa_user_sgpr_count 6
		.amdhsa_user_sgpr_private_segment_buffer 1
		.amdhsa_user_sgpr_dispatch_ptr 0
		.amdhsa_user_sgpr_queue_ptr 0
		.amdhsa_user_sgpr_kernarg_segment_ptr 1
		.amdhsa_user_sgpr_dispatch_id 0
		.amdhsa_user_sgpr_flat_scratch_init 0
		.amdhsa_user_sgpr_private_segment_size 0
		.amdhsa_uses_dynamic_stack 0
		.amdhsa_system_sgpr_private_segment_wavefront_offset 0
		.amdhsa_system_sgpr_workgroup_id_x 1
		.amdhsa_system_sgpr_workgroup_id_y 1
		.amdhsa_system_sgpr_workgroup_id_z 0
		.amdhsa_system_sgpr_workgroup_info 0
		.amdhsa_system_vgpr_workitem_id 0
		.amdhsa_next_free_vgpr 5
		.amdhsa_next_free_sgpr 12
		.amdhsa_reserve_vcc 1
		.amdhsa_reserve_flat_scratch 0
		.amdhsa_float_round_mode_32 0
		.amdhsa_float_round_mode_16_64 0
		.amdhsa_float_denorm_mode_32 3
		.amdhsa_float_denorm_mode_16_64 3
		.amdhsa_dx10_clamp 1
		.amdhsa_ieee_mode 1
		.amdhsa_fp16_overflow 0
		.amdhsa_exception_fp_ieee_invalid_op 0
		.amdhsa_exception_fp_denorm_src 0
		.amdhsa_exception_fp_ieee_div_zero 0
		.amdhsa_exception_fp_ieee_overflow 0
		.amdhsa_exception_fp_ieee_underflow 0
		.amdhsa_exception_fp_ieee_inexact 0
		.amdhsa_exception_int_div_zero 0
	.end_amdhsa_kernel
	.section	.text._ZN9rocsparseL32gtsv_transpose_back_array_kernelILj256ELj32EdEEviiiPKT1_PS1_,"axG",@progbits,_ZN9rocsparseL32gtsv_transpose_back_array_kernelILj256ELj32EdEEviiiPKT1_PS1_,comdat
.Lfunc_end147:
	.size	_ZN9rocsparseL32gtsv_transpose_back_array_kernelILj256ELj32EdEEviiiPKT1_PS1_, .Lfunc_end147-_ZN9rocsparseL32gtsv_transpose_back_array_kernelILj256ELj32EdEEviiiPKT1_PS1_
                                        ; -- End function
	.set _ZN9rocsparseL32gtsv_transpose_back_array_kernelILj256ELj32EdEEviiiPKT1_PS1_.num_vgpr, 5
	.set _ZN9rocsparseL32gtsv_transpose_back_array_kernelILj256ELj32EdEEviiiPKT1_PS1_.num_agpr, 0
	.set _ZN9rocsparseL32gtsv_transpose_back_array_kernelILj256ELj32EdEEviiiPKT1_PS1_.numbered_sgpr, 12
	.set _ZN9rocsparseL32gtsv_transpose_back_array_kernelILj256ELj32EdEEviiiPKT1_PS1_.num_named_barrier, 0
	.set _ZN9rocsparseL32gtsv_transpose_back_array_kernelILj256ELj32EdEEviiiPKT1_PS1_.private_seg_size, 0
	.set _ZN9rocsparseL32gtsv_transpose_back_array_kernelILj256ELj32EdEEviiiPKT1_PS1_.uses_vcc, 1
	.set _ZN9rocsparseL32gtsv_transpose_back_array_kernelILj256ELj32EdEEviiiPKT1_PS1_.uses_flat_scratch, 0
	.set _ZN9rocsparseL32gtsv_transpose_back_array_kernelILj256ELj32EdEEviiiPKT1_PS1_.has_dyn_sized_stack, 0
	.set _ZN9rocsparseL32gtsv_transpose_back_array_kernelILj256ELj32EdEEviiiPKT1_PS1_.has_recursion, 0
	.set _ZN9rocsparseL32gtsv_transpose_back_array_kernelILj256ELj32EdEEviiiPKT1_PS1_.has_indirect_call, 0
	.section	.AMDGPU.csdata,"",@progbits
; Kernel info:
; codeLenInByte = 248
; TotalNumSgprs: 16
; NumVgprs: 5
; ScratchSize: 0
; MemoryBound: 0
; FloatMode: 240
; IeeeMode: 1
; LDSByteSize: 0 bytes/workgroup (compile time only)
; SGPRBlocks: 1
; VGPRBlocks: 1
; NumSGPRsForWavesPerEU: 16
; NumVGPRsForWavesPerEU: 5
; Occupancy: 10
; WaveLimiterHint : 0
; COMPUTE_PGM_RSRC2:SCRATCH_EN: 0
; COMPUTE_PGM_RSRC2:USER_SGPR: 6
; COMPUTE_PGM_RSRC2:TRAP_HANDLER: 0
; COMPUTE_PGM_RSRC2:TGID_X_EN: 1
; COMPUTE_PGM_RSRC2:TGID_Y_EN: 1
; COMPUTE_PGM_RSRC2:TGID_Z_EN: 0
; COMPUTE_PGM_RSRC2:TIDIG_COMP_CNT: 0
	.section	.text._ZN9rocsparseL42gtsv_transpose_and_pad_array_shared_kernelILj256ELj64EdEEviiiPKT1_PS1_S1_,"axG",@progbits,_ZN9rocsparseL42gtsv_transpose_and_pad_array_shared_kernelILj256ELj64EdEEviiiPKT1_PS1_S1_,comdat
	.globl	_ZN9rocsparseL42gtsv_transpose_and_pad_array_shared_kernelILj256ELj64EdEEviiiPKT1_PS1_S1_ ; -- Begin function _ZN9rocsparseL42gtsv_transpose_and_pad_array_shared_kernelILj256ELj64EdEEviiiPKT1_PS1_S1_
	.p2align	8
	.type	_ZN9rocsparseL42gtsv_transpose_and_pad_array_shared_kernelILj256ELj64EdEEviiiPKT1_PS1_S1_,@function
_ZN9rocsparseL42gtsv_transpose_and_pad_array_shared_kernelILj256ELj64EdEEviiiPKT1_PS1_S1_: ; @_ZN9rocsparseL42gtsv_transpose_and_pad_array_shared_kernelILj256ELj64EdEEviiiPKT1_PS1_S1_
; %bb.0:
	s_load_dwordx4 s[0:3], s[4:5], 0x0
	s_load_dwordx2 s[8:9], s[4:5], 0x20
	v_lshl_or_b32 v3, s6, 8, v0
	s_waitcnt lgkmcnt(0)
	v_cmp_gt_i32_e32 vcc, s0, v3
	v_mov_b32_e32 v1, s8
	v_mov_b32_e32 v2, s9
	s_and_saveexec_b64 s[8:9], vcc
	s_cbranch_execz .LBB148_2
; %bb.1:
	s_load_dwordx2 s[10:11], s[4:5], 0x10
	s_mul_i32 s0, s2, s7
	v_add_u32_e32 v1, s0, v3
	v_ashrrev_i32_e32 v2, 31, v1
	v_lshlrev_b64 v[1:2], 3, v[1:2]
	s_waitcnt lgkmcnt(0)
	v_mov_b32_e32 v3, s11
	v_add_co_u32_e32 v1, vcc, s10, v1
	v_addc_co_u32_e32 v2, vcc, v3, v2, vcc
	global_load_dwordx2 v[1:2], v[1:2], off
.LBB148_2:
	s_or_b64 exec, exec, s[8:9]
	v_lshrrev_b32_e32 v3, 2, v0
	v_and_b32_e32 v4, 3, v0
	v_lshlrev_b32_e32 v0, 3, v0
	s_waitcnt vmcnt(0)
	ds_write_b64 v0, v[1:2]
	s_lshr_b32 s0, s1, 6
	v_lshl_or_b32 v0, s6, 2, v4
	v_mad_u64_u32 v[0:1], s[2:3], s0, v3, v[0:1]
	s_waitcnt lgkmcnt(0)
	s_barrier
	v_cmp_gt_i32_e32 vcc, s1, v0
	s_and_saveexec_b64 s[2:3], vcc
	s_cbranch_execz .LBB148_4
; %bb.3:
	s_load_dwordx2 s[2:3], s[4:5], 0x18
	v_lshlrev_b32_e32 v1, 3, v3
	s_mul_i32 s0, s1, s7
	v_lshl_or_b32 v1, v4, 9, v1
	v_add_u32_e32 v3, s0, v0
	ds_read_b64 v[1:2], v1
	v_ashrrev_i32_e32 v4, 31, v3
	v_lshlrev_b64 v[3:4], 3, v[3:4]
	s_waitcnt lgkmcnt(0)
	v_mov_b32_e32 v0, s3
	v_add_co_u32_e32 v3, vcc, s2, v3
	v_addc_co_u32_e32 v4, vcc, v0, v4, vcc
	global_store_dwordx2 v[3:4], v[1:2], off
.LBB148_4:
	s_endpgm
	.section	.rodata,"a",@progbits
	.p2align	6, 0x0
	.amdhsa_kernel _ZN9rocsparseL42gtsv_transpose_and_pad_array_shared_kernelILj256ELj64EdEEviiiPKT1_PS1_S1_
		.amdhsa_group_segment_fixed_size 2048
		.amdhsa_private_segment_fixed_size 0
		.amdhsa_kernarg_size 40
		.amdhsa_user_sgpr_count 6
		.amdhsa_user_sgpr_private_segment_buffer 1
		.amdhsa_user_sgpr_dispatch_ptr 0
		.amdhsa_user_sgpr_queue_ptr 0
		.amdhsa_user_sgpr_kernarg_segment_ptr 1
		.amdhsa_user_sgpr_dispatch_id 0
		.amdhsa_user_sgpr_flat_scratch_init 0
		.amdhsa_user_sgpr_private_segment_size 0
		.amdhsa_uses_dynamic_stack 0
		.amdhsa_system_sgpr_private_segment_wavefront_offset 0
		.amdhsa_system_sgpr_workgroup_id_x 1
		.amdhsa_system_sgpr_workgroup_id_y 1
		.amdhsa_system_sgpr_workgroup_id_z 0
		.amdhsa_system_sgpr_workgroup_info 0
		.amdhsa_system_vgpr_workitem_id 0
		.amdhsa_next_free_vgpr 5
		.amdhsa_next_free_sgpr 12
		.amdhsa_reserve_vcc 1
		.amdhsa_reserve_flat_scratch 0
		.amdhsa_float_round_mode_32 0
		.amdhsa_float_round_mode_16_64 0
		.amdhsa_float_denorm_mode_32 3
		.amdhsa_float_denorm_mode_16_64 3
		.amdhsa_dx10_clamp 1
		.amdhsa_ieee_mode 1
		.amdhsa_fp16_overflow 0
		.amdhsa_exception_fp_ieee_invalid_op 0
		.amdhsa_exception_fp_denorm_src 0
		.amdhsa_exception_fp_ieee_div_zero 0
		.amdhsa_exception_fp_ieee_overflow 0
		.amdhsa_exception_fp_ieee_underflow 0
		.amdhsa_exception_fp_ieee_inexact 0
		.amdhsa_exception_int_div_zero 0
	.end_amdhsa_kernel
	.section	.text._ZN9rocsparseL42gtsv_transpose_and_pad_array_shared_kernelILj256ELj64EdEEviiiPKT1_PS1_S1_,"axG",@progbits,_ZN9rocsparseL42gtsv_transpose_and_pad_array_shared_kernelILj256ELj64EdEEviiiPKT1_PS1_S1_,comdat
.Lfunc_end148:
	.size	_ZN9rocsparseL42gtsv_transpose_and_pad_array_shared_kernelILj256ELj64EdEEviiiPKT1_PS1_S1_, .Lfunc_end148-_ZN9rocsparseL42gtsv_transpose_and_pad_array_shared_kernelILj256ELj64EdEEviiiPKT1_PS1_S1_
                                        ; -- End function
	.set _ZN9rocsparseL42gtsv_transpose_and_pad_array_shared_kernelILj256ELj64EdEEviiiPKT1_PS1_S1_.num_vgpr, 5
	.set _ZN9rocsparseL42gtsv_transpose_and_pad_array_shared_kernelILj256ELj64EdEEviiiPKT1_PS1_S1_.num_agpr, 0
	.set _ZN9rocsparseL42gtsv_transpose_and_pad_array_shared_kernelILj256ELj64EdEEviiiPKT1_PS1_S1_.numbered_sgpr, 12
	.set _ZN9rocsparseL42gtsv_transpose_and_pad_array_shared_kernelILj256ELj64EdEEviiiPKT1_PS1_S1_.num_named_barrier, 0
	.set _ZN9rocsparseL42gtsv_transpose_and_pad_array_shared_kernelILj256ELj64EdEEviiiPKT1_PS1_S1_.private_seg_size, 0
	.set _ZN9rocsparseL42gtsv_transpose_and_pad_array_shared_kernelILj256ELj64EdEEviiiPKT1_PS1_S1_.uses_vcc, 1
	.set _ZN9rocsparseL42gtsv_transpose_and_pad_array_shared_kernelILj256ELj64EdEEviiiPKT1_PS1_S1_.uses_flat_scratch, 0
	.set _ZN9rocsparseL42gtsv_transpose_and_pad_array_shared_kernelILj256ELj64EdEEviiiPKT1_PS1_S1_.has_dyn_sized_stack, 0
	.set _ZN9rocsparseL42gtsv_transpose_and_pad_array_shared_kernelILj256ELj64EdEEviiiPKT1_PS1_S1_.has_recursion, 0
	.set _ZN9rocsparseL42gtsv_transpose_and_pad_array_shared_kernelILj256ELj64EdEEviiiPKT1_PS1_S1_.has_indirect_call, 0
	.section	.AMDGPU.csdata,"",@progbits
; Kernel info:
; codeLenInByte = 244
; TotalNumSgprs: 16
; NumVgprs: 5
; ScratchSize: 0
; MemoryBound: 0
; FloatMode: 240
; IeeeMode: 1
; LDSByteSize: 2048 bytes/workgroup (compile time only)
; SGPRBlocks: 1
; VGPRBlocks: 1
; NumSGPRsForWavesPerEU: 16
; NumVGPRsForWavesPerEU: 5
; Occupancy: 10
; WaveLimiterHint : 0
; COMPUTE_PGM_RSRC2:SCRATCH_EN: 0
; COMPUTE_PGM_RSRC2:USER_SGPR: 6
; COMPUTE_PGM_RSRC2:TRAP_HANDLER: 0
; COMPUTE_PGM_RSRC2:TGID_X_EN: 1
; COMPUTE_PGM_RSRC2:TGID_Y_EN: 1
; COMPUTE_PGM_RSRC2:TGID_Z_EN: 0
; COMPUTE_PGM_RSRC2:TIDIG_COMP_CNT: 0
	.section	.text._ZN9rocsparseL18gtsv_LBM_wv_kernelILj256ELj64EdEEviiiPKT1_S3_S3_PS1_S4_S4_Pi,"axG",@progbits,_ZN9rocsparseL18gtsv_LBM_wv_kernelILj256ELj64EdEEviiiPKT1_S3_S3_PS1_S4_S4_Pi,comdat
	.globl	_ZN9rocsparseL18gtsv_LBM_wv_kernelILj256ELj64EdEEviiiPKT1_S3_S3_PS1_S4_S4_Pi ; -- Begin function _ZN9rocsparseL18gtsv_LBM_wv_kernelILj256ELj64EdEEviiiPKT1_S3_S3_PS1_S4_S4_Pi
	.p2align	8
	.type	_ZN9rocsparseL18gtsv_LBM_wv_kernelILj256ELj64EdEEviiiPKT1_S3_S3_PS1_S4_S4_Pi,@function
_ZN9rocsparseL18gtsv_LBM_wv_kernelILj256ELj64EdEEviiiPKT1_S3_S3_PS1_S4_S4_Pi: ; @_ZN9rocsparseL18gtsv_LBM_wv_kernelILj256ELj64EdEEviiiPKT1_S3_S3_PS1_S4_S4_Pi
; %bb.0:
	s_load_dword s27, s[4:5], 0x0
	v_lshl_or_b32 v0, s6, 8, v0
	s_waitcnt lgkmcnt(0)
	s_lshr_b32 s26, s27, 6
	v_cmp_gt_i32_e32 vcc, s26, v0
	s_and_saveexec_b64 s[0:1], vcc
	s_cbranch_execz .LBB149_30
; %bb.1:
	s_load_dwordx2 s[16:17], s[4:5], 0x10
	s_load_dwordx8 s[8:15], s[4:5], 0x20
	v_ashrrev_i32_e32 v1, 31, v0
	v_lshlrev_b64 v[4:5], 3, v[0:1]
	s_mul_i32 s28, s26, 63
	s_waitcnt lgkmcnt(0)
	v_mov_b32_e32 v2, s17
	v_add_co_u32_e32 v1, vcc, s16, v4
	v_addc_co_u32_e32 v2, vcc, v2, v5, vcc
	global_load_dwordx2 v[6:7], v[1:2], off
	v_add_u32_e32 v2, s28, v0
	v_mov_b32_e32 v3, 0
	v_lshlrev_b64 v[8:9], 3, v[2:3]
	v_mov_b32_e32 v2, s9
	v_add_co_u32_e32 v1, vcc, s8, v8
	v_addc_co_u32_e32 v2, vcc, v2, v9, vcc
	global_load_dwordx2 v[10:11], v[1:2], off
	s_load_dwordx2 s[6:7], s[4:5], 0x40
	v_mov_b32_e32 v2, s11
	v_add_co_u32_e32 v1, vcc, s10, v4
	v_addc_co_u32_e32 v2, vcc, v2, v5, vcc
	s_cmp_lt_i32 s27, 1
	v_add_u32_e32 v39, s26, v0
	v_mov_b32_e32 v12, s13
	v_add_co_u32_e32 v8, vcc, s12, v8
	v_addc_co_u32_e32 v9, vcc, v12, v9, vcc
	s_waitcnt vmcnt(1)
	global_store_dwordx2 v[1:2], v[6:7], off
	s_waitcnt vmcnt(1)
	global_store_dwordx2 v[8:9], v[10:11], off
	s_cbranch_scc1 .LBB149_23
; %bb.2:
	s_load_dwordx2 s[18:19], s[4:5], 0x18
	s_mov_b32 s22, 0x372fe950
	s_mul_i32 s29, s26, 62
	s_lshl_b32 s30, s26, 1
	v_add_u32_e32 v40, s26, v39
	s_waitcnt lgkmcnt(0)
	v_mov_b32_e32 v6, s19
	v_add_co_u32_e32 v3, vcc, s18, v4
	v_addc_co_u32_e32 v4, vcc, v6, v5, vcc
	global_load_dwordx2 v[5:6], v[3:4], off
	v_mov_b32_e32 v3, 0
	s_mov_b64 s[20:21], 0
	s_mov_b32 s23, 0x3fe3c6ef
	v_mov_b32_e32 v41, 2
	v_mov_b32_e32 v42, 1
	;; [unrolled: 1-line block ×3, first 2 shown]
	s_branch .LBB149_5
.LBB149_3:                              ;   in Loop: Header=BB149_5 Depth=1
	s_or_b64 exec, exec, s[4:5]
	v_fma_f64 v[5:6], -v[4:5], v[21:22], v[9:10]
	v_mov_b32_e32 v4, s26
.LBB149_4:                              ;   in Loop: Header=BB149_5 Depth=1
	s_or_b64 exec, exec, s[2:3]
	v_add_u32_e32 v3, v4, v3
	v_cmp_le_i32_e32 vcc, s27, v3
	s_or_b64 s[20:21], vcc, s[20:21]
	s_andn2_b64 exec, exec, s[20:21]
	s_cbranch_execz .LBB149_22
.LBB149_5:                              ; =>This Inner Loop Header: Depth=1
	v_add_u32_e32 v13, v3, v0
	v_ashrrev_i32_e32 v14, 31, v13
	v_lshlrev_b64 v[11:12], 3, v[13:14]
	v_mov_b32_e32 v9, 0
	v_add_co_u32_e32 v7, vcc, s8, v11
	v_addc_co_u32_e32 v8, vcc, v43, v12, vcc
	global_load_dwordx2 v[15:16], v[7:8], off
	v_mov_b32_e32 v7, 0
	v_mov_b32_e32 v10, 0
	;; [unrolled: 1-line block ×3, first 2 shown]
	v_cmp_gt_u32_e64 s[0:1], s28, v3
	s_and_saveexec_b64 s[2:3], s[0:1]
	s_cbranch_execz .LBB149_7
; %bb.6:                                ;   in Loop: Header=BB149_5 Depth=1
	v_add_u32_e32 v7, v39, v3
	v_ashrrev_i32_e32 v8, 31, v7
	v_lshlrev_b64 v[7:8], 3, v[7:8]
	v_mov_b32_e32 v4, s17
	v_add_co_u32_e32 v7, vcc, s16, v7
	v_addc_co_u32_e32 v8, vcc, v4, v8, vcc
	global_load_dwordx2 v[7:8], v[7:8], off
.LBB149_7:                              ;   in Loop: Header=BB149_5 Depth=1
	s_or_b64 exec, exec, s[2:3]
	s_and_saveexec_b64 s[2:3], s[0:1]
	s_cbranch_execz .LBB149_9
; %bb.8:                                ;   in Loop: Header=BB149_5 Depth=1
	v_add_u32_e32 v9, v39, v3
	v_ashrrev_i32_e32 v10, 31, v9
	v_lshlrev_b64 v[9:10], 3, v[9:10]
	v_mov_b32_e32 v4, s19
	v_add_co_u32_e32 v9, vcc, s18, v9
	v_addc_co_u32_e32 v10, vcc, v4, v10, vcc
	global_load_dwordx2 v[9:10], v[9:10], off
.LBB149_9:                              ;   in Loop: Header=BB149_5 Depth=1
	s_or_b64 exec, exec, s[2:3]
	v_mov_b32_e32 v19, 0
	v_mov_b32_e32 v17, 0
	v_mov_b32_e32 v20, 0
	v_mov_b32_e32 v18, 0
	s_and_saveexec_b64 s[2:3], s[0:1]
	s_cbranch_execz .LBB149_11
; %bb.10:                               ;   in Loop: Header=BB149_5 Depth=1
	v_add_u32_e32 v17, v39, v3
	v_ashrrev_i32_e32 v18, 31, v17
	v_lshlrev_b64 v[17:18], 3, v[17:18]
	v_mov_b32_e32 v4, s9
	v_add_co_u32_e32 v17, vcc, s8, v17
	v_addc_co_u32_e32 v18, vcc, v4, v18, vcc
	global_load_dwordx2 v[17:18], v[17:18], off
.LBB149_11:                             ;   in Loop: Header=BB149_5 Depth=1
	s_or_b64 exec, exec, s[2:3]
	v_cmp_gt_u32_e64 s[2:3], s29, v3
	s_and_saveexec_b64 s[4:5], s[2:3]
	s_cbranch_execz .LBB149_13
; %bb.12:                               ;   in Loop: Header=BB149_5 Depth=1
	v_add_u32_e32 v19, v40, v3
	v_ashrrev_i32_e32 v20, 31, v19
	v_lshlrev_b64 v[19:20], 3, v[19:20]
	v_mov_b32_e32 v4, s17
	v_add_co_u32_e32 v19, vcc, s16, v19
	v_addc_co_u32_e32 v20, vcc, v4, v20, vcc
	global_load_dwordx2 v[19:20], v[19:20], off
.LBB149_13:                             ;   in Loop: Header=BB149_5 Depth=1
	s_or_b64 exec, exec, s[4:5]
	s_waitcnt vmcnt(0)
	v_cmp_gt_f64_e32 vcc, 0, v[7:8]
	v_xor_b32_e32 v4, 0x80000000, v8
	v_mov_b32_e32 v21, v7
	v_mov_b32_e32 v23, v19
	v_mov_b32_e32 v25, v15
	v_cmp_gt_f64_e64 s[4:5], 0, v[17:18]
	v_cndmask_b32_e32 v22, v8, v4, vcc
	v_cmp_gt_f64_e32 vcc, 0, v[19:20]
	v_xor_b32_e32 v4, 0x80000000, v20
	v_cndmask_b32_e32 v24, v20, v4, vcc
	v_cmp_lt_f64_e32 vcc, v[21:22], v[23:24]
	v_xor_b32_e32 v4, 0x80000000, v10
	v_mov_b32_e32 v23, v9
	v_cndmask_b32_e32 v22, v22, v24, vcc
	v_cndmask_b32_e32 v21, v7, v19, vcc
	v_cmp_gt_f64_e32 vcc, 0, v[9:10]
	v_cndmask_b32_e32 v24, v10, v4, vcc
	v_cmp_lt_f64_e32 vcc, v[23:24], v[21:22]
	v_xor_b32_e32 v4, 0x80000000, v16
	v_cndmask_b32_e32 v24, v24, v22, vcc
	v_cndmask_b32_e32 v23, v9, v21, vcc
	v_cmp_gt_f64_e32 vcc, 0, v[15:16]
	v_mul_f64 v[21:22], v[15:16], v[7:8]
	v_cndmask_b32_e32 v26, v16, v4, vcc
	v_cmp_lt_f64_e32 vcc, v[25:26], v[23:24]
	v_xor_b32_e32 v4, 0x80000000, v18
	v_cndmask_b32_e64 v25, v18, v4, s[4:5]
	v_cmp_gt_f64_e64 s[4:5], 0, v[5:6]
	v_xor_b32_e32 v4, 0x80000000, v6
	v_cndmask_b32_e32 v27, v26, v24, vcc
	v_cndmask_b32_e32 v26, v15, v23, vcc
	v_mov_b32_e32 v24, v17
	v_cmp_lt_f64_e32 vcc, v[24:25], v[26:27]
	v_mov_b32_e32 v23, v5
	v_cndmask_b32_e64 v24, v6, v4, s[4:5]
	v_xor_b32_e32 v4, 0x80000000, v22
	v_cmp_ne_u32_e64 s[4:5], s28, v3
	v_cndmask_b32_e32 v27, v25, v27, vcc
	v_cndmask_b32_e32 v26, v17, v26, vcc
	v_cmp_gt_f64_e32 vcc, 0, v[21:22]
	v_mul_f64 v[23:24], v[23:24], v[26:27]
	v_mov_b32_e32 v25, v21
	v_cndmask_b32_e32 v26, v22, v4, vcc
	v_mul_f64 v[25:26], v[25:26], s[22:23]
	v_cmp_nge_f64_e32 vcc, v[23:24], v[25:26]
	s_and_b64 s[4:5], s[4:5], vcc
	s_and_saveexec_b64 s[24:25], s[4:5]
	s_xor_b64 s[4:5], exec, s[24:25]
	s_cbranch_execz .LBB149_19
; %bb.14:                               ;   in Loop: Header=BB149_5 Depth=1
	v_fma_f64 v[27:28], v[5:6], v[9:10], -v[21:22]
	v_add_u32_e32 v21, v39, v3
	v_ashrrev_i32_e32 v22, 31, v21
	v_lshlrev_b64 v[29:30], 3, v[21:22]
	v_mov_b32_e32 v23, s11
	v_add_co_u32_e32 v31, vcc, s10, v29
	v_addc_co_u32_e32 v32, vcc, v23, v30, vcc
	v_div_scale_f64 v[44:45], s[24:25], v[27:28], v[27:28], 1.0
	v_mov_b32_e32 v24, s13
	v_add_co_u32_e32 v33, vcc, s12, v29
	v_addc_co_u32_e32 v34, vcc, v24, v30, vcc
	global_load_dwordx2 v[23:24], v[31:32], off
	global_load_dwordx2 v[35:36], v[33:34], off
	v_ashrrev_i32_e32 v4, 31, v3
	v_lshlrev_b64 v[25:26], 3, v[3:4]
	v_mov_b32_e32 v37, s13
	v_add_co_u32_e32 v48, vcc, v1, v25
	v_addc_co_u32_e32 v49, vcc, v2, v26, vcc
	v_add_co_u32_e32 v50, vcc, s12, v11
	v_rcp_f64_e32 v[46:47], v[44:45]
	global_load_dwordx2 v[25:26], v[48:49], off
	v_addc_co_u32_e32 v51, vcc, v37, v12, vcc
	global_load_dwordx2 v[37:38], v[50:51], off
	v_mov_b32_e32 v4, s15
	v_lshlrev_b64 v[13:14], 2, v[13:14]
	v_fma_f64 v[52:53], -v[44:45], v[46:47], 1.0
	v_fma_f64 v[46:47], v[46:47], v[52:53], v[46:47]
	v_div_scale_f64 v[52:53], vcc, 1.0, v[27:28], 1.0
	v_fma_f64 v[54:55], -v[44:45], v[46:47], 1.0
	v_fma_f64 v[46:47], v[46:47], v[54:55], v[46:47]
	v_mul_f64 v[54:55], v[52:53], v[46:47]
	v_fma_f64 v[44:45], -v[44:45], v[54:55], v[52:53]
	v_div_fmas_f64 v[44:45], v[44:45], v[46:47], v[54:55]
	v_add_co_u32_e32 v11, vcc, s14, v11
	v_addc_co_u32_e32 v12, vcc, v4, v12, vcc
	s_waitcnt vmcnt(3)
	v_mul_f64 v[46:47], v[15:16], v[23:24]
	s_waitcnt vmcnt(2)
	v_mul_f64 v[52:53], v[15:16], v[35:36]
	v_mul_f64 v[15:16], v[17:18], -v[15:16]
	v_add_co_u32_e32 v13, vcc, s6, v13
	v_div_fixup_f64 v[27:28], v[44:45], v[27:28], 1.0
	s_waitcnt vmcnt(1)
	v_fma_f64 v[46:47], v[9:10], v[25:26], -v[46:47]
	s_waitcnt vmcnt(0)
	v_fma_f64 v[9:10], v[9:10], v[37:38], -v[52:53]
	v_mov_b32_e32 v52, s7
	v_addc_co_u32_e32 v14, vcc, v52, v14, vcc
	v_mul_f64 v[15:16], v[27:28], v[15:16]
	v_mul_f64 v[44:45], v[27:28], v[46:47]
	;; [unrolled: 1-line block ×3, first 2 shown]
	global_store_dwordx2 v[48:49], v[44:45], off
	global_store_dwordx2 v[50:51], v[9:10], off
	;; [unrolled: 1-line block ×3, first 2 shown]
	global_store_dword v[13:14], v41, off
	s_and_saveexec_b64 s[24:25], s[0:1]
	s_cbranch_execz .LBB149_16
; %bb.15:                               ;   in Loop: Header=BB149_5 Depth=1
	v_mul_f64 v[9:10], v[7:8], v[25:26]
	v_mul_f64 v[11:12], v[7:8], v[37:38]
	;; [unrolled: 1-line block ×3, first 2 shown]
	v_mov_b32_e32 v4, s15
	v_lshlrev_b64 v[15:16], 2, v[21:22]
	v_add_co_u32_e32 v21, vcc, s14, v29
	v_addc_co_u32_e32 v22, vcc, v4, v30, vcc
	v_fma_f64 v[9:10], v[5:6], v[23:24], -v[9:10]
	v_fma_f64 v[11:12], v[5:6], v[35:36], -v[11:12]
	v_mul_f64 v[13:14], v[27:28], v[13:14]
	v_mov_b32_e32 v35, s7
	v_add_co_u32_e32 v15, vcc, s6, v15
	v_addc_co_u32_e32 v16, vcc, v35, v16, vcc
	v_mul_f64 v[9:10], v[27:28], v[9:10]
	v_mul_f64 v[11:12], v[27:28], v[11:12]
	global_store_dwordx2 v[21:22], v[13:14], off
	global_store_dwordx2 v[31:32], v[9:10], off
	;; [unrolled: 1-line block ×3, first 2 shown]
	global_store_dword v[15:16], v41, off
.LBB149_16:                             ;   in Loop: Header=BB149_5 Depth=1
	s_or_b64 exec, exec, s[24:25]
	v_mov_b32_e32 v9, 0
	v_mov_b32_e32 v10, 0
	s_and_saveexec_b64 s[24:25], s[2:3]
	s_cbranch_execz .LBB149_18
; %bb.17:                               ;   in Loop: Header=BB149_5 Depth=1
	v_add_u32_e32 v9, v40, v3
	v_ashrrev_i32_e32 v10, 31, v9
	v_lshlrev_b64 v[9:10], 3, v[9:10]
	v_mov_b32_e32 v4, s11
	v_add_co_u32_e32 v11, vcc, s10, v9
	v_addc_co_u32_e32 v12, vcc, v4, v10, vcc
	v_mov_b32_e32 v4, s19
	v_add_co_u32_e32 v9, vcc, s18, v9
	v_addc_co_u32_e32 v10, vcc, v4, v10, vcc
	global_load_dwordx2 v[13:14], v[11:12], off
	v_mul_f64 v[4:5], v[5:6], v[19:20]
	global_load_dwordx2 v[9:10], v[9:10], off
	v_mul_f64 v[6:7], v[19:20], v[7:8]
	v_mul_f64 v[15:16], v[27:28], v[4:5]
	;; [unrolled: 1-line block ×5, first 2 shown]
	v_fma_f64 v[6:7], v[6:7], v[25:26], -v[15:16]
	s_waitcnt vmcnt(1)
	v_add_f64 v[6:7], v[6:7], v[13:14]
	s_waitcnt vmcnt(0)
	v_fma_f64 v[9:10], -v[27:28], v[4:5], v[9:10]
	global_store_dwordx2 v[11:12], v[6:7], off
.LBB149_18:                             ;   in Loop: Header=BB149_5 Depth=1
	s_or_b64 exec, exec, s[24:25]
	v_mov_b32_e32 v5, v9
	v_mov_b32_e32 v6, v10
                                        ; implicit-def: $vgpr21_vgpr22
                                        ; implicit-def: $vgpr9_vgpr10
                                        ; implicit-def: $vgpr15_vgpr16
                                        ; implicit-def: $vgpr11_vgpr12
                                        ; implicit-def: $vgpr13_vgpr14
                                        ; implicit-def: $vgpr7_vgpr8
.LBB149_19:                             ;   in Loop: Header=BB149_5 Depth=1
	s_or_saveexec_b64 s[2:3], s[4:5]
	v_mov_b32_e32 v4, s30
	s_xor_b64 exec, exec, s[2:3]
	s_cbranch_execz .LBB149_4
; %bb.20:                               ;   in Loop: Header=BB149_5 Depth=1
	v_div_scale_f64 v[19:20], s[4:5], v[5:6], v[5:6], 1.0
	v_ashrrev_i32_e32 v4, 31, v3
	v_mov_b32_e32 v26, s13
	v_lshlrev_b64 v[17:18], 3, v[3:4]
	v_add_co_u32_e32 v25, vcc, s12, v11
	v_addc_co_u32_e32 v26, vcc, v26, v12, vcc
	v_add_co_u32_e32 v27, vcc, v1, v17
	v_addc_co_u32_e32 v28, vcc, v2, v18, vcc
	global_load_dwordx2 v[17:18], v[27:28], off
	global_load_dwordx2 v[29:30], v[25:26], off
	v_lshlrev_b64 v[13:14], 2, v[13:14]
	v_rcp_f64_e32 v[23:24], v[19:20]
	v_fma_f64 v[31:32], -v[19:20], v[23:24], 1.0
	v_fma_f64 v[23:24], v[23:24], v[31:32], v[23:24]
	v_div_scale_f64 v[31:32], vcc, 1.0, v[5:6], 1.0
	v_fma_f64 v[33:34], -v[19:20], v[23:24], 1.0
	v_fma_f64 v[23:24], v[23:24], v[33:34], v[23:24]
	v_mul_f64 v[33:34], v[31:32], v[23:24]
	v_fma_f64 v[19:20], -v[19:20], v[33:34], v[31:32]
	v_mov_b32_e32 v31, s7
	v_div_fmas_f64 v[19:20], v[19:20], v[23:24], v[33:34]
	v_add_co_u32_e32 v11, vcc, s14, v11
	v_div_fixup_f64 v[4:5], v[19:20], v[5:6], 1.0
	v_mov_b32_e32 v6, s15
	v_addc_co_u32_e32 v12, vcc, v6, v12, vcc
	v_add_co_u32_e32 v13, vcc, s6, v13
	v_addc_co_u32_e32 v14, vcc, v31, v14, vcc
	s_waitcnt vmcnt(1)
	v_mul_f64 v[19:20], v[4:5], v[17:18]
	s_waitcnt vmcnt(0)
	v_mul_f64 v[23:24], v[4:5], v[29:30]
	v_mul_f64 v[15:16], v[4:5], v[15:16]
	global_store_dwordx2 v[27:28], v[19:20], off
	global_store_dwordx2 v[25:26], v[23:24], off
	global_store_dwordx2 v[11:12], v[15:16], off
	global_store_dword v[13:14], v42, off
	s_and_saveexec_b64 s[4:5], s[0:1]
	s_cbranch_execz .LBB149_3
; %bb.21:                               ;   in Loop: Header=BB149_5 Depth=1
	v_add_u32_e32 v11, v39, v3
	v_ashrrev_i32_e32 v12, 31, v11
	v_lshlrev_b64 v[11:12], 3, v[11:12]
	v_mov_b32_e32 v6, s11
	v_add_co_u32_e32 v11, vcc, s10, v11
	v_addc_co_u32_e32 v12, vcc, v6, v12, vcc
	global_load_dwordx2 v[13:14], v[11:12], off
	v_mul_f64 v[6:7], v[7:8], v[4:5]
	s_waitcnt vmcnt(0)
	v_fma_f64 v[6:7], -v[6:7], v[17:18], v[13:14]
	global_store_dwordx2 v[11:12], v[6:7], off
	s_branch .LBB149_3
.LBB149_22:
	s_or_b64 exec, exec, s[20:21]
.LBB149_23:
	v_subrev_u32_e32 v5, s26, v3
	v_add_u32_e32 v3, v5, v0
	v_ashrrev_i32_e32 v4, 31, v3
	v_lshlrev_b64 v[3:4], 2, v[3:4]
	s_waitcnt lgkmcnt(0)
	v_mov_b32_e32 v6, s7
	v_add_co_u32_e32 v3, vcc, s6, v3
	v_addc_co_u32_e32 v4, vcc, v6, v4, vcc
	s_waitcnt vmcnt(0)
	buffer_wbinvl1_vol
	global_load_dword v3, v[3:4], off
	s_waitcnt vmcnt(0)
	v_mul_lo_u32 v3, v3, s26
	v_sub_u32_e32 v3, v5, v3
	v_cmp_lt_i32_e32 vcc, -1, v3
	s_and_b64 exec, exec, vcc
	s_cbranch_execz .LBB149_30
; %bb.24:
	v_subrev_u32_e32 v9, s26, v0
	s_lshl_b32 s4, s26, 1
	s_mov_b64 s[0:1], 0
	v_mov_b32_e32 v10, s7
	v_mov_b32_e32 v11, s15
	s_branch .LBB149_26
.LBB149_25:                             ;   in Loop: Header=BB149_26 Depth=1
	s_or_b64 exec, exec, s[2:3]
	v_sub_u32_e32 v3, v3, v4
	v_cmp_gt_i32_e32 vcc, 0, v3
	s_or_b64 s[0:1], vcc, s[0:1]
	s_andn2_b64 exec, exec, s[0:1]
	s_cbranch_execz .LBB149_30
.LBB149_26:                             ; =>This Inner Loop Header: Depth=1
	v_add_u32_e32 v4, v3, v0
	s_waitcnt vmcnt(0)
	v_ashrrev_i32_e32 v5, 31, v4
	v_lshlrev_b64 v[6:7], 2, v[4:5]
	v_add_co_u32_e32 v6, vcc, s6, v6
	v_addc_co_u32_e32 v7, vcc, v10, v7, vcc
	global_load_dword v12, v[6:7], off
	v_lshlrev_b64 v[7:8], 3, v[4:5]
	v_add_co_u32_e32 v4, vcc, s14, v7
	v_addc_co_u32_e32 v5, vcc, v11, v8, vcc
	global_load_dwordx2 v[5:6], v[4:5], off
	s_waitcnt vmcnt(1)
	v_cmp_ne_u32_e32 vcc, 1, v12
	s_and_saveexec_b64 s[2:3], vcc
	s_xor_b64 s[2:3], exec, s[2:3]
	s_cbranch_execz .LBB149_28
; %bb.27:                               ;   in Loop: Header=BB149_26 Depth=1
	v_add_u32_e32 v12, v39, v3
	v_ashrrev_i32_e32 v13, 31, v12
	v_lshlrev_b64 v[12:13], 3, v[12:13]
	v_mov_b32_e32 v4, s11
	v_add_co_u32_e32 v14, vcc, s10, v12
	v_addc_co_u32_e32 v15, vcc, v4, v13, vcc
	v_ashrrev_i32_e32 v4, 31, v3
	v_lshlrev_b64 v[16:17], 3, v[3:4]
	v_mov_b32_e32 v4, s13
	v_add_co_u32_e32 v16, vcc, v1, v16
	v_addc_co_u32_e32 v17, vcc, v2, v17, vcc
	v_add_co_u32_e32 v12, vcc, s12, v12
	v_addc_co_u32_e32 v13, vcc, v4, v13, vcc
	global_load_dwordx2 v[18:19], v[14:15], off
	global_load_dwordx2 v[20:21], v[16:17], off
	v_add_co_u32_e32 v7, vcc, s12, v7
	v_addc_co_u32_e32 v8, vcc, v4, v8, vcc
	global_load_dwordx2 v[22:23], v[12:13], off
	global_load_dwordx2 v[24:25], v[7:8], off
	v_add_u32_e32 v26, v9, v3
	v_ashrrev_i32_e32 v27, 31, v26
	v_lshlrev_b64 v[26:27], 3, v[26:27]
	v_mov_b32_e32 v4, s15
	v_add_co_u32_e32 v28, vcc, s14, v26
	v_addc_co_u32_e32 v29, vcc, v4, v27, vcc
	v_mov_b32_e32 v30, s11
	v_mov_b32_e32 v31, s13
	s_waitcnt vmcnt(2)
	v_fma_f64 v[18:19], -v[5:6], v[18:19], v[20:21]
	v_add_co_u32_e32 v20, vcc, s10, v26
	v_addc_co_u32_e32 v21, vcc, v30, v27, vcc
	s_waitcnt vmcnt(0)
	v_fma_f64 v[4:5], -v[5:6], v[22:23], v[24:25]
	v_add_co_u32_e32 v22, vcc, s12, v26
	global_load_dwordx2 v[24:25], v[28:29], off
	s_nop 0
	global_store_dwordx2 v[16:17], v[18:19], off
	global_store_dwordx2 v[7:8], v[4:5], off
	v_addc_co_u32_e32 v23, vcc, v31, v27, vcc
	global_load_dwordx2 v[4:5], v[14:15], off
	global_load_dwordx2 v[6:7], v[20:21], off
	;; [unrolled: 1-line block ×4, first 2 shown]
	s_waitcnt vmcnt(2)
	v_fma_f64 v[4:5], -v[24:25], v[4:5], v[6:7]
	s_waitcnt vmcnt(0)
	v_fma_f64 v[6:7], -v[24:25], v[16:17], v[18:19]
	global_store_dwordx2 v[20:21], v[4:5], off
	global_store_dwordx2 v[22:23], v[6:7], off
                                        ; implicit-def: $vgpr5_vgpr6
                                        ; implicit-def: $vgpr7_vgpr8
.LBB149_28:                             ;   in Loop: Header=BB149_26 Depth=1
	s_or_saveexec_b64 s[2:3], s[2:3]
	v_mov_b32_e32 v4, s4
	s_xor_b64 exec, exec, s[2:3]
	s_cbranch_execz .LBB149_25
; %bb.29:                               ;   in Loop: Header=BB149_26 Depth=1
	v_add_u32_e32 v12, v39, v3
	v_ashrrev_i32_e32 v13, 31, v12
	v_lshlrev_b64 v[12:13], 3, v[12:13]
	v_mov_b32_e32 v4, s11
	v_add_co_u32_e32 v14, vcc, s10, v12
	v_addc_co_u32_e32 v15, vcc, v4, v13, vcc
	v_ashrrev_i32_e32 v4, 31, v3
	v_lshlrev_b64 v[16:17], 3, v[3:4]
	v_mov_b32_e32 v4, s13
	v_add_co_u32_e32 v16, vcc, v1, v16
	v_addc_co_u32_e32 v17, vcc, v2, v17, vcc
	v_add_co_u32_e32 v12, vcc, s12, v12
	v_addc_co_u32_e32 v13, vcc, v4, v13, vcc
	global_load_dwordx2 v[18:19], v[14:15], off
	global_load_dwordx2 v[20:21], v[16:17], off
	v_add_co_u32_e32 v7, vcc, s12, v7
	v_addc_co_u32_e32 v8, vcc, v4, v8, vcc
	global_load_dwordx2 v[14:15], v[12:13], off
	global_load_dwordx2 v[22:23], v[7:8], off
	s_waitcnt vmcnt(2)
	v_fma_f64 v[12:13], -v[5:6], v[18:19], v[20:21]
	s_waitcnt vmcnt(0)
	v_fma_f64 v[4:5], -v[5:6], v[14:15], v[22:23]
	global_store_dwordx2 v[16:17], v[12:13], off
	global_store_dwordx2 v[7:8], v[4:5], off
	v_mov_b32_e32 v4, s26
	s_branch .LBB149_25
.LBB149_30:
	s_endpgm
	.section	.rodata,"a",@progbits
	.p2align	6, 0x0
	.amdhsa_kernel _ZN9rocsparseL18gtsv_LBM_wv_kernelILj256ELj64EdEEviiiPKT1_S3_S3_PS1_S4_S4_Pi
		.amdhsa_group_segment_fixed_size 0
		.amdhsa_private_segment_fixed_size 0
		.amdhsa_kernarg_size 72
		.amdhsa_user_sgpr_count 6
		.amdhsa_user_sgpr_private_segment_buffer 1
		.amdhsa_user_sgpr_dispatch_ptr 0
		.amdhsa_user_sgpr_queue_ptr 0
		.amdhsa_user_sgpr_kernarg_segment_ptr 1
		.amdhsa_user_sgpr_dispatch_id 0
		.amdhsa_user_sgpr_flat_scratch_init 0
		.amdhsa_user_sgpr_private_segment_size 0
		.amdhsa_uses_dynamic_stack 0
		.amdhsa_system_sgpr_private_segment_wavefront_offset 0
		.amdhsa_system_sgpr_workgroup_id_x 1
		.amdhsa_system_sgpr_workgroup_id_y 0
		.amdhsa_system_sgpr_workgroup_id_z 0
		.amdhsa_system_sgpr_workgroup_info 0
		.amdhsa_system_vgpr_workitem_id 0
		.amdhsa_next_free_vgpr 56
		.amdhsa_next_free_sgpr 31
		.amdhsa_reserve_vcc 1
		.amdhsa_reserve_flat_scratch 0
		.amdhsa_float_round_mode_32 0
		.amdhsa_float_round_mode_16_64 0
		.amdhsa_float_denorm_mode_32 3
		.amdhsa_float_denorm_mode_16_64 3
		.amdhsa_dx10_clamp 1
		.amdhsa_ieee_mode 1
		.amdhsa_fp16_overflow 0
		.amdhsa_exception_fp_ieee_invalid_op 0
		.amdhsa_exception_fp_denorm_src 0
		.amdhsa_exception_fp_ieee_div_zero 0
		.amdhsa_exception_fp_ieee_overflow 0
		.amdhsa_exception_fp_ieee_underflow 0
		.amdhsa_exception_fp_ieee_inexact 0
		.amdhsa_exception_int_div_zero 0
	.end_amdhsa_kernel
	.section	.text._ZN9rocsparseL18gtsv_LBM_wv_kernelILj256ELj64EdEEviiiPKT1_S3_S3_PS1_S4_S4_Pi,"axG",@progbits,_ZN9rocsparseL18gtsv_LBM_wv_kernelILj256ELj64EdEEviiiPKT1_S3_S3_PS1_S4_S4_Pi,comdat
.Lfunc_end149:
	.size	_ZN9rocsparseL18gtsv_LBM_wv_kernelILj256ELj64EdEEviiiPKT1_S3_S3_PS1_S4_S4_Pi, .Lfunc_end149-_ZN9rocsparseL18gtsv_LBM_wv_kernelILj256ELj64EdEEviiiPKT1_S3_S3_PS1_S4_S4_Pi
                                        ; -- End function
	.set _ZN9rocsparseL18gtsv_LBM_wv_kernelILj256ELj64EdEEviiiPKT1_S3_S3_PS1_S4_S4_Pi.num_vgpr, 56
	.set _ZN9rocsparseL18gtsv_LBM_wv_kernelILj256ELj64EdEEviiiPKT1_S3_S3_PS1_S4_S4_Pi.num_agpr, 0
	.set _ZN9rocsparseL18gtsv_LBM_wv_kernelILj256ELj64EdEEviiiPKT1_S3_S3_PS1_S4_S4_Pi.numbered_sgpr, 31
	.set _ZN9rocsparseL18gtsv_LBM_wv_kernelILj256ELj64EdEEviiiPKT1_S3_S3_PS1_S4_S4_Pi.num_named_barrier, 0
	.set _ZN9rocsparseL18gtsv_LBM_wv_kernelILj256ELj64EdEEviiiPKT1_S3_S3_PS1_S4_S4_Pi.private_seg_size, 0
	.set _ZN9rocsparseL18gtsv_LBM_wv_kernelILj256ELj64EdEEviiiPKT1_S3_S3_PS1_S4_S4_Pi.uses_vcc, 1
	.set _ZN9rocsparseL18gtsv_LBM_wv_kernelILj256ELj64EdEEviiiPKT1_S3_S3_PS1_S4_S4_Pi.uses_flat_scratch, 0
	.set _ZN9rocsparseL18gtsv_LBM_wv_kernelILj256ELj64EdEEviiiPKT1_S3_S3_PS1_S4_S4_Pi.has_dyn_sized_stack, 0
	.set _ZN9rocsparseL18gtsv_LBM_wv_kernelILj256ELj64EdEEviiiPKT1_S3_S3_PS1_S4_S4_Pi.has_recursion, 0
	.set _ZN9rocsparseL18gtsv_LBM_wv_kernelILj256ELj64EdEEviiiPKT1_S3_S3_PS1_S4_S4_Pi.has_indirect_call, 0
	.section	.AMDGPU.csdata,"",@progbits
; Kernel info:
; codeLenInByte = 2484
; TotalNumSgprs: 35
; NumVgprs: 56
; ScratchSize: 0
; MemoryBound: 1
; FloatMode: 240
; IeeeMode: 1
; LDSByteSize: 0 bytes/workgroup (compile time only)
; SGPRBlocks: 4
; VGPRBlocks: 13
; NumSGPRsForWavesPerEU: 35
; NumVGPRsForWavesPerEU: 56
; Occupancy: 4
; WaveLimiterHint : 0
; COMPUTE_PGM_RSRC2:SCRATCH_EN: 0
; COMPUTE_PGM_RSRC2:USER_SGPR: 6
; COMPUTE_PGM_RSRC2:TRAP_HANDLER: 0
; COMPUTE_PGM_RSRC2:TGID_X_EN: 1
; COMPUTE_PGM_RSRC2:TGID_Y_EN: 0
; COMPUTE_PGM_RSRC2:TGID_Z_EN: 0
; COMPUTE_PGM_RSRC2:TIDIG_COMP_CNT: 0
	.section	.text._ZN9rocsparseL19gtsv_LBM_rhs_kernelILj256ELj64ELj8EdEEviiiPKT2_S3_S3_PS1_S3_PKi,"axG",@progbits,_ZN9rocsparseL19gtsv_LBM_rhs_kernelILj256ELj64ELj8EdEEviiiPKT2_S3_S3_PS1_S3_PKi,comdat
	.globl	_ZN9rocsparseL19gtsv_LBM_rhs_kernelILj256ELj64ELj8EdEEviiiPKT2_S3_S3_PS1_S3_PKi ; -- Begin function _ZN9rocsparseL19gtsv_LBM_rhs_kernelILj256ELj64ELj8EdEEviiiPKT2_S3_S3_PS1_S3_PKi
	.p2align	8
	.type	_ZN9rocsparseL19gtsv_LBM_rhs_kernelILj256ELj64ELj8EdEEviiiPKT2_S3_S3_PS1_S3_PKi,@function
_ZN9rocsparseL19gtsv_LBM_rhs_kernelILj256ELj64ELj8EdEEviiiPKT2_S3_S3_PS1_S3_PKi: ; @_ZN9rocsparseL19gtsv_LBM_rhs_kernelILj256ELj64ELj8EdEEviiiPKT2_S3_S3_PS1_S3_PKi
; %bb.0:
	s_load_dword s23, s[4:5], 0x0
	v_lshl_or_b32 v0, s6, 8, v0
	s_waitcnt lgkmcnt(0)
	s_lshr_b32 s22, s23, 6
	v_cmp_gt_i32_e32 vcc, s22, v0
	s_and_saveexec_b64 s[0:1], vcc
	s_cbranch_execz .LBB150_29
; %bb.1:
	s_load_dwordx4 s[8:11], s[4:5], 0x28
	s_load_dwordx2 s[16:17], s[4:5], 0x38
	s_cmp_lt_i32 s23, 1
	v_add_u32_e32 v71, s22, v0
	s_mul_i32 s24, s7, s23
	s_cbranch_scc1 .LBB150_21
; %bb.2:
	s_load_dwordx4 s[12:15], s[4:5], 0x10
	s_load_dwordx2 s[6:7], s[4:5], 0x20
	v_ashrrev_i32_e32 v1, 31, v0
	v_lshlrev_b64 v[1:2], 3, v[0:1]
	s_lshl_b32 s28, s24, 3
	s_waitcnt lgkmcnt(0)
	v_mov_b32_e32 v3, s15
	v_add_co_u32_e32 v1, vcc, s14, v1
	v_addc_co_u32_e32 v2, vcc, v3, v2, vcc
	global_load_dwordx2 v[7:8], v[1:2], off
	s_add_i32 s29, s28, s23
	s_add_i32 s30, s29, s23
	;; [unrolled: 1-line block ×6, first 2 shown]
	s_mul_i32 s25, s22, 63
	s_mul_i32 s26, s22, 62
	s_lshl_b32 s27, s22, 1
	v_add_u32_e32 v72, s22, v71
	s_add_i32 s36, s35, s23
	v_mov_b32_e32 v2, 0
	s_mov_b64 s[18:19], 0
	v_mov_b32_e32 v74, s7
	v_mov_b32_e32 v73, 0
	s_branch .LBB150_5
.LBB150_3:                              ;   in Loop: Header=BB150_5 Depth=1
	s_or_b64 exec, exec, s[4:5]
	v_fma_f64 v[7:8], -v[7:8], v[47:48], v[5:6]
	v_mov_b32_e32 v1, s22
.LBB150_4:                              ;   in Loop: Header=BB150_5 Depth=1
	s_or_b64 exec, exec, s[2:3]
	v_add_u32_e32 v73, v1, v73
	v_cmp_le_i32_e32 vcc, s23, v73
	s_or_b64 s[18:19], vcc, s[18:19]
	s_andn2_b64 exec, exec, s[18:19]
	s_cbranch_execz .LBB150_20
.LBB150_5:                              ; =>This Inner Loop Header: Depth=1
	v_add_u32_e32 v29, v73, v0
	v_ashrrev_i32_e32 v30, 31, v29
	v_lshlrev_b64 v[3:4], 3, v[29:30]
	v_mov_b32_e32 v5, 0
	v_add_co_u32_e32 v3, vcc, s6, v3
	v_addc_co_u32_e32 v4, vcc, v74, v4, vcc
	global_load_dwordx2 v[13:14], v[3:4], off
	v_mov_b32_e32 v3, 0
	v_mov_b32_e32 v6, 0
	;; [unrolled: 1-line block ×3, first 2 shown]
	v_cmp_gt_u32_e64 s[0:1], s25, v73
	s_and_saveexec_b64 s[2:3], s[0:1]
	s_cbranch_execz .LBB150_7
; %bb.6:                                ;   in Loop: Header=BB150_5 Depth=1
	v_add_u32_e32 v3, v71, v73
	v_ashrrev_i32_e32 v4, 31, v3
	v_lshlrev_b64 v[3:4], 3, v[3:4]
	v_mov_b32_e32 v1, s13
	v_add_co_u32_e32 v3, vcc, s12, v3
	v_addc_co_u32_e32 v4, vcc, v1, v4, vcc
	global_load_dwordx2 v[3:4], v[3:4], off
.LBB150_7:                              ;   in Loop: Header=BB150_5 Depth=1
	s_or_b64 exec, exec, s[2:3]
	s_and_saveexec_b64 s[2:3], s[0:1]
	s_cbranch_execz .LBB150_9
; %bb.8:                                ;   in Loop: Header=BB150_5 Depth=1
	v_add_u32_e32 v5, v71, v73
	v_ashrrev_i32_e32 v6, 31, v5
	v_lshlrev_b64 v[5:6], 3, v[5:6]
	v_mov_b32_e32 v1, s15
	v_add_co_u32_e32 v5, vcc, s14, v5
	v_addc_co_u32_e32 v6, vcc, v1, v6, vcc
	global_load_dwordx2 v[5:6], v[5:6], off
.LBB150_9:                              ;   in Loop: Header=BB150_5 Depth=1
	s_or_b64 exec, exec, s[2:3]
	v_mov_b32_e32 v11, 0
	v_mov_b32_e32 v9, 0
	;; [unrolled: 1-line block ×4, first 2 shown]
	s_and_saveexec_b64 s[2:3], s[0:1]
	s_cbranch_execz .LBB150_11
; %bb.10:                               ;   in Loop: Header=BB150_5 Depth=1
	v_add_u32_e32 v9, v71, v73
	v_ashrrev_i32_e32 v10, 31, v9
	v_lshlrev_b64 v[9:10], 3, v[9:10]
	v_mov_b32_e32 v1, s7
	v_add_co_u32_e32 v9, vcc, s6, v9
	v_addc_co_u32_e32 v10, vcc, v1, v10, vcc
	global_load_dwordx2 v[9:10], v[9:10], off
.LBB150_11:                             ;   in Loop: Header=BB150_5 Depth=1
	s_or_b64 exec, exec, s[2:3]
	v_cmp_gt_u32_e64 s[2:3], s26, v73
	s_and_saveexec_b64 s[4:5], s[2:3]
	s_cbranch_execz .LBB150_13
; %bb.12:                               ;   in Loop: Header=BB150_5 Depth=1
	v_add_u32_e32 v11, v72, v73
	v_ashrrev_i32_e32 v12, 31, v11
	v_lshlrev_b64 v[11:12], 3, v[11:12]
	v_mov_b32_e32 v1, s13
	v_add_co_u32_e32 v11, vcc, s12, v11
	v_addc_co_u32_e32 v12, vcc, v1, v12, vcc
	global_load_dwordx2 v[11:12], v[11:12], off
.LBB150_13:                             ;   in Loop: Header=BB150_5 Depth=1
	s_or_b64 exec, exec, s[4:5]
	v_lshlrev_b64 v[15:16], 2, v[29:30]
	v_mov_b32_e32 v1, s17
	v_add_co_u32_e32 v15, vcc, s16, v15
	v_addc_co_u32_e32 v16, vcc, v1, v16, vcc
	v_add_u32_e32 v1, s28, v29
	global_load_dword v49, v[15:16], off
	v_lshlrev_b64 v[15:16], 3, v[1:2]
	v_add_u32_e32 v1, s29, v29
	s_waitcnt vmcnt(4)
	v_mov_b32_e32 v39, s9
	v_add_co_u32_e32 v15, vcc, s8, v15
	v_lshlrev_b64 v[17:18], 3, v[1:2]
	v_addc_co_u32_e32 v16, vcc, v39, v16, vcc
	v_add_u32_e32 v1, s30, v29
	v_add_co_u32_e32 v17, vcc, s8, v17
	v_lshlrev_b64 v[19:20], 3, v[1:2]
	v_addc_co_u32_e32 v18, vcc, v39, v18, vcc
	v_add_u32_e32 v1, s31, v29
	;; [unrolled: 4-line block ×6, first 2 shown]
	v_add_co_u32_e32 v27, vcc, s8, v27
	v_lshlrev_b64 v[29:30], 3, v[1:2]
	v_addc_co_u32_e32 v28, vcc, v39, v28, vcc
	v_add_co_u32_e32 v29, vcc, s8, v29
	global_load_dwordx2 v[31:32], v[15:16], off
	global_load_dwordx2 v[33:34], v[17:18], off
	;; [unrolled: 1-line block ×4, first 2 shown]
	v_addc_co_u32_e32 v30, vcc, v39, v30, vcc
	global_load_dwordx2 v[43:44], v[23:24], off
	global_load_dwordx2 v[39:40], v[25:26], off
	;; [unrolled: 1-line block ×4, first 2 shown]
	s_waitcnt vmcnt(9)
	v_mul_f64 v[47:48], v[13:14], v[3:4]
	v_cmp_ne_u32_e64 s[4:5], s25, v73
	s_waitcnt vmcnt(8)
	v_cmp_ne_u32_e32 vcc, 1, v49
	s_and_b64 s[4:5], s[4:5], vcc
	s_and_saveexec_b64 s[20:21], s[4:5]
	s_xor_b64 s[4:5], exec, s[20:21]
	s_cbranch_execz .LBB150_17
; %bb.14:                               ;   in Loop: Header=BB150_5 Depth=1
	v_fma_f64 v[47:48], v[7:8], v[5:6], -v[47:48]
	v_add_u32_e32 v59, v71, v73
	v_add_u32_e32 v1, s28, v59
	v_lshlrev_b64 v[51:52], 3, v[1:2]
	v_add_u32_e32 v1, s29, v59
	v_mov_b32_e32 v65, s9
	v_lshlrev_b64 v[53:54], 3, v[1:2]
	v_add_co_u32_e32 v75, vcc, s8, v51
	v_div_scale_f64 v[49:50], s[20:21], v[47:48], v[47:48], 1.0
	v_add_u32_e32 v1, s30, v59
	v_addc_co_u32_e32 v76, vcc, v65, v52, vcc
	v_lshlrev_b64 v[51:52], 3, v[1:2]
	v_add_co_u32_e32 v77, vcc, s8, v53
	v_add_u32_e32 v1, s31, v59
	v_addc_co_u32_e32 v78, vcc, v65, v54, vcc
	v_lshlrev_b64 v[53:54], 3, v[1:2]
	v_add_co_u32_e32 v79, vcc, s8, v51
	v_add_u32_e32 v1, s33, v59
	v_addc_co_u32_e32 v80, vcc, v65, v52, vcc
	v_rcp_f64_e32 v[55:56], v[49:50]
	v_lshlrev_b64 v[51:52], 3, v[1:2]
	v_add_co_u32_e32 v81, vcc, s8, v53
	v_add_u32_e32 v1, s34, v59
	v_addc_co_u32_e32 v82, vcc, v65, v54, vcc
	v_lshlrev_b64 v[57:58], 3, v[1:2]
	v_add_co_u32_e32 v83, vcc, s8, v51
	v_add_u32_e32 v1, s35, v59
	v_addc_co_u32_e32 v84, vcc, v65, v52, vcc
	v_lshlrev_b64 v[53:54], 3, v[1:2]
	v_add_co_u32_e32 v89, vcc, s8, v57
	v_add_u32_e32 v1, s36, v59
	global_load_dwordx2 v[61:62], v[75:76], off
	global_load_dwordx2 v[63:64], v[77:78], off
	;; [unrolled: 1-line block ×4, first 2 shown]
	v_addc_co_u32_e32 v90, vcc, v65, v58, vcc
	v_lshlrev_b64 v[51:52], 3, v[1:2]
	v_add_co_u32_e32 v91, vcc, s8, v53
	global_load_dwordx2 v[93:94], v[83:84], off
	v_addc_co_u32_e32 v92, vcc, v65, v54, vcc
	v_add_co_u32_e32 v95, vcc, s8, v51
	v_addc_co_u32_e32 v96, vcc, v65, v52, vcc
	global_load_dwordx2 v[97:98], v[89:90], off
	global_load_dwordx2 v[99:100], v[91:92], off
	;; [unrolled: 1-line block ×3, first 2 shown]
	v_fma_f64 v[59:60], -v[49:50], v[55:56], 1.0
	v_div_scale_f64 v[53:54], vcc, 1.0, v[47:48], 1.0
	v_mov_b32_e32 v69, 0
	v_mov_b32_e32 v70, 0
	v_fma_f64 v[51:52], v[55:56], v[59:60], v[55:56]
	v_fma_f64 v[55:56], -v[49:50], v[51:52], 1.0
	v_fma_f64 v[51:52], v[51:52], v[55:56], v[51:52]
	v_mul_f64 v[55:56], v[53:54], v[51:52]
	v_fma_f64 v[49:50], -v[49:50], v[55:56], v[53:54]
	v_div_fmas_f64 v[49:50], v[49:50], v[51:52], v[55:56]
	v_div_fixup_f64 v[47:48], v[49:50], v[47:48], 1.0
	s_waitcnt vmcnt(7)
	v_mul_f64 v[67:68], v[47:48], v[61:62]
	s_waitcnt vmcnt(6)
	v_mul_f64 v[61:62], v[47:48], v[63:64]
	;; [unrolled: 2-line block ×5, first 2 shown]
	v_mul_f64 v[51:52], v[47:48], v[43:44]
	s_waitcnt vmcnt(2)
	v_mul_f64 v[43:44], v[47:48], v[97:98]
	v_mul_f64 v[57:58], v[47:48], v[35:36]
	s_waitcnt vmcnt(1)
	v_mul_f64 v[35:36], v[47:48], v[99:100]
	;; [unrolled: 3-line block ×3, first 2 shown]
	v_mul_f64 v[59:60], v[47:48], v[33:34]
	v_mul_f64 v[49:50], v[47:48], v[37:38]
	;; [unrolled: 1-line block ×21, first 2 shown]
	v_fma_f64 v[41:42], v[5:6], v[65:66], -v[41:42]
	v_fma_f64 v[45:46], v[5:6], v[59:60], -v[45:46]
	;; [unrolled: 1-line block ×16, first 2 shown]
	global_store_dwordx2 v[15:16], v[41:42], off
	global_store_dwordx2 v[17:18], v[45:46], off
	;; [unrolled: 1-line block ×16, first 2 shown]
	s_and_saveexec_b64 s[20:21], s[2:3]
	s_cbranch_execz .LBB150_16
; %bb.15:                               ;   in Loop: Header=BB150_5 Depth=1
	v_add_u32_e32 v5, v72, v73
	v_add_u32_e32 v1, s28, v5
	v_lshlrev_b64 v[13:14], 3, v[1:2]
	v_mov_b32_e32 v23, s9
	v_add_co_u32_e32 v13, vcc, s8, v13
	v_addc_co_u32_e32 v14, vcc, v23, v14, vcc
	global_load_dwordx2 v[15:16], v[13:14], off
	v_mul_f64 v[7:8], v[7:8], v[11:12]
	v_mul_f64 v[3:4], v[3:4], v[11:12]
	v_add_u32_e32 v1, s29, v5
	v_lshlrev_b64 v[17:18], 3, v[1:2]
	v_add_u32_e32 v1, s30, v5
	v_add_co_u32_e32 v17, vcc, s8, v17
	v_addc_co_u32_e32 v18, vcc, v23, v18, vcc
	v_mul_f64 v[11:12], v[7:8], v[67:68]
	global_load_dwordx2 v[19:20], v[17:18], off
	v_mul_f64 v[21:22], v[7:8], v[63:64]
	v_ashrrev_i32_e32 v6, 31, v5
	v_fma_f64 v[11:12], v[3:4], v[65:66], -v[11:12]
	s_waitcnt vmcnt(1)
	v_add_f64 v[11:12], v[11:12], v[15:16]
	v_lshlrev_b64 v[15:16], 3, v[1:2]
	v_add_u32_e32 v1, s31, v5
	v_add_co_u32_e32 v15, vcc, s8, v15
	v_addc_co_u32_e32 v16, vcc, v23, v16, vcc
	global_store_dwordx2 v[13:14], v[11:12], off
	global_load_dwordx2 v[11:12], v[15:16], off
	v_mul_f64 v[13:14], v[7:8], v[61:62]
	v_fma_f64 v[13:14], v[3:4], v[59:60], -v[13:14]
	s_waitcnt vmcnt(2)
	v_add_f64 v[13:14], v[13:14], v[19:20]
	v_fma_f64 v[19:20], v[3:4], v[57:58], -v[21:22]
	v_lshlrev_b64 v[21:22], 3, v[1:2]
	v_add_u32_e32 v1, s33, v5
	v_add_co_u32_e32 v21, vcc, s8, v21
	v_addc_co_u32_e32 v22, vcc, v23, v22, vcc
	global_store_dwordx2 v[17:18], v[13:14], off
	global_load_dwordx2 v[13:14], v[21:22], off
	v_lshlrev_b64 v[17:18], 3, v[1:2]
	v_add_u32_e32 v1, s34, v5
	v_add_co_u32_e32 v17, vcc, s8, v17
	v_addc_co_u32_e32 v18, vcc, v23, v18, vcc
	s_waitcnt vmcnt(2)
	v_add_f64 v[11:12], v[19:20], v[11:12]
	v_mul_f64 v[19:20], v[7:8], v[55:56]
	global_store_dwordx2 v[15:16], v[11:12], off
	global_load_dwordx2 v[11:12], v[17:18], off
	v_mul_f64 v[15:16], v[7:8], v[53:54]
	v_fma_f64 v[19:20], v[3:4], v[51:52], -v[19:20]
	v_fma_f64 v[15:16], v[3:4], v[49:50], -v[15:16]
	s_waitcnt vmcnt(2)
	v_add_f64 v[13:14], v[15:16], v[13:14]
	v_lshlrev_b64 v[15:16], 3, v[1:2]
	v_add_u32_e32 v1, s35, v5
	v_add_co_u32_e32 v15, vcc, s8, v15
	v_addc_co_u32_e32 v16, vcc, v23, v16, vcc
	s_waitcnt vmcnt(0)
	v_add_f64 v[11:12], v[19:20], v[11:12]
	global_store_dwordx2 v[21:22], v[13:14], off
	global_store_dwordx2 v[17:18], v[11:12], off
	global_load_dwordx2 v[11:12], v[15:16], off
	v_mul_f64 v[13:14], v[7:8], v[43:44]
	v_mov_b32_e32 v17, s15
	v_fma_f64 v[13:14], v[3:4], v[39:40], -v[13:14]
	s_waitcnt vmcnt(0)
	v_add_f64 v[11:12], v[13:14], v[11:12]
	v_lshlrev_b64 v[13:14], 3, v[1:2]
	v_add_u32_e32 v1, s36, v5
	v_add_co_u32_e32 v13, vcc, s8, v13
	v_addc_co_u32_e32 v14, vcc, v23, v14, vcc
	global_store_dwordx2 v[15:16], v[11:12], off
	global_load_dwordx2 v[11:12], v[13:14], off
	v_mul_f64 v[15:16], v[7:8], v[35:36]
	v_fma_f64 v[15:16], v[3:4], v[37:38], -v[15:16]
	s_waitcnt vmcnt(0)
	v_add_f64 v[11:12], v[15:16], v[11:12]
	v_lshlrev_b64 v[15:16], 3, v[5:6]
	v_lshlrev_b64 v[5:6], 3, v[1:2]
	v_add_co_u32_e32 v5, vcc, s8, v5
	v_addc_co_u32_e32 v6, vcc, v23, v6, vcc
	global_store_dwordx2 v[13:14], v[11:12], off
	v_add_co_u32_e32 v13, vcc, s14, v15
	v_addc_co_u32_e32 v14, vcc, v17, v16, vcc
	global_load_dwordx2 v[11:12], v[5:6], off
	v_mul_f64 v[15:16], v[7:8], v[31:32]
	global_load_dwordx2 v[13:14], v[13:14], off
	v_mul_f64 v[7:8], v[9:10], v[7:8]
	v_fma_f64 v[3:4], v[3:4], v[33:34], -v[15:16]
	s_waitcnt vmcnt(1)
	v_add_f64 v[3:4], v[3:4], v[11:12]
	s_waitcnt vmcnt(0)
	v_fma_f64 v[69:70], -v[47:48], v[7:8], v[13:14]
	global_store_dwordx2 v[5:6], v[3:4], off
.LBB150_16:                             ;   in Loop: Header=BB150_5 Depth=1
	s_or_b64 exec, exec, s[20:21]
	v_mov_b32_e32 v7, v69
	v_mov_b32_e32 v8, v70
                                        ; implicit-def: $vgpr3_vgpr4
                                        ; implicit-def: $vgpr5_vgpr6
                                        ; implicit-def: $vgpr47_vgpr48
                                        ; implicit-def: $vgpr15_vgpr16
                                        ; implicit-def: $vgpr31_vgpr32
                                        ; implicit-def: $vgpr17_vgpr18
                                        ; implicit-def: $vgpr33_vgpr34
                                        ; implicit-def: $vgpr19_vgpr20
                                        ; implicit-def: $vgpr35_vgpr36
                                        ; implicit-def: $vgpr21_vgpr22
                                        ; implicit-def: $vgpr37_vgpr38
                                        ; implicit-def: $vgpr23_vgpr24
                                        ; implicit-def: $vgpr43_vgpr44
                                        ; implicit-def: $vgpr25_vgpr26
                                        ; implicit-def: $vgpr39_vgpr40
                                        ; implicit-def: $vgpr27_vgpr28
                                        ; implicit-def: $vgpr41_vgpr42
                                        ; implicit-def: $vgpr29_vgpr30
                                        ; implicit-def: $vgpr45_vgpr46
.LBB150_17:                             ;   in Loop: Header=BB150_5 Depth=1
	s_or_saveexec_b64 s[2:3], s[4:5]
	v_mov_b32_e32 v1, s27
	s_xor_b64 exec, exec, s[2:3]
	s_cbranch_execz .LBB150_4
; %bb.18:                               ;   in Loop: Header=BB150_5 Depth=1
	v_div_scale_f64 v[9:10], s[4:5], v[7:8], v[7:8], 1.0
	v_rcp_f64_e32 v[11:12], v[9:10]
	v_fma_f64 v[13:14], -v[9:10], v[11:12], 1.0
	v_fma_f64 v[11:12], v[11:12], v[13:14], v[11:12]
	v_div_scale_f64 v[13:14], vcc, 1.0, v[7:8], 1.0
	v_fma_f64 v[49:50], -v[9:10], v[11:12], 1.0
	v_fma_f64 v[11:12], v[11:12], v[49:50], v[11:12]
	v_mul_f64 v[49:50], v[13:14], v[11:12]
	v_fma_f64 v[9:10], -v[9:10], v[49:50], v[13:14]
	v_div_fmas_f64 v[9:10], v[9:10], v[11:12], v[49:50]
	v_div_fixup_f64 v[7:8], v[9:10], v[7:8], 1.0
	s_waitcnt vmcnt(7)
	v_mul_f64 v[51:52], v[7:8], v[31:32]
	s_waitcnt vmcnt(6)
	v_mul_f64 v[49:50], v[7:8], v[33:34]
	;; [unrolled: 2-line block ×8, first 2 shown]
	global_store_dwordx2 v[15:16], v[51:52], off
	global_store_dwordx2 v[17:18], v[49:50], off
	;; [unrolled: 1-line block ×8, first 2 shown]
	s_and_saveexec_b64 s[4:5], s[0:1]
	s_cbranch_execz .LBB150_3
; %bb.19:                               ;   in Loop: Header=BB150_5 Depth=1
	v_add_u32_e32 v25, v71, v73
	v_add_u32_e32 v1, s28, v25
	v_lshlrev_b64 v[15:16], 3, v[1:2]
	v_mov_b32_e32 v26, s9
	v_add_co_u32_e32 v15, vcc, s8, v15
	v_addc_co_u32_e32 v16, vcc, v26, v16, vcc
	global_load_dwordx2 v[17:18], v[15:16], off
	v_add_u32_e32 v1, s29, v25
	v_lshlrev_b64 v[19:20], 3, v[1:2]
	v_add_u32_e32 v1, s30, v25
	v_add_co_u32_e32 v19, vcc, s8, v19
	v_addc_co_u32_e32 v20, vcc, v26, v20, vcc
	global_load_dwordx2 v[21:22], v[19:20], off
	v_lshlrev_b64 v[23:24], 3, v[1:2]
	v_add_u32_e32 v1, s31, v25
	v_add_co_u32_e32 v23, vcc, s8, v23
	v_addc_co_u32_e32 v24, vcc, v26, v24, vcc
	s_waitcnt vmcnt(1)
	v_fma_f64 v[17:18], -v[3:4], v[51:52], v[17:18]
	global_store_dwordx2 v[15:16], v[17:18], off
	global_load_dwordx2 v[15:16], v[23:24], off
	s_waitcnt vmcnt(2)
	v_fma_f64 v[17:18], -v[3:4], v[49:50], v[21:22]
	v_lshlrev_b64 v[21:22], 3, v[1:2]
	v_add_u32_e32 v1, s33, v25
	v_add_co_u32_e32 v21, vcc, s8, v21
	v_addc_co_u32_e32 v22, vcc, v26, v22, vcc
	global_store_dwordx2 v[19:20], v[17:18], off
	global_load_dwordx2 v[17:18], v[21:22], off
	v_lshlrev_b64 v[19:20], 3, v[1:2]
	v_add_u32_e32 v1, s34, v25
	v_add_co_u32_e32 v19, vcc, s8, v19
	v_addc_co_u32_e32 v20, vcc, v26, v20, vcc
	s_waitcnt vmcnt(2)
	v_fma_f64 v[15:16], -v[3:4], v[35:36], v[15:16]
	global_store_dwordx2 v[23:24], v[15:16], off
	global_load_dwordx2 v[15:16], v[19:20], off
	s_waitcnt vmcnt(2)
	v_fma_f64 v[17:18], -v[3:4], v[31:32], v[17:18]
	v_lshlrev_b64 v[23:24], 3, v[1:2]
	v_add_u32_e32 v1, s35, v25
	v_add_co_u32_e32 v23, vcc, s8, v23
	v_addc_co_u32_e32 v24, vcc, v26, v24, vcc
	s_waitcnt vmcnt(0)
	v_fma_f64 v[15:16], -v[3:4], v[33:34], v[15:16]
	global_store_dwordx2 v[21:22], v[17:18], off
	global_store_dwordx2 v[19:20], v[15:16], off
	global_load_dwordx2 v[15:16], v[23:24], off
	s_waitcnt vmcnt(0)
	v_fma_f64 v[13:14], -v[3:4], v[13:14], v[15:16]
	v_lshlrev_b64 v[15:16], 3, v[1:2]
	v_add_u32_e32 v1, s36, v25
	v_add_co_u32_e32 v15, vcc, s8, v15
	v_addc_co_u32_e32 v16, vcc, v26, v16, vcc
	global_store_dwordx2 v[23:24], v[13:14], off
	global_load_dwordx2 v[13:14], v[15:16], off
	s_waitcnt vmcnt(0)
	v_fma_f64 v[11:12], -v[3:4], v[11:12], v[13:14]
	v_lshlrev_b64 v[13:14], 3, v[1:2]
	global_store_dwordx2 v[15:16], v[11:12], off
	v_add_co_u32_e32 v11, vcc, s8, v13
	v_addc_co_u32_e32 v12, vcc, v26, v14, vcc
	global_load_dwordx2 v[13:14], v[11:12], off
	s_waitcnt vmcnt(0)
	v_fma_f64 v[3:4], -v[3:4], v[9:10], v[13:14]
	global_store_dwordx2 v[11:12], v[3:4], off
	s_branch .LBB150_3
.LBB150_20:
	s_or_b64 exec, exec, s[18:19]
	s_branch .LBB150_22
.LBB150_21:
	v_mov_b32_e32 v73, 0
.LBB150_22:
	v_subrev_u32_e32 v3, s22, v73
	v_add_u32_e32 v1, v3, v0
	v_ashrrev_i32_e32 v2, 31, v1
	v_lshlrev_b64 v[1:2], 2, v[1:2]
	s_waitcnt lgkmcnt(0)
	v_mov_b32_e32 v4, s17
	v_add_co_u32_e32 v1, vcc, s16, v1
	v_addc_co_u32_e32 v2, vcc, v4, v2, vcc
	s_waitcnt vmcnt(0)
	buffer_wbinvl1_vol
	global_load_dword v1, v[1:2], off
	s_waitcnt vmcnt(0)
	v_mul_lo_u32 v1, v1, s22
	v_sub_u32_e32 v7, v3, v1
	v_cmp_lt_i32_e32 vcc, -1, v7
	s_and_b64 exec, exec, vcc
	s_cbranch_execz .LBB150_29
; %bb.23:
	s_lshl_b32 s4, s24, 3
	s_add_i32 s5, s4, s23
	s_add_i32 s6, s5, s23
	;; [unrolled: 1-line block ×7, first 2 shown]
	s_lshl_b32 s18, s22, 1
	s_mov_b64 s[0:1], 0
	v_mov_b32_e32 v8, s17
	v_mov_b32_e32 v9, s11
	;; [unrolled: 1-line block ×3, first 2 shown]
	s_branch .LBB150_25
.LBB150_24:                             ;   in Loop: Header=BB150_25 Depth=1
	s_or_b64 exec, exec, s[2:3]
	v_sub_u32_e32 v7, v7, v1
	v_cmp_gt_i32_e32 vcc, 0, v7
	s_or_b64 s[0:1], vcc, s[0:1]
	s_andn2_b64 exec, exec, s[0:1]
	s_cbranch_execz .LBB150_29
.LBB150_25:                             ; =>This Inner Loop Header: Depth=1
	v_add_u32_e32 v5, v7, v0
	v_ashrrev_i32_e32 v6, 31, v5
	s_waitcnt vmcnt(0)
	v_lshlrev_b64 v[3:4], 2, v[5:6]
	v_add_co_u32_e32 v3, vcc, s16, v3
	v_addc_co_u32_e32 v4, vcc, v8, v4, vcc
	global_load_dword v1, v[3:4], off
	v_lshlrev_b64 v[3:4], 3, v[5:6]
	v_add_co_u32_e32 v3, vcc, s10, v3
	v_addc_co_u32_e32 v4, vcc, v9, v4, vcc
	global_load_dwordx2 v[3:4], v[3:4], off
	s_waitcnt vmcnt(1)
	v_cmp_ne_u32_e32 vcc, 1, v1
	s_and_saveexec_b64 s[2:3], vcc
	s_xor_b64 s[2:3], exec, s[2:3]
	s_cbranch_execz .LBB150_27
; %bb.26:                               ;   in Loop: Header=BB150_25 Depth=1
	v_add_u32_e32 v6, v71, v7
	v_add_u32_e32 v1, s4, v6
	v_lshlrev_b64 v[10:11], 3, v[1:2]
	v_mov_b32_e32 v1, s9
	v_add_co_u32_e32 v10, vcc, s8, v10
	v_addc_co_u32_e32 v11, vcc, v1, v11, vcc
	v_add_u32_e32 v1, s5, v6
	v_lshlrev_b64 v[12:13], 3, v[1:2]
	v_add_u32_e32 v1, s6, v6
	v_lshlrev_b64 v[14:15], 3, v[1:2]
	;; [unrolled: 2-line block ×8, first 2 shown]
	v_mov_b32_e32 v1, s9
	v_add_co_u32_e32 v26, vcc, s8, v26
	v_addc_co_u32_e32 v27, vcc, v1, v27, vcc
	global_load_dwordx2 v[10:11], v[10:11], off
	v_add_co_u32_e32 v12, vcc, s8, v12
	global_load_dwordx2 v[28:29], v[26:27], off
	v_addc_co_u32_e32 v13, vcc, v1, v13, vcc
	v_mov_b32_e32 v6, s9
	v_add_co_u32_e32 v14, vcc, s8, v14
	v_addc_co_u32_e32 v15, vcc, v6, v15, vcc
	v_mov_b32_e32 v30, s9
	v_add_co_u32_e32 v16, vcc, s8, v16
	v_addc_co_u32_e32 v17, vcc, v30, v17, vcc
	v_mov_b32_e32 v36, s9
	global_load_dwordx2 v[30:31], v[12:13], off
	global_load_dwordx2 v[32:33], v[14:15], off
	global_load_dwordx2 v[34:35], v[16:17], off
	v_add_co_u32_e32 v12, vcc, s8, v18
	v_addc_co_u32_e32 v13, vcc, v36, v19, vcc
	v_mov_b32_e32 v37, s9
	v_add_co_u32_e32 v14, vcc, s8, v20
	v_addc_co_u32_e32 v15, vcc, v37, v21, vcc
	v_mov_b32_e32 v38, s9
	v_add_co_u32_e32 v16, vcc, s8, v22
	v_addc_co_u32_e32 v17, vcc, v38, v23, vcc
	v_add_u32_e32 v1, s5, v5
	v_mov_b32_e32 v39, s9
	v_add_co_u32_e32 v18, vcc, s8, v24
	v_lshlrev_b64 v[20:21], 3, v[1:2]
	v_addc_co_u32_e32 v19, vcc, v39, v25, vcc
	v_mov_b32_e32 v40, s9
	v_add_u32_e32 v1, s6, v5
	s_waitcnt vmcnt(3)
	v_fma_f64 v[22:23], -v[3:4], v[10:11], v[28:29]
	global_load_dwordx2 v[24:25], v[12:13], off
	global_load_dwordx2 v[28:29], v[14:15], off
	;; [unrolled: 1-line block ×4, first 2 shown]
	v_add_co_u32_e32 v12, vcc, s8, v20
	v_addc_co_u32_e32 v13, vcc, v40, v21, vcc
	v_lshlrev_b64 v[16:17], 3, v[1:2]
	v_add_u32_e32 v1, s7, v5
	global_store_dwordx2 v[26:27], v[22:23], off
	global_load_dwordx2 v[14:15], v[12:13], off
	v_add_co_u32_e32 v16, vcc, s8, v16
	v_addc_co_u32_e32 v17, vcc, v6, v17, vcc
	s_waitcnt vmcnt(0)
	v_fma_f64 v[14:15], -v[3:4], v[30:31], v[14:15]
	global_store_dwordx2 v[12:13], v[14:15], off
	global_load_dwordx2 v[12:13], v[16:17], off
	v_lshlrev_b64 v[14:15], 3, v[1:2]
	v_add_u32_e32 v1, s12, v5
	v_add_co_u32_e32 v14, vcc, s8, v14
	v_addc_co_u32_e32 v15, vcc, v6, v15, vcc
	s_waitcnt vmcnt(0)
	v_fma_f64 v[12:13], -v[3:4], v[32:33], v[12:13]
	global_store_dwordx2 v[16:17], v[12:13], off
	global_load_dwordx2 v[12:13], v[14:15], off
	v_lshlrev_b64 v[16:17], 3, v[1:2]
	v_add_u32_e32 v1, s13, v5
	v_add_co_u32_e32 v16, vcc, s8, v16
	v_addc_co_u32_e32 v17, vcc, v6, v17, vcc
	s_waitcnt vmcnt(0)
	v_fma_f64 v[12:13], -v[3:4], v[34:35], v[12:13]
	global_store_dwordx2 v[14:15], v[12:13], off
	global_load_dwordx2 v[12:13], v[16:17], off
	v_lshlrev_b64 v[14:15], 3, v[1:2]
	v_add_u32_e32 v1, s14, v5
	v_add_co_u32_e32 v14, vcc, s8, v14
	v_addc_co_u32_e32 v15, vcc, v6, v15, vcc
	s_waitcnt vmcnt(0)
	v_fma_f64 v[12:13], -v[3:4], v[24:25], v[12:13]
	global_store_dwordx2 v[16:17], v[12:13], off
	global_load_dwordx2 v[12:13], v[14:15], off
	v_lshlrev_b64 v[16:17], 3, v[1:2]
	v_add_u32_e32 v1, s15, v5
	v_add_co_u32_e32 v16, vcc, s8, v16
	v_addc_co_u32_e32 v17, vcc, v6, v17, vcc
	v_lshlrev_b64 v[5:6], 3, v[1:2]
	v_subrev_u32_e32 v1, s22, v7
	v_add_co_u32_e32 v5, vcc, s8, v5
	s_waitcnt vmcnt(0)
	v_fma_f64 v[12:13], -v[3:4], v[28:29], v[12:13]
	global_store_dwordx2 v[14:15], v[12:13], off
	global_load_dwordx2 v[12:13], v[16:17], off
	v_mov_b32_e32 v14, s9
	v_addc_co_u32_e32 v6, vcc, v14, v6, vcc
	v_add_u32_e32 v14, v1, v0
	v_ashrrev_i32_e32 v15, 31, v14
	v_add_u32_e32 v1, s4, v14
	s_waitcnt vmcnt(0)
	v_fma_f64 v[12:13], -v[3:4], v[36:37], v[12:13]
	global_store_dwordx2 v[16:17], v[12:13], off
	global_load_dwordx2 v[12:13], v[5:6], off
	v_lshlrev_b64 v[15:16], 3, v[14:15]
	v_mov_b32_e32 v17, s9
	v_add_co_u32_e32 v15, vcc, s10, v15
	v_addc_co_u32_e32 v16, vcc, v9, v16, vcc
	s_waitcnt vmcnt(0)
	v_fma_f64 v[3:4], -v[3:4], v[38:39], v[12:13]
	global_load_dwordx2 v[12:13], v[15:16], off
	v_lshlrev_b64 v[15:16], 3, v[1:2]
	v_add_u32_e32 v1, s5, v14
	v_add_co_u32_e32 v15, vcc, s8, v15
	v_addc_co_u32_e32 v16, vcc, v17, v16, vcc
	global_store_dwordx2 v[5:6], v[3:4], off
	global_load_dwordx2 v[3:4], v[15:16], off
	v_lshlrev_b64 v[5:6], 3, v[1:2]
	v_add_u32_e32 v1, s6, v14
	v_add_co_u32_e32 v5, vcc, s8, v5
	s_waitcnt vmcnt(0)
	v_fma_f64 v[3:4], -v[12:13], v[10:11], v[3:4]
	v_mov_b32_e32 v10, s9
	v_addc_co_u32_e32 v6, vcc, v10, v6, vcc
	v_lshlrev_b64 v[10:11], 3, v[1:2]
	v_add_u32_e32 v1, s7, v14
	v_add_co_u32_e32 v10, vcc, s8, v10
	global_store_dwordx2 v[15:16], v[3:4], off
	global_load_dwordx2 v[3:4], v[5:6], off
	v_mov_b32_e32 v15, s9
	v_addc_co_u32_e32 v11, vcc, v15, v11, vcc
	s_waitcnt vmcnt(0)
	v_fma_f64 v[3:4], -v[12:13], v[30:31], v[3:4]
	global_store_dwordx2 v[5:6], v[3:4], off
	global_load_dwordx2 v[3:4], v[10:11], off
	v_lshlrev_b64 v[5:6], 3, v[1:2]
	v_add_u32_e32 v1, s12, v14
	v_add_co_u32_e32 v5, vcc, s8, v5
	v_addc_co_u32_e32 v6, vcc, v15, v6, vcc
	s_waitcnt vmcnt(0)
	v_fma_f64 v[3:4], -v[12:13], v[32:33], v[3:4]
	global_store_dwordx2 v[10:11], v[3:4], off
	global_load_dwordx2 v[3:4], v[5:6], off
	v_lshlrev_b64 v[10:11], 3, v[1:2]
	v_add_u32_e32 v1, s13, v14
	v_add_co_u32_e32 v10, vcc, s8, v10
	;; [unrolled: 8-line block ×4, first 2 shown]
	v_addc_co_u32_e32 v11, vcc, v15, v11, vcc
	s_waitcnt vmcnt(0)
	v_fma_f64 v[3:4], -v[12:13], v[28:29], v[3:4]
	global_store_dwordx2 v[5:6], v[3:4], off
	global_load_dwordx2 v[3:4], v[10:11], off
	v_lshlrev_b64 v[5:6], 3, v[1:2]
	s_waitcnt vmcnt(0)
	v_fma_f64 v[3:4], -v[12:13], v[36:37], v[3:4]
	global_store_dwordx2 v[10:11], v[3:4], off
	v_add_co_u32_e32 v3, vcc, s8, v5
	v_addc_co_u32_e32 v4, vcc, v15, v6, vcc
	global_load_dwordx2 v[5:6], v[3:4], off
	s_waitcnt vmcnt(0)
	v_fma_f64 v[5:6], -v[12:13], v[38:39], v[5:6]
	global_store_dwordx2 v[3:4], v[5:6], off
                                        ; implicit-def: $vgpr5
                                        ; implicit-def: $vgpr3_vgpr4
.LBB150_27:                             ;   in Loop: Header=BB150_25 Depth=1
	s_or_saveexec_b64 s[2:3], s[2:3]
	v_mov_b32_e32 v1, s18
	s_xor_b64 exec, exec, s[2:3]
	s_cbranch_execz .LBB150_24
; %bb.28:                               ;   in Loop: Header=BB150_25 Depth=1
	v_add_u32_e32 v6, v71, v7
	v_add_u32_e32 v1, s4, v6
	v_lshlrev_b64 v[10:11], 3, v[1:2]
	v_mov_b32_e32 v1, s9
	v_add_co_u32_e32 v10, vcc, s8, v10
	v_addc_co_u32_e32 v11, vcc, v1, v11, vcc
	v_add_u32_e32 v1, s4, v5
	v_lshlrev_b64 v[12:13], 3, v[1:2]
	v_mov_b32_e32 v1, s9
	v_add_co_u32_e32 v12, vcc, s8, v12
	v_addc_co_u32_e32 v13, vcc, v1, v13, vcc
	global_load_dwordx2 v[14:15], v[10:11], off
	global_load_dwordx2 v[16:17], v[12:13], off
	v_add_u32_e32 v1, s5, v6
	v_lshlrev_b64 v[10:11], 3, v[1:2]
	v_add_u32_e32 v1, s5, v5
	v_mov_b32_e32 v20, s9
	v_lshlrev_b64 v[18:19], 3, v[1:2]
	v_add_co_u32_e32 v10, vcc, s8, v10
	v_addc_co_u32_e32 v11, vcc, v20, v11, vcc
	v_mov_b32_e32 v21, s9
	v_add_u32_e32 v1, s6, v6
	s_waitcnt vmcnt(0)
	v_fma_f64 v[14:15], -v[3:4], v[14:15], v[16:17]
	v_add_co_u32_e32 v16, vcc, s8, v18
	v_addc_co_u32_e32 v17, vcc, v21, v19, vcc
	global_store_dwordx2 v[12:13], v[14:15], off
	global_load_dwordx2 v[12:13], v[10:11], off
	s_nop 0
	global_load_dwordx2 v[14:15], v[16:17], off
	v_lshlrev_b64 v[10:11], 3, v[1:2]
	v_add_u32_e32 v1, s6, v5
	v_lshlrev_b64 v[18:19], 3, v[1:2]
	v_add_co_u32_e32 v10, vcc, s8, v10
	v_addc_co_u32_e32 v11, vcc, v20, v11, vcc
	v_add_u32_e32 v1, s7, v6
	s_waitcnt vmcnt(0)
	v_fma_f64 v[12:13], -v[3:4], v[12:13], v[14:15]
	v_add_co_u32_e32 v14, vcc, s8, v18
	v_addc_co_u32_e32 v15, vcc, v21, v19, vcc
	global_store_dwordx2 v[16:17], v[12:13], off
	global_load_dwordx2 v[12:13], v[10:11], off
	s_nop 0
	global_load_dwordx2 v[16:17], v[14:15], off
	v_lshlrev_b64 v[10:11], 3, v[1:2]
	v_add_u32_e32 v1, s7, v5
	v_lshlrev_b64 v[18:19], 3, v[1:2]
	v_add_co_u32_e32 v10, vcc, s8, v10
	v_addc_co_u32_e32 v11, vcc, v20, v11, vcc
	v_add_u32_e32 v1, s12, v6
	s_waitcnt vmcnt(0)
	v_fma_f64 v[12:13], -v[3:4], v[12:13], v[16:17]
	v_add_co_u32_e32 v16, vcc, s8, v18
	v_addc_co_u32_e32 v17, vcc, v21, v19, vcc
	global_store_dwordx2 v[14:15], v[12:13], off
	global_load_dwordx2 v[12:13], v[10:11], off
	s_nop 0
	global_load_dwordx2 v[14:15], v[16:17], off
	v_lshlrev_b64 v[10:11], 3, v[1:2]
	v_add_u32_e32 v1, s12, v5
	v_lshlrev_b64 v[18:19], 3, v[1:2]
	v_add_co_u32_e32 v10, vcc, s8, v10
	v_addc_co_u32_e32 v11, vcc, v20, v11, vcc
	v_add_u32_e32 v1, s13, v6
	s_waitcnt vmcnt(0)
	v_fma_f64 v[12:13], -v[3:4], v[12:13], v[14:15]
	v_add_co_u32_e32 v14, vcc, s8, v18
	v_addc_co_u32_e32 v15, vcc, v21, v19, vcc
	global_store_dwordx2 v[16:17], v[12:13], off
	global_load_dwordx2 v[12:13], v[10:11], off
	s_nop 0
	global_load_dwordx2 v[16:17], v[14:15], off
	v_lshlrev_b64 v[10:11], 3, v[1:2]
	v_add_u32_e32 v1, s13, v5
	v_lshlrev_b64 v[18:19], 3, v[1:2]
	v_add_co_u32_e32 v10, vcc, s8, v10
	v_addc_co_u32_e32 v11, vcc, v20, v11, vcc
	v_add_u32_e32 v1, s14, v6
	s_waitcnt vmcnt(0)
	v_fma_f64 v[12:13], -v[3:4], v[12:13], v[16:17]
	v_add_co_u32_e32 v16, vcc, s8, v18
	v_addc_co_u32_e32 v17, vcc, v21, v19, vcc
	global_store_dwordx2 v[14:15], v[12:13], off
	global_load_dwordx2 v[12:13], v[10:11], off
	s_nop 0
	global_load_dwordx2 v[14:15], v[16:17], off
	v_lshlrev_b64 v[10:11], 3, v[1:2]
	v_add_u32_e32 v1, s14, v5
	v_lshlrev_b64 v[18:19], 3, v[1:2]
	v_add_co_u32_e32 v10, vcc, s8, v10
	v_addc_co_u32_e32 v11, vcc, v20, v11, vcc
	v_add_u32_e32 v1, s15, v6
	s_waitcnt vmcnt(0)
	v_fma_f64 v[12:13], -v[3:4], v[12:13], v[14:15]
	v_add_co_u32_e32 v14, vcc, s8, v18
	v_addc_co_u32_e32 v15, vcc, v21, v19, vcc
	v_mov_b32_e32 v18, s9
	v_mov_b32_e32 v19, s9
	global_store_dwordx2 v[16:17], v[12:13], off
	global_load_dwordx2 v[12:13], v[10:11], off
	s_nop 0
	global_load_dwordx2 v[16:17], v[14:15], off
	v_lshlrev_b64 v[10:11], 3, v[1:2]
	v_add_u32_e32 v1, s15, v5
	v_lshlrev_b64 v[5:6], 3, v[1:2]
	v_add_co_u32_e32 v10, vcc, s8, v10
	v_addc_co_u32_e32 v11, vcc, v18, v11, vcc
	v_add_co_u32_e32 v5, vcc, s8, v5
	v_addc_co_u32_e32 v6, vcc, v19, v6, vcc
	v_mov_b32_e32 v1, s22
	s_waitcnt vmcnt(0)
	v_fma_f64 v[12:13], -v[3:4], v[12:13], v[16:17]
	global_store_dwordx2 v[14:15], v[12:13], off
	global_load_dwordx2 v[12:13], v[10:11], off
	s_nop 0
	global_load_dwordx2 v[14:15], v[5:6], off
	s_waitcnt vmcnt(0)
	v_fma_f64 v[3:4], -v[3:4], v[12:13], v[14:15]
	global_store_dwordx2 v[5:6], v[3:4], off
	s_branch .LBB150_24
.LBB150_29:
	s_endpgm
	.section	.rodata,"a",@progbits
	.p2align	6, 0x0
	.amdhsa_kernel _ZN9rocsparseL19gtsv_LBM_rhs_kernelILj256ELj64ELj8EdEEviiiPKT2_S3_S3_PS1_S3_PKi
		.amdhsa_group_segment_fixed_size 0
		.amdhsa_private_segment_fixed_size 0
		.amdhsa_kernarg_size 64
		.amdhsa_user_sgpr_count 6
		.amdhsa_user_sgpr_private_segment_buffer 1
		.amdhsa_user_sgpr_dispatch_ptr 0
		.amdhsa_user_sgpr_queue_ptr 0
		.amdhsa_user_sgpr_kernarg_segment_ptr 1
		.amdhsa_user_sgpr_dispatch_id 0
		.amdhsa_user_sgpr_flat_scratch_init 0
		.amdhsa_user_sgpr_private_segment_size 0
		.amdhsa_uses_dynamic_stack 0
		.amdhsa_system_sgpr_private_segment_wavefront_offset 0
		.amdhsa_system_sgpr_workgroup_id_x 1
		.amdhsa_system_sgpr_workgroup_id_y 1
		.amdhsa_system_sgpr_workgroup_id_z 0
		.amdhsa_system_sgpr_workgroup_info 0
		.amdhsa_system_vgpr_workitem_id 0
		.amdhsa_next_free_vgpr 117
		.amdhsa_next_free_sgpr 37
		.amdhsa_reserve_vcc 1
		.amdhsa_reserve_flat_scratch 0
		.amdhsa_float_round_mode_32 0
		.amdhsa_float_round_mode_16_64 0
		.amdhsa_float_denorm_mode_32 3
		.amdhsa_float_denorm_mode_16_64 3
		.amdhsa_dx10_clamp 1
		.amdhsa_ieee_mode 1
		.amdhsa_fp16_overflow 0
		.amdhsa_exception_fp_ieee_invalid_op 0
		.amdhsa_exception_fp_denorm_src 0
		.amdhsa_exception_fp_ieee_div_zero 0
		.amdhsa_exception_fp_ieee_overflow 0
		.amdhsa_exception_fp_ieee_underflow 0
		.amdhsa_exception_fp_ieee_inexact 0
		.amdhsa_exception_int_div_zero 0
	.end_amdhsa_kernel
	.section	.text._ZN9rocsparseL19gtsv_LBM_rhs_kernelILj256ELj64ELj8EdEEviiiPKT2_S3_S3_PS1_S3_PKi,"axG",@progbits,_ZN9rocsparseL19gtsv_LBM_rhs_kernelILj256ELj64ELj8EdEEviiiPKT2_S3_S3_PS1_S3_PKi,comdat
.Lfunc_end150:
	.size	_ZN9rocsparseL19gtsv_LBM_rhs_kernelILj256ELj64ELj8EdEEviiiPKT2_S3_S3_PS1_S3_PKi, .Lfunc_end150-_ZN9rocsparseL19gtsv_LBM_rhs_kernelILj256ELj64ELj8EdEEviiiPKT2_S3_S3_PS1_S3_PKi
                                        ; -- End function
	.set _ZN9rocsparseL19gtsv_LBM_rhs_kernelILj256ELj64ELj8EdEEviiiPKT2_S3_S3_PS1_S3_PKi.num_vgpr, 117
	.set _ZN9rocsparseL19gtsv_LBM_rhs_kernelILj256ELj64ELj8EdEEviiiPKT2_S3_S3_PS1_S3_PKi.num_agpr, 0
	.set _ZN9rocsparseL19gtsv_LBM_rhs_kernelILj256ELj64ELj8EdEEviiiPKT2_S3_S3_PS1_S3_PKi.numbered_sgpr, 37
	.set _ZN9rocsparseL19gtsv_LBM_rhs_kernelILj256ELj64ELj8EdEEviiiPKT2_S3_S3_PS1_S3_PKi.num_named_barrier, 0
	.set _ZN9rocsparseL19gtsv_LBM_rhs_kernelILj256ELj64ELj8EdEEviiiPKT2_S3_S3_PS1_S3_PKi.private_seg_size, 0
	.set _ZN9rocsparseL19gtsv_LBM_rhs_kernelILj256ELj64ELj8EdEEviiiPKT2_S3_S3_PS1_S3_PKi.uses_vcc, 1
	.set _ZN9rocsparseL19gtsv_LBM_rhs_kernelILj256ELj64ELj8EdEEviiiPKT2_S3_S3_PS1_S3_PKi.uses_flat_scratch, 0
	.set _ZN9rocsparseL19gtsv_LBM_rhs_kernelILj256ELj64ELj8EdEEviiiPKT2_S3_S3_PS1_S3_PKi.has_dyn_sized_stack, 0
	.set _ZN9rocsparseL19gtsv_LBM_rhs_kernelILj256ELj64ELj8EdEEviiiPKT2_S3_S3_PS1_S3_PKi.has_recursion, 0
	.set _ZN9rocsparseL19gtsv_LBM_rhs_kernelILj256ELj64ELj8EdEEviiiPKT2_S3_S3_PS1_S3_PKi.has_indirect_call, 0
	.section	.AMDGPU.csdata,"",@progbits
; Kernel info:
; codeLenInByte = 4984
; TotalNumSgprs: 41
; NumVgprs: 117
; ScratchSize: 0
; MemoryBound: 0
; FloatMode: 240
; IeeeMode: 1
; LDSByteSize: 0 bytes/workgroup (compile time only)
; SGPRBlocks: 5
; VGPRBlocks: 29
; NumSGPRsForWavesPerEU: 41
; NumVGPRsForWavesPerEU: 117
; Occupancy: 2
; WaveLimiterHint : 0
; COMPUTE_PGM_RSRC2:SCRATCH_EN: 0
; COMPUTE_PGM_RSRC2:USER_SGPR: 6
; COMPUTE_PGM_RSRC2:TRAP_HANDLER: 0
; COMPUTE_PGM_RSRC2:TGID_X_EN: 1
; COMPUTE_PGM_RSRC2:TGID_Y_EN: 1
; COMPUTE_PGM_RSRC2:TGID_Z_EN: 0
; COMPUTE_PGM_RSRC2:TIDIG_COMP_CNT: 0
	.section	.text._ZN9rocsparseL19gtsv_LBM_rhs_kernelILj256ELj64ELj4EdEEviiiPKT2_S3_S3_PS1_S3_PKi,"axG",@progbits,_ZN9rocsparseL19gtsv_LBM_rhs_kernelILj256ELj64ELj4EdEEviiiPKT2_S3_S3_PS1_S3_PKi,comdat
	.globl	_ZN9rocsparseL19gtsv_LBM_rhs_kernelILj256ELj64ELj4EdEEviiiPKT2_S3_S3_PS1_S3_PKi ; -- Begin function _ZN9rocsparseL19gtsv_LBM_rhs_kernelILj256ELj64ELj4EdEEviiiPKT2_S3_S3_PS1_S3_PKi
	.p2align	8
	.type	_ZN9rocsparseL19gtsv_LBM_rhs_kernelILj256ELj64ELj4EdEEviiiPKT2_S3_S3_PS1_S3_PKi,@function
_ZN9rocsparseL19gtsv_LBM_rhs_kernelILj256ELj64ELj4EdEEviiiPKT2_S3_S3_PS1_S3_PKi: ; @_ZN9rocsparseL19gtsv_LBM_rhs_kernelILj256ELj64ELj4EdEEviiiPKT2_S3_S3_PS1_S3_PKi
; %bb.0:
	s_load_dword s23, s[4:5], 0x0
	v_lshl_or_b32 v0, s6, 8, v0
	s_waitcnt lgkmcnt(0)
	s_lshr_b32 s22, s23, 6
	v_cmp_gt_i32_e32 vcc, s22, v0
	s_and_saveexec_b64 s[0:1], vcc
	s_cbranch_execz .LBB151_29
; %bb.1:
	s_load_dwordx4 s[8:11], s[4:5], 0x28
	s_load_dwordx2 s[16:17], s[4:5], 0x38
	s_cmp_lt_i32 s23, 1
	v_add_u32_e32 v39, s22, v0
	s_mul_i32 s24, s7, s23
	s_cbranch_scc1 .LBB151_21
; %bb.2:
	s_load_dwordx4 s[12:15], s[4:5], 0x10
	s_load_dwordx2 s[6:7], s[4:5], 0x20
	v_ashrrev_i32_e32 v1, 31, v0
	v_lshlrev_b64 v[1:2], 3, v[0:1]
	s_lshl_b32 s28, s24, 2
	s_waitcnt lgkmcnt(0)
	v_mov_b32_e32 v3, s15
	v_add_co_u32_e32 v1, vcc, s14, v1
	v_addc_co_u32_e32 v2, vcc, v3, v2, vcc
	global_load_dwordx2 v[5:6], v[1:2], off
	s_add_i32 s29, s28, s23
	s_add_i32 s30, s29, s23
	s_mul_i32 s25, s22, 63
	s_mul_i32 s26, s22, 62
	s_lshl_b32 s27, s22, 1
	v_add_u32_e32 v41, s22, v39
	s_add_i32 s31, s30, s23
	v_mov_b32_e32 v2, 0
	s_mov_b64 s[18:19], 0
	v_mov_b32_e32 v42, s7
	v_mov_b32_e32 v40, 0
	s_branch .LBB151_5
.LBB151_3:                              ;   in Loop: Header=BB151_5 Depth=1
	s_or_b64 exec, exec, s[4:5]
	v_fma_f64 v[5:6], -v[5:6], v[29:30], v[7:8]
	v_mov_b32_e32 v1, s22
.LBB151_4:                              ;   in Loop: Header=BB151_5 Depth=1
	s_or_b64 exec, exec, s[2:3]
	v_add_u32_e32 v40, v1, v40
	v_cmp_le_i32_e32 vcc, s23, v40
	s_or_b64 s[18:19], vcc, s[18:19]
	s_andn2_b64 exec, exec, s[18:19]
	s_cbranch_execz .LBB151_20
.LBB151_5:                              ; =>This Inner Loop Header: Depth=1
	v_add_u32_e32 v15, v40, v0
	v_ashrrev_i32_e32 v16, 31, v15
	v_lshlrev_b64 v[3:4], 3, v[15:16]
	v_mov_b32_e32 v7, 0
	v_add_co_u32_e32 v3, vcc, s6, v3
	v_addc_co_u32_e32 v4, vcc, v42, v4, vcc
	global_load_dwordx2 v[13:14], v[3:4], off
	v_mov_b32_e32 v3, 0
	v_mov_b32_e32 v8, 0
	;; [unrolled: 1-line block ×3, first 2 shown]
	v_cmp_gt_u32_e64 s[0:1], s25, v40
	s_and_saveexec_b64 s[2:3], s[0:1]
	s_cbranch_execz .LBB151_7
; %bb.6:                                ;   in Loop: Header=BB151_5 Depth=1
	v_add_u32_e32 v3, v39, v40
	v_ashrrev_i32_e32 v4, 31, v3
	v_lshlrev_b64 v[3:4], 3, v[3:4]
	v_mov_b32_e32 v1, s13
	v_add_co_u32_e32 v3, vcc, s12, v3
	v_addc_co_u32_e32 v4, vcc, v1, v4, vcc
	global_load_dwordx2 v[3:4], v[3:4], off
.LBB151_7:                              ;   in Loop: Header=BB151_5 Depth=1
	s_or_b64 exec, exec, s[2:3]
	s_and_saveexec_b64 s[2:3], s[0:1]
	s_cbranch_execz .LBB151_9
; %bb.8:                                ;   in Loop: Header=BB151_5 Depth=1
	v_add_u32_e32 v7, v39, v40
	v_ashrrev_i32_e32 v8, 31, v7
	v_lshlrev_b64 v[7:8], 3, v[7:8]
	v_mov_b32_e32 v1, s15
	v_add_co_u32_e32 v7, vcc, s14, v7
	v_addc_co_u32_e32 v8, vcc, v1, v8, vcc
	global_load_dwordx2 v[7:8], v[7:8], off
.LBB151_9:                              ;   in Loop: Header=BB151_5 Depth=1
	s_or_b64 exec, exec, s[2:3]
	v_mov_b32_e32 v11, 0
	v_mov_b32_e32 v9, 0
	;; [unrolled: 1-line block ×4, first 2 shown]
	s_and_saveexec_b64 s[2:3], s[0:1]
	s_cbranch_execz .LBB151_11
; %bb.10:                               ;   in Loop: Header=BB151_5 Depth=1
	v_add_u32_e32 v9, v39, v40
	v_ashrrev_i32_e32 v10, 31, v9
	v_lshlrev_b64 v[9:10], 3, v[9:10]
	v_mov_b32_e32 v1, s7
	v_add_co_u32_e32 v9, vcc, s6, v9
	v_addc_co_u32_e32 v10, vcc, v1, v10, vcc
	global_load_dwordx2 v[9:10], v[9:10], off
.LBB151_11:                             ;   in Loop: Header=BB151_5 Depth=1
	s_or_b64 exec, exec, s[2:3]
	v_cmp_gt_u32_e64 s[2:3], s26, v40
	s_and_saveexec_b64 s[4:5], s[2:3]
	s_cbranch_execz .LBB151_13
; %bb.12:                               ;   in Loop: Header=BB151_5 Depth=1
	v_add_u32_e32 v11, v41, v40
	v_ashrrev_i32_e32 v12, 31, v11
	v_lshlrev_b64 v[11:12], 3, v[11:12]
	v_mov_b32_e32 v1, s13
	v_add_co_u32_e32 v11, vcc, s12, v11
	v_addc_co_u32_e32 v12, vcc, v1, v12, vcc
	global_load_dwordx2 v[11:12], v[11:12], off
.LBB151_13:                             ;   in Loop: Header=BB151_5 Depth=1
	s_or_b64 exec, exec, s[4:5]
	v_lshlrev_b64 v[16:17], 2, v[15:16]
	v_mov_b32_e32 v1, s17
	v_add_co_u32_e32 v16, vcc, s16, v16
	v_addc_co_u32_e32 v17, vcc, v1, v17, vcc
	global_load_dword v1, v[16:17], off
	v_cmp_ne_u32_e64 s[4:5], s25, v40
	s_waitcnt vmcnt(2)
	v_mov_b32_e32 v27, s9
	s_waitcnt vmcnt(1)
	v_mul_f64 v[29:30], v[13:14], v[3:4]
	s_waitcnt vmcnt(0)
	v_cmp_ne_u32_e32 vcc, 1, v1
	v_add_u32_e32 v1, s28, v15
	v_lshlrev_b64 v[16:17], 3, v[1:2]
	s_and_b64 s[4:5], s[4:5], vcc
	v_add_co_u32_e32 v21, vcc, s8, v16
	v_add_u32_e32 v1, s29, v15
	v_addc_co_u32_e32 v22, vcc, v27, v17, vcc
	v_lshlrev_b64 v[17:18], 3, v[1:2]
	v_add_u32_e32 v1, s30, v15
	v_add_co_u32_e32 v17, vcc, s8, v17
	v_lshlrev_b64 v[19:20], 3, v[1:2]
	v_addc_co_u32_e32 v18, vcc, v27, v18, vcc
	v_add_u32_e32 v1, s31, v15
	v_add_co_u32_e32 v19, vcc, s8, v19
	v_lshlrev_b64 v[15:16], 3, v[1:2]
	v_addc_co_u32_e32 v20, vcc, v27, v20, vcc
	v_add_co_u32_e32 v15, vcc, s8, v15
	v_addc_co_u32_e32 v16, vcc, v27, v16, vcc
	global_load_dwordx2 v[31:32], v[21:22], off
	global_load_dwordx2 v[23:24], v[17:18], off
	;; [unrolled: 1-line block ×4, first 2 shown]
	s_and_saveexec_b64 s[20:21], s[4:5]
	s_xor_b64 s[4:5], exec, s[20:21]
	s_cbranch_execz .LBB151_17
; %bb.14:                               ;   in Loop: Header=BB151_5 Depth=1
	v_fma_f64 v[29:30], v[5:6], v[7:8], -v[29:30]
	v_div_scale_f64 v[33:34], s[20:21], v[29:30], v[29:30], 1.0
	v_rcp_f64_e32 v[35:36], v[33:34]
	v_fma_f64 v[37:38], -v[33:34], v[35:36], 1.0
	v_fma_f64 v[35:36], v[35:36], v[37:38], v[35:36]
	v_fma_f64 v[37:38], -v[33:34], v[35:36], 1.0
	v_fma_f64 v[35:36], v[35:36], v[37:38], v[35:36]
	v_div_scale_f64 v[37:38], vcc, 1.0, v[29:30], 1.0
	v_mul_f64 v[43:44], v[37:38], v[35:36]
	v_fma_f64 v[33:34], -v[33:34], v[43:44], v[37:38]
	v_add_u32_e32 v37, v39, v40
	v_add_u32_e32 v1, s28, v37
	v_mov_b32_e32 v38, s9
	v_div_fmas_f64 v[33:34], v[33:34], v[35:36], v[43:44]
	v_lshlrev_b64 v[35:36], 3, v[1:2]
	v_add_u32_e32 v1, s29, v37
	v_add_co_u32_e32 v43, vcc, s8, v35
	v_addc_co_u32_e32 v44, vcc, v38, v36, vcc
	v_lshlrev_b64 v[35:36], 3, v[1:2]
	v_add_u32_e32 v1, s30, v37
	v_add_co_u32_e32 v45, vcc, s8, v35
	v_addc_co_u32_e32 v46, vcc, v38, v36, vcc
	v_lshlrev_b64 v[35:36], 3, v[1:2]
	v_add_u32_e32 v1, s31, v37
	v_add_co_u32_e32 v47, vcc, s8, v35
	v_div_fixup_f64 v[29:30], v[33:34], v[29:30], 1.0
	global_load_dwordx2 v[33:34], v[43:44], off
	v_addc_co_u32_e32 v48, vcc, v38, v36, vcc
	v_lshlrev_b64 v[35:36], 3, v[1:2]
	v_add_co_u32_e32 v49, vcc, s8, v35
	v_addc_co_u32_e32 v50, vcc, v38, v36, vcc
	global_load_dwordx2 v[37:38], v[45:46], off
	global_load_dwordx2 v[51:52], v[47:48], off
	;; [unrolled: 1-line block ×3, first 2 shown]
	s_waitcnt vmcnt(7)
	v_mul_f64 v[31:32], v[29:30], v[31:32]
	s_waitcnt vmcnt(3)
	v_mul_f64 v[35:36], v[29:30], v[33:34]
	;; [unrolled: 2-line block ×3, first 2 shown]
	v_mul_f64 v[33:34], v[13:14], v[35:36]
	v_fma_f64 v[33:34], v[7:8], v[31:32], -v[33:34]
	global_store_dwordx2 v[21:22], v[33:34], off
	v_mul_f64 v[33:34], v[29:30], v[23:24]
	v_mul_f64 v[21:22], v[13:14], v[37:38]
	v_fma_f64 v[21:22], v[7:8], v[33:34], -v[21:22]
	global_store_dwordx2 v[17:18], v[21:22], off
	s_waitcnt vmcnt(3)
	v_mul_f64 v[21:22], v[29:30], v[51:52]
	v_mul_f64 v[17:18], v[29:30], v[25:26]
	;; [unrolled: 1-line block ×3, first 2 shown]
	v_fma_f64 v[23:24], v[7:8], v[17:18], -v[23:24]
	global_store_dwordx2 v[19:20], v[23:24], off
	s_waitcnt vmcnt(3)
	v_mul_f64 v[19:20], v[29:30], v[53:54]
	v_mul_f64 v[23:24], v[29:30], v[27:28]
	;; [unrolled: 1-line block ×3, first 2 shown]
	v_fma_f64 v[7:8], v[7:8], v[23:24], -v[13:14]
	v_mul_f64 v[13:14], v[3:4], v[17:18]
	global_store_dwordx2 v[15:16], v[7:8], off
	v_mul_f64 v[7:8], v[3:4], v[31:32]
	v_fma_f64 v[13:14], v[5:6], v[21:22], -v[13:14]
	v_fma_f64 v[7:8], v[5:6], v[35:36], -v[7:8]
	global_store_dwordx2 v[43:44], v[7:8], off
	v_mul_f64 v[7:8], v[3:4], v[33:34]
	v_fma_f64 v[7:8], v[5:6], v[37:38], -v[7:8]
	global_store_dwordx2 v[45:46], v[7:8], off
	v_mul_f64 v[7:8], v[3:4], v[23:24]
	v_fma_f64 v[15:16], v[5:6], v[19:20], -v[7:8]
	v_mov_b32_e32 v7, 0
	v_mov_b32_e32 v8, 0
	global_store_dwordx2 v[47:48], v[13:14], off
	global_store_dwordx2 v[49:50], v[15:16], off
	s_and_saveexec_b64 s[20:21], s[2:3]
	s_cbranch_execz .LBB151_16
; %bb.15:                               ;   in Loop: Header=BB151_5 Depth=1
	v_add_u32_e32 v7, v41, v40
	v_add_u32_e32 v1, s28, v7
	v_lshlrev_b64 v[13:14], 3, v[1:2]
	v_add_u32_e32 v1, s29, v7
	v_mov_b32_e32 v43, s9
	v_add_co_u32_e32 v13, vcc, s8, v13
	v_lshlrev_b64 v[15:16], 3, v[1:2]
	v_addc_co_u32_e32 v14, vcc, v43, v14, vcc
	v_add_co_u32_e32 v15, vcc, s8, v15
	v_addc_co_u32_e32 v16, vcc, v43, v16, vcc
	global_load_dwordx2 v[25:26], v[13:14], off
	global_load_dwordx2 v[27:28], v[15:16], off
	v_mul_f64 v[5:6], v[5:6], v[11:12]
	v_mul_f64 v[3:4], v[3:4], v[11:12]
	v_add_u32_e32 v1, s30, v7
	v_ashrrev_i32_e32 v8, 31, v7
	v_mul_f64 v[11:12], v[5:6], v[35:36]
	v_mul_f64 v[35:36], v[5:6], v[37:38]
	v_mov_b32_e32 v37, s15
	v_mul_f64 v[19:20], v[5:6], v[19:20]
	v_fma_f64 v[11:12], v[3:4], v[31:32], -v[11:12]
	v_fma_f64 v[31:32], v[3:4], v[33:34], -v[35:36]
	v_lshlrev_b64 v[35:36], 3, v[1:2]
	v_add_u32_e32 v1, s31, v7
	v_lshlrev_b64 v[33:34], 3, v[7:8]
	v_lshlrev_b64 v[7:8], 3, v[1:2]
	s_waitcnt vmcnt(1)
	v_add_f64 v[11:12], v[11:12], v[25:26]
	s_waitcnt vmcnt(0)
	v_add_f64 v[25:26], v[31:32], v[27:28]
	v_add_co_u32_e32 v27, vcc, s8, v35
	v_addc_co_u32_e32 v28, vcc, v43, v36, vcc
	v_add_co_u32_e32 v31, vcc, s8, v7
	v_addc_co_u32_e32 v32, vcc, v43, v8, vcc
	global_store_dwordx2 v[13:14], v[11:12], off
	global_store_dwordx2 v[15:16], v[25:26], off
	v_add_co_u32_e32 v13, vcc, s14, v33
	v_addc_co_u32_e32 v14, vcc, v37, v34, vcc
	global_load_dwordx2 v[7:8], v[27:28], off
	global_load_dwordx2 v[11:12], v[31:32], off
	v_mul_f64 v[15:16], v[5:6], v[21:22]
	global_load_dwordx2 v[13:14], v[13:14], off
	v_mul_f64 v[5:6], v[9:10], v[5:6]
	v_fma_f64 v[15:16], v[3:4], v[17:18], -v[15:16]
	v_fma_f64 v[3:4], v[3:4], v[23:24], -v[19:20]
	s_waitcnt vmcnt(2)
	v_add_f64 v[9:10], v[15:16], v[7:8]
	s_waitcnt vmcnt(1)
	v_add_f64 v[3:4], v[3:4], v[11:12]
	global_store_dwordx2 v[27:28], v[9:10], off
	global_store_dwordx2 v[31:32], v[3:4], off
	s_waitcnt vmcnt(2)
	v_fma_f64 v[7:8], -v[29:30], v[5:6], v[13:14]
.LBB151_16:                             ;   in Loop: Header=BB151_5 Depth=1
	s_or_b64 exec, exec, s[20:21]
	v_mov_b32_e32 v5, v7
	v_mov_b32_e32 v6, v8
                                        ; implicit-def: $vgpr3_vgpr4
                                        ; implicit-def: $vgpr7_vgpr8
                                        ; implicit-def: $vgpr29_vgpr30
                                        ; implicit-def: $vgpr21_vgpr22
                                        ; implicit-def: $vgpr31_vgpr32
                                        ; implicit-def: $vgpr17_vgpr18
                                        ; implicit-def: $vgpr23_vgpr24
                                        ; implicit-def: $vgpr19_vgpr20
                                        ; implicit-def: $vgpr25_vgpr26
                                        ; implicit-def: $vgpr15_vgpr16
                                        ; implicit-def: $vgpr27_vgpr28
.LBB151_17:                             ;   in Loop: Header=BB151_5 Depth=1
	s_or_saveexec_b64 s[2:3], s[4:5]
	v_mov_b32_e32 v1, s27
	s_xor_b64 exec, exec, s[2:3]
	s_cbranch_execz .LBB151_4
; %bb.18:                               ;   in Loop: Header=BB151_5 Depth=1
	v_div_scale_f64 v[9:10], s[4:5], v[5:6], v[5:6], 1.0
	v_rcp_f64_e32 v[11:12], v[9:10]
	v_fma_f64 v[13:14], -v[9:10], v[11:12], 1.0
	v_fma_f64 v[11:12], v[11:12], v[13:14], v[11:12]
	v_div_scale_f64 v[13:14], vcc, 1.0, v[5:6], 1.0
	v_fma_f64 v[33:34], -v[9:10], v[11:12], 1.0
	v_fma_f64 v[11:12], v[11:12], v[33:34], v[11:12]
	v_mul_f64 v[33:34], v[13:14], v[11:12]
	v_fma_f64 v[9:10], -v[9:10], v[33:34], v[13:14]
	v_div_fmas_f64 v[9:10], v[9:10], v[11:12], v[33:34]
	v_div_fixup_f64 v[5:6], v[9:10], v[5:6], 1.0
	s_waitcnt vmcnt(3)
	v_mul_f64 v[13:14], v[5:6], v[31:32]
	s_waitcnt vmcnt(2)
	v_mul_f64 v[23:24], v[5:6], v[23:24]
	;; [unrolled: 2-line block ×4, first 2 shown]
	global_store_dwordx2 v[21:22], v[13:14], off
	global_store_dwordx2 v[17:18], v[23:24], off
	;; [unrolled: 1-line block ×4, first 2 shown]
	s_and_saveexec_b64 s[4:5], s[0:1]
	s_cbranch_execz .LBB151_3
; %bb.19:                               ;   in Loop: Header=BB151_5 Depth=1
	v_add_u32_e32 v27, v39, v40
	v_add_u32_e32 v1, s28, v27
	v_lshlrev_b64 v[15:16], 3, v[1:2]
	v_add_u32_e32 v1, s29, v27
	v_mov_b32_e32 v31, s9
	v_add_co_u32_e32 v15, vcc, s8, v15
	v_lshlrev_b64 v[17:18], 3, v[1:2]
	v_addc_co_u32_e32 v16, vcc, v31, v16, vcc
	v_add_co_u32_e32 v17, vcc, s8, v17
	v_addc_co_u32_e32 v18, vcc, v31, v18, vcc
	global_load_dwordx2 v[19:20], v[15:16], off
	global_load_dwordx2 v[21:22], v[17:18], off
	v_add_u32_e32 v1, s30, v27
	v_lshlrev_b64 v[25:26], 3, v[1:2]
	v_add_u32_e32 v1, s31, v27
	v_lshlrev_b64 v[27:28], 3, v[1:2]
	s_waitcnt vmcnt(1)
	v_fma_f64 v[13:14], -v[3:4], v[13:14], v[19:20]
	s_waitcnt vmcnt(0)
	v_fma_f64 v[19:20], -v[3:4], v[23:24], v[21:22]
	v_add_co_u32_e32 v21, vcc, s8, v25
	v_addc_co_u32_e32 v22, vcc, v31, v26, vcc
	v_add_co_u32_e32 v23, vcc, s8, v27
	global_store_dwordx2 v[15:16], v[13:14], off
	global_store_dwordx2 v[17:18], v[19:20], off
	v_addc_co_u32_e32 v24, vcc, v31, v28, vcc
	global_load_dwordx2 v[13:14], v[21:22], off
	global_load_dwordx2 v[15:16], v[23:24], off
	s_waitcnt vmcnt(1)
	v_fma_f64 v[9:10], -v[3:4], v[9:10], v[13:14]
	s_waitcnt vmcnt(0)
	v_fma_f64 v[3:4], -v[3:4], v[11:12], v[15:16]
	global_store_dwordx2 v[21:22], v[9:10], off
	global_store_dwordx2 v[23:24], v[3:4], off
	s_branch .LBB151_3
.LBB151_20:
	s_or_b64 exec, exec, s[18:19]
	s_branch .LBB151_22
.LBB151_21:
	v_mov_b32_e32 v40, 0
.LBB151_22:
	v_subrev_u32_e32 v3, s22, v40
	v_add_u32_e32 v1, v3, v0
	v_ashrrev_i32_e32 v2, 31, v1
	v_lshlrev_b64 v[1:2], 2, v[1:2]
	s_waitcnt lgkmcnt(0)
	v_mov_b32_e32 v4, s17
	v_add_co_u32_e32 v1, vcc, s16, v1
	v_addc_co_u32_e32 v2, vcc, v4, v2, vcc
	s_waitcnt vmcnt(0)
	buffer_wbinvl1_vol
	global_load_dword v1, v[1:2], off
	s_waitcnt vmcnt(0)
	v_mul_lo_u32 v1, v1, s22
	v_sub_u32_e32 v7, v3, v1
	v_cmp_lt_i32_e32 vcc, -1, v7
	s_and_b64 exec, exec, vcc
	s_cbranch_execz .LBB151_29
; %bb.23:
	s_lshl_b32 s4, s24, 2
	s_add_i32 s5, s4, s23
	s_add_i32 s6, s5, s23
	;; [unrolled: 1-line block ×3, first 2 shown]
	s_lshl_b32 s12, s22, 1
	s_mov_b64 s[0:1], 0
	v_mov_b32_e32 v8, s17
	v_mov_b32_e32 v9, s11
	;; [unrolled: 1-line block ×3, first 2 shown]
	s_branch .LBB151_25
.LBB151_24:                             ;   in Loop: Header=BB151_25 Depth=1
	s_or_b64 exec, exec, s[2:3]
	v_sub_u32_e32 v7, v7, v1
	v_cmp_gt_i32_e32 vcc, 0, v7
	s_or_b64 s[0:1], vcc, s[0:1]
	s_andn2_b64 exec, exec, s[0:1]
	s_cbranch_execz .LBB151_29
.LBB151_25:                             ; =>This Inner Loop Header: Depth=1
	v_add_u32_e32 v5, v7, v0
	v_ashrrev_i32_e32 v6, 31, v5
	s_waitcnt vmcnt(0)
	v_lshlrev_b64 v[3:4], 2, v[5:6]
	v_add_co_u32_e32 v3, vcc, s16, v3
	v_addc_co_u32_e32 v4, vcc, v8, v4, vcc
	global_load_dword v1, v[3:4], off
	v_lshlrev_b64 v[3:4], 3, v[5:6]
	v_add_co_u32_e32 v3, vcc, s10, v3
	v_addc_co_u32_e32 v4, vcc, v9, v4, vcc
	global_load_dwordx2 v[3:4], v[3:4], off
	s_waitcnt vmcnt(1)
	v_cmp_ne_u32_e32 vcc, 1, v1
	s_and_saveexec_b64 s[2:3], vcc
	s_xor_b64 s[2:3], exec, s[2:3]
	s_cbranch_execz .LBB151_27
; %bb.26:                               ;   in Loop: Header=BB151_25 Depth=1
	v_add_u32_e32 v6, v39, v7
	v_add_u32_e32 v1, s4, v6
	v_lshlrev_b64 v[10:11], 3, v[1:2]
	v_mov_b32_e32 v1, s9
	v_add_co_u32_e32 v10, vcc, s8, v10
	v_addc_co_u32_e32 v11, vcc, v1, v11, vcc
	v_add_u32_e32 v1, s5, v6
	v_lshlrev_b64 v[12:13], 3, v[1:2]
	v_add_u32_e32 v1, s6, v6
	v_lshlrev_b64 v[14:15], 3, v[1:2]
	;; [unrolled: 2-line block ×4, first 2 shown]
	v_mov_b32_e32 v1, s9
	v_add_co_u32_e32 v18, vcc, s8, v18
	v_addc_co_u32_e32 v19, vcc, v1, v19, vcc
	global_load_dwordx2 v[10:11], v[10:11], off
	v_add_co_u32_e32 v12, vcc, s8, v12
	global_load_dwordx2 v[20:21], v[18:19], off
	v_addc_co_u32_e32 v13, vcc, v1, v13, vcc
	v_mov_b32_e32 v6, s9
	v_add_co_u32_e32 v14, vcc, s8, v14
	v_addc_co_u32_e32 v15, vcc, v6, v15, vcc
	v_mov_b32_e32 v22, s9
	v_add_co_u32_e32 v16, vcc, s8, v16
	v_addc_co_u32_e32 v17, vcc, v22, v17, vcc
	global_load_dwordx2 v[22:23], v[12:13], off
	global_load_dwordx2 v[24:25], v[14:15], off
	;; [unrolled: 1-line block ×3, first 2 shown]
	v_add_u32_e32 v1, s5, v5
	v_lshlrev_b64 v[14:15], 3, v[1:2]
	v_add_u32_e32 v1, s6, v5
	v_add_co_u32_e32 v14, vcc, s8, v14
	v_addc_co_u32_e32 v15, vcc, v6, v15, vcc
	v_lshlrev_b64 v[16:17], 3, v[1:2]
	v_add_u32_e32 v1, s7, v5
	v_add_co_u32_e32 v16, vcc, s8, v16
	v_addc_co_u32_e32 v17, vcc, v6, v17, vcc
	v_lshlrev_b64 v[5:6], 3, v[1:2]
	v_subrev_u32_e32 v1, s22, v7
	v_add_co_u32_e32 v5, vcc, s8, v5
	s_waitcnt vmcnt(3)
	v_fma_f64 v[12:13], -v[3:4], v[10:11], v[20:21]
	global_store_dwordx2 v[18:19], v[12:13], off
	global_load_dwordx2 v[12:13], v[14:15], off
	s_waitcnt vmcnt(0)
	v_fma_f64 v[12:13], -v[3:4], v[22:23], v[12:13]
	global_store_dwordx2 v[14:15], v[12:13], off
	global_load_dwordx2 v[12:13], v[16:17], off
	v_mov_b32_e32 v14, s9
	v_addc_co_u32_e32 v6, vcc, v14, v6, vcc
	v_add_u32_e32 v14, v1, v0
	v_ashrrev_i32_e32 v15, 31, v14
	v_add_u32_e32 v1, s4, v14
	s_waitcnt vmcnt(0)
	v_fma_f64 v[12:13], -v[3:4], v[24:25], v[12:13]
	global_store_dwordx2 v[16:17], v[12:13], off
	global_load_dwordx2 v[12:13], v[5:6], off
	v_lshlrev_b64 v[15:16], 3, v[14:15]
	v_mov_b32_e32 v17, s9
	v_add_co_u32_e32 v15, vcc, s10, v15
	v_addc_co_u32_e32 v16, vcc, v9, v16, vcc
	s_waitcnt vmcnt(0)
	v_fma_f64 v[3:4], -v[3:4], v[26:27], v[12:13]
	global_load_dwordx2 v[12:13], v[15:16], off
	v_lshlrev_b64 v[15:16], 3, v[1:2]
	v_add_u32_e32 v1, s5, v14
	v_add_co_u32_e32 v15, vcc, s8, v15
	v_addc_co_u32_e32 v16, vcc, v17, v16, vcc
	global_store_dwordx2 v[5:6], v[3:4], off
	global_load_dwordx2 v[3:4], v[15:16], off
	v_lshlrev_b64 v[5:6], 3, v[1:2]
	v_add_u32_e32 v1, s6, v14
	v_add_co_u32_e32 v5, vcc, s8, v5
	s_waitcnt vmcnt(0)
	v_fma_f64 v[3:4], -v[12:13], v[10:11], v[3:4]
	v_mov_b32_e32 v10, s9
	v_addc_co_u32_e32 v6, vcc, v10, v6, vcc
	v_lshlrev_b64 v[10:11], 3, v[1:2]
	v_add_u32_e32 v1, s7, v14
	v_add_co_u32_e32 v10, vcc, s8, v10
	global_store_dwordx2 v[15:16], v[3:4], off
	global_load_dwordx2 v[3:4], v[5:6], off
	v_mov_b32_e32 v15, s9
	v_addc_co_u32_e32 v11, vcc, v15, v11, vcc
	s_waitcnt vmcnt(0)
	v_fma_f64 v[3:4], -v[12:13], v[22:23], v[3:4]
	global_store_dwordx2 v[5:6], v[3:4], off
	global_load_dwordx2 v[3:4], v[10:11], off
	v_lshlrev_b64 v[5:6], 3, v[1:2]
	s_waitcnt vmcnt(0)
	v_fma_f64 v[3:4], -v[12:13], v[24:25], v[3:4]
	global_store_dwordx2 v[10:11], v[3:4], off
	v_add_co_u32_e32 v3, vcc, s8, v5
	v_addc_co_u32_e32 v4, vcc, v15, v6, vcc
	global_load_dwordx2 v[5:6], v[3:4], off
	s_waitcnt vmcnt(0)
	v_fma_f64 v[5:6], -v[12:13], v[26:27], v[5:6]
	global_store_dwordx2 v[3:4], v[5:6], off
                                        ; implicit-def: $vgpr5
                                        ; implicit-def: $vgpr3_vgpr4
.LBB151_27:                             ;   in Loop: Header=BB151_25 Depth=1
	s_or_saveexec_b64 s[2:3], s[2:3]
	v_mov_b32_e32 v1, s12
	s_xor_b64 exec, exec, s[2:3]
	s_cbranch_execz .LBB151_24
; %bb.28:                               ;   in Loop: Header=BB151_25 Depth=1
	v_add_u32_e32 v6, v39, v7
	v_add_u32_e32 v1, s4, v6
	v_lshlrev_b64 v[10:11], 3, v[1:2]
	v_mov_b32_e32 v1, s9
	v_add_co_u32_e32 v10, vcc, s8, v10
	v_addc_co_u32_e32 v11, vcc, v1, v11, vcc
	v_add_u32_e32 v1, s4, v5
	v_lshlrev_b64 v[12:13], 3, v[1:2]
	v_mov_b32_e32 v1, s9
	v_add_co_u32_e32 v12, vcc, s8, v12
	v_addc_co_u32_e32 v13, vcc, v1, v13, vcc
	global_load_dwordx2 v[14:15], v[10:11], off
	global_load_dwordx2 v[16:17], v[12:13], off
	v_add_u32_e32 v1, s5, v6
	v_lshlrev_b64 v[10:11], 3, v[1:2]
	v_add_u32_e32 v1, s5, v5
	v_mov_b32_e32 v20, s9
	v_lshlrev_b64 v[18:19], 3, v[1:2]
	v_add_co_u32_e32 v10, vcc, s8, v10
	v_addc_co_u32_e32 v11, vcc, v20, v11, vcc
	v_mov_b32_e32 v21, s9
	v_add_u32_e32 v1, s6, v6
	s_waitcnt vmcnt(0)
	v_fma_f64 v[14:15], -v[3:4], v[14:15], v[16:17]
	v_add_co_u32_e32 v16, vcc, s8, v18
	v_addc_co_u32_e32 v17, vcc, v21, v19, vcc
	global_store_dwordx2 v[12:13], v[14:15], off
	global_load_dwordx2 v[12:13], v[10:11], off
	s_nop 0
	global_load_dwordx2 v[14:15], v[16:17], off
	v_lshlrev_b64 v[10:11], 3, v[1:2]
	v_add_u32_e32 v1, s6, v5
	v_lshlrev_b64 v[18:19], 3, v[1:2]
	v_add_co_u32_e32 v10, vcc, s8, v10
	v_addc_co_u32_e32 v11, vcc, v20, v11, vcc
	v_add_u32_e32 v1, s7, v6
	s_waitcnt vmcnt(0)
	v_fma_f64 v[12:13], -v[3:4], v[12:13], v[14:15]
	v_add_co_u32_e32 v14, vcc, s8, v18
	v_addc_co_u32_e32 v15, vcc, v21, v19, vcc
	v_mov_b32_e32 v18, s9
	v_mov_b32_e32 v19, s9
	global_store_dwordx2 v[16:17], v[12:13], off
	global_load_dwordx2 v[12:13], v[10:11], off
	s_nop 0
	global_load_dwordx2 v[16:17], v[14:15], off
	v_lshlrev_b64 v[10:11], 3, v[1:2]
	v_add_u32_e32 v1, s7, v5
	v_lshlrev_b64 v[5:6], 3, v[1:2]
	v_add_co_u32_e32 v10, vcc, s8, v10
	v_addc_co_u32_e32 v11, vcc, v18, v11, vcc
	v_add_co_u32_e32 v5, vcc, s8, v5
	v_addc_co_u32_e32 v6, vcc, v19, v6, vcc
	v_mov_b32_e32 v1, s22
	s_waitcnt vmcnt(0)
	v_fma_f64 v[12:13], -v[3:4], v[12:13], v[16:17]
	global_store_dwordx2 v[14:15], v[12:13], off
	global_load_dwordx2 v[12:13], v[10:11], off
	s_nop 0
	global_load_dwordx2 v[14:15], v[5:6], off
	s_waitcnt vmcnt(0)
	v_fma_f64 v[3:4], -v[3:4], v[12:13], v[14:15]
	global_store_dwordx2 v[5:6], v[3:4], off
	s_branch .LBB151_24
.LBB151_29:
	s_endpgm
	.section	.rodata,"a",@progbits
	.p2align	6, 0x0
	.amdhsa_kernel _ZN9rocsparseL19gtsv_LBM_rhs_kernelILj256ELj64ELj4EdEEviiiPKT2_S3_S3_PS1_S3_PKi
		.amdhsa_group_segment_fixed_size 0
		.amdhsa_private_segment_fixed_size 0
		.amdhsa_kernarg_size 64
		.amdhsa_user_sgpr_count 6
		.amdhsa_user_sgpr_private_segment_buffer 1
		.amdhsa_user_sgpr_dispatch_ptr 0
		.amdhsa_user_sgpr_queue_ptr 0
		.amdhsa_user_sgpr_kernarg_segment_ptr 1
		.amdhsa_user_sgpr_dispatch_id 0
		.amdhsa_user_sgpr_flat_scratch_init 0
		.amdhsa_user_sgpr_private_segment_size 0
		.amdhsa_uses_dynamic_stack 0
		.amdhsa_system_sgpr_private_segment_wavefront_offset 0
		.amdhsa_system_sgpr_workgroup_id_x 1
		.amdhsa_system_sgpr_workgroup_id_y 1
		.amdhsa_system_sgpr_workgroup_id_z 0
		.amdhsa_system_sgpr_workgroup_info 0
		.amdhsa_system_vgpr_workitem_id 0
		.amdhsa_next_free_vgpr 55
		.amdhsa_next_free_sgpr 32
		.amdhsa_reserve_vcc 1
		.amdhsa_reserve_flat_scratch 0
		.amdhsa_float_round_mode_32 0
		.amdhsa_float_round_mode_16_64 0
		.amdhsa_float_denorm_mode_32 3
		.amdhsa_float_denorm_mode_16_64 3
		.amdhsa_dx10_clamp 1
		.amdhsa_ieee_mode 1
		.amdhsa_fp16_overflow 0
		.amdhsa_exception_fp_ieee_invalid_op 0
		.amdhsa_exception_fp_denorm_src 0
		.amdhsa_exception_fp_ieee_div_zero 0
		.amdhsa_exception_fp_ieee_overflow 0
		.amdhsa_exception_fp_ieee_underflow 0
		.amdhsa_exception_fp_ieee_inexact 0
		.amdhsa_exception_int_div_zero 0
	.end_amdhsa_kernel
	.section	.text._ZN9rocsparseL19gtsv_LBM_rhs_kernelILj256ELj64ELj4EdEEviiiPKT2_S3_S3_PS1_S3_PKi,"axG",@progbits,_ZN9rocsparseL19gtsv_LBM_rhs_kernelILj256ELj64ELj4EdEEviiiPKT2_S3_S3_PS1_S3_PKi,comdat
.Lfunc_end151:
	.size	_ZN9rocsparseL19gtsv_LBM_rhs_kernelILj256ELj64ELj4EdEEviiiPKT2_S3_S3_PS1_S3_PKi, .Lfunc_end151-_ZN9rocsparseL19gtsv_LBM_rhs_kernelILj256ELj64ELj4EdEEviiiPKT2_S3_S3_PS1_S3_PKi
                                        ; -- End function
	.set _ZN9rocsparseL19gtsv_LBM_rhs_kernelILj256ELj64ELj4EdEEviiiPKT2_S3_S3_PS1_S3_PKi.num_vgpr, 55
	.set _ZN9rocsparseL19gtsv_LBM_rhs_kernelILj256ELj64ELj4EdEEviiiPKT2_S3_S3_PS1_S3_PKi.num_agpr, 0
	.set _ZN9rocsparseL19gtsv_LBM_rhs_kernelILj256ELj64ELj4EdEEviiiPKT2_S3_S3_PS1_S3_PKi.numbered_sgpr, 32
	.set _ZN9rocsparseL19gtsv_LBM_rhs_kernelILj256ELj64ELj4EdEEviiiPKT2_S3_S3_PS1_S3_PKi.num_named_barrier, 0
	.set _ZN9rocsparseL19gtsv_LBM_rhs_kernelILj256ELj64ELj4EdEEviiiPKT2_S3_S3_PS1_S3_PKi.private_seg_size, 0
	.set _ZN9rocsparseL19gtsv_LBM_rhs_kernelILj256ELj64ELj4EdEEviiiPKT2_S3_S3_PS1_S3_PKi.uses_vcc, 1
	.set _ZN9rocsparseL19gtsv_LBM_rhs_kernelILj256ELj64ELj4EdEEviiiPKT2_S3_S3_PS1_S3_PKi.uses_flat_scratch, 0
	.set _ZN9rocsparseL19gtsv_LBM_rhs_kernelILj256ELj64ELj4EdEEviiiPKT2_S3_S3_PS1_S3_PKi.has_dyn_sized_stack, 0
	.set _ZN9rocsparseL19gtsv_LBM_rhs_kernelILj256ELj64ELj4EdEEviiiPKT2_S3_S3_PS1_S3_PKi.has_recursion, 0
	.set _ZN9rocsparseL19gtsv_LBM_rhs_kernelILj256ELj64ELj4EdEEviiiPKT2_S3_S3_PS1_S3_PKi.has_indirect_call, 0
	.section	.AMDGPU.csdata,"",@progbits
; Kernel info:
; codeLenInByte = 3096
; TotalNumSgprs: 36
; NumVgprs: 55
; ScratchSize: 0
; MemoryBound: 0
; FloatMode: 240
; IeeeMode: 1
; LDSByteSize: 0 bytes/workgroup (compile time only)
; SGPRBlocks: 4
; VGPRBlocks: 13
; NumSGPRsForWavesPerEU: 36
; NumVGPRsForWavesPerEU: 55
; Occupancy: 4
; WaveLimiterHint : 0
; COMPUTE_PGM_RSRC2:SCRATCH_EN: 0
; COMPUTE_PGM_RSRC2:USER_SGPR: 6
; COMPUTE_PGM_RSRC2:TRAP_HANDLER: 0
; COMPUTE_PGM_RSRC2:TGID_X_EN: 1
; COMPUTE_PGM_RSRC2:TGID_Y_EN: 1
; COMPUTE_PGM_RSRC2:TGID_Z_EN: 0
; COMPUTE_PGM_RSRC2:TIDIG_COMP_CNT: 0
	.section	.text._ZN9rocsparseL19gtsv_LBM_rhs_kernelILj256ELj64ELj2EdEEviiiPKT2_S3_S3_PS1_S3_PKi,"axG",@progbits,_ZN9rocsparseL19gtsv_LBM_rhs_kernelILj256ELj64ELj2EdEEviiiPKT2_S3_S3_PS1_S3_PKi,comdat
	.globl	_ZN9rocsparseL19gtsv_LBM_rhs_kernelILj256ELj64ELj2EdEEviiiPKT2_S3_S3_PS1_S3_PKi ; -- Begin function _ZN9rocsparseL19gtsv_LBM_rhs_kernelILj256ELj64ELj2EdEEviiiPKT2_S3_S3_PS1_S3_PKi
	.p2align	8
	.type	_ZN9rocsparseL19gtsv_LBM_rhs_kernelILj256ELj64ELj2EdEEviiiPKT2_S3_S3_PS1_S3_PKi,@function
_ZN9rocsparseL19gtsv_LBM_rhs_kernelILj256ELj64ELj2EdEEviiiPKT2_S3_S3_PS1_S3_PKi: ; @_ZN9rocsparseL19gtsv_LBM_rhs_kernelILj256ELj64ELj2EdEEviiiPKT2_S3_S3_PS1_S3_PKi
; %bb.0:
	s_load_dword s23, s[4:5], 0x0
	v_lshl_or_b32 v0, s6, 8, v0
	s_waitcnt lgkmcnt(0)
	s_lshr_b32 s22, s23, 6
	v_cmp_gt_i32_e32 vcc, s22, v0
	s_and_saveexec_b64 s[0:1], vcc
	s_cbranch_execz .LBB152_29
; %bb.1:
	s_load_dwordx4 s[8:11], s[4:5], 0x28
	s_load_dwordx2 s[16:17], s[4:5], 0x38
	s_cmp_lt_i32 s23, 1
	v_add_u32_e32 v29, s22, v0
	s_mul_i32 s24, s7, s23
	s_cbranch_scc1 .LBB152_21
; %bb.2:
	s_load_dwordx4 s[12:15], s[4:5], 0x10
	s_load_dwordx2 s[6:7], s[4:5], 0x20
	v_ashrrev_i32_e32 v1, 31, v0
	v_lshlrev_b64 v[1:2], 3, v[0:1]
	s_lshl_b32 s28, s24, 1
	s_waitcnt lgkmcnt(0)
	v_mov_b32_e32 v3, s15
	v_add_co_u32_e32 v1, vcc, s14, v1
	v_addc_co_u32_e32 v2, vcc, v3, v2, vcc
	global_load_dwordx2 v[3:4], v[1:2], off
	s_mul_i32 s25, s22, 63
	s_mul_i32 s26, s22, 62
	s_lshl_b32 s27, s22, 1
	v_add_u32_e32 v31, s22, v29
	s_add_i32 s29, s28, s23
	v_mov_b32_e32 v2, 0
	s_mov_b64 s[18:19], 0
	v_mov_b32_e32 v32, s7
	v_mov_b32_e32 v30, 0
	s_branch .LBB152_5
.LBB152_3:                              ;   in Loop: Header=BB152_5 Depth=1
	s_or_b64 exec, exec, s[4:5]
	v_fma_f64 v[3:4], -v[3:4], v[21:22], v[7:8]
	v_mov_b32_e32 v1, s22
.LBB152_4:                              ;   in Loop: Header=BB152_5 Depth=1
	s_or_b64 exec, exec, s[2:3]
	v_add_u32_e32 v30, v1, v30
	v_cmp_le_i32_e32 vcc, s23, v30
	s_or_b64 s[18:19], vcc, s[18:19]
	s_andn2_b64 exec, exec, s[18:19]
	s_cbranch_execz .LBB152_20
.LBB152_5:                              ; =>This Inner Loop Header: Depth=1
	v_add_u32_e32 v17, v30, v0
	v_ashrrev_i32_e32 v18, 31, v17
	v_lshlrev_b64 v[5:6], 3, v[17:18]
	v_mov_b32_e32 v7, 0
	v_add_co_u32_e32 v5, vcc, s6, v5
	v_addc_co_u32_e32 v6, vcc, v32, v6, vcc
	global_load_dwordx2 v[13:14], v[5:6], off
	v_mov_b32_e32 v5, 0
	v_mov_b32_e32 v8, 0
	;; [unrolled: 1-line block ×3, first 2 shown]
	v_cmp_gt_u32_e64 s[0:1], s25, v30
	s_and_saveexec_b64 s[2:3], s[0:1]
	s_cbranch_execz .LBB152_7
; %bb.6:                                ;   in Loop: Header=BB152_5 Depth=1
	v_add_u32_e32 v5, v29, v30
	v_ashrrev_i32_e32 v6, 31, v5
	v_lshlrev_b64 v[5:6], 3, v[5:6]
	v_mov_b32_e32 v1, s13
	v_add_co_u32_e32 v5, vcc, s12, v5
	v_addc_co_u32_e32 v6, vcc, v1, v6, vcc
	global_load_dwordx2 v[5:6], v[5:6], off
.LBB152_7:                              ;   in Loop: Header=BB152_5 Depth=1
	s_or_b64 exec, exec, s[2:3]
	s_and_saveexec_b64 s[2:3], s[0:1]
	s_cbranch_execz .LBB152_9
; %bb.8:                                ;   in Loop: Header=BB152_5 Depth=1
	v_add_u32_e32 v7, v29, v30
	v_ashrrev_i32_e32 v8, 31, v7
	v_lshlrev_b64 v[7:8], 3, v[7:8]
	v_mov_b32_e32 v1, s15
	v_add_co_u32_e32 v7, vcc, s14, v7
	v_addc_co_u32_e32 v8, vcc, v1, v8, vcc
	global_load_dwordx2 v[7:8], v[7:8], off
.LBB152_9:                              ;   in Loop: Header=BB152_5 Depth=1
	s_or_b64 exec, exec, s[2:3]
	v_mov_b32_e32 v11, 0
	v_mov_b32_e32 v9, 0
	;; [unrolled: 1-line block ×4, first 2 shown]
	s_and_saveexec_b64 s[2:3], s[0:1]
	s_cbranch_execz .LBB152_11
; %bb.10:                               ;   in Loop: Header=BB152_5 Depth=1
	v_add_u32_e32 v9, v29, v30
	v_ashrrev_i32_e32 v10, 31, v9
	v_lshlrev_b64 v[9:10], 3, v[9:10]
	v_mov_b32_e32 v1, s7
	v_add_co_u32_e32 v9, vcc, s6, v9
	v_addc_co_u32_e32 v10, vcc, v1, v10, vcc
	global_load_dwordx2 v[9:10], v[9:10], off
.LBB152_11:                             ;   in Loop: Header=BB152_5 Depth=1
	s_or_b64 exec, exec, s[2:3]
	v_cmp_gt_u32_e64 s[2:3], s26, v30
	s_and_saveexec_b64 s[4:5], s[2:3]
	s_cbranch_execz .LBB152_13
; %bb.12:                               ;   in Loop: Header=BB152_5 Depth=1
	v_add_u32_e32 v11, v31, v30
	v_ashrrev_i32_e32 v12, 31, v11
	v_lshlrev_b64 v[11:12], 3, v[11:12]
	v_mov_b32_e32 v1, s13
	v_add_co_u32_e32 v11, vcc, s12, v11
	v_addc_co_u32_e32 v12, vcc, v1, v12, vcc
	global_load_dwordx2 v[11:12], v[11:12], off
.LBB152_13:                             ;   in Loop: Header=BB152_5 Depth=1
	s_or_b64 exec, exec, s[4:5]
	v_lshlrev_b64 v[15:16], 2, v[17:18]
	v_mov_b32_e32 v1, s17
	v_add_co_u32_e32 v15, vcc, s16, v15
	v_addc_co_u32_e32 v16, vcc, v1, v16, vcc
	global_load_dword v1, v[15:16], off
	v_cmp_ne_u32_e64 s[4:5], s25, v30
	s_waitcnt vmcnt(2)
	v_mov_b32_e32 v19, s9
	s_waitcnt vmcnt(1)
	v_mul_f64 v[21:22], v[13:14], v[5:6]
	s_waitcnt vmcnt(0)
	v_cmp_ne_u32_e32 vcc, 1, v1
	v_add_u32_e32 v1, s28, v17
	v_lshlrev_b64 v[15:16], 3, v[1:2]
	v_add_u32_e32 v1, s29, v17
	s_and_b64 s[4:5], s[4:5], vcc
	v_add_co_u32_e32 v15, vcc, s8, v15
	v_lshlrev_b64 v[17:18], 3, v[1:2]
	v_addc_co_u32_e32 v16, vcc, v19, v16, vcc
	v_add_co_u32_e32 v17, vcc, s8, v17
	v_addc_co_u32_e32 v18, vcc, v19, v18, vcc
	global_load_dwordx2 v[23:24], v[15:16], off
	global_load_dwordx2 v[19:20], v[17:18], off
	s_and_saveexec_b64 s[20:21], s[4:5]
	s_xor_b64 s[4:5], exec, s[20:21]
	s_cbranch_execz .LBB152_17
; %bb.14:                               ;   in Loop: Header=BB152_5 Depth=1
	v_fma_f64 v[21:22], v[3:4], v[7:8], -v[21:22]
	v_div_scale_f64 v[25:26], s[20:21], v[21:22], v[21:22], 1.0
	v_rcp_f64_e32 v[27:28], v[25:26]
	v_fma_f64 v[33:34], -v[25:26], v[27:28], 1.0
	v_fma_f64 v[27:28], v[27:28], v[33:34], v[27:28]
	v_fma_f64 v[33:34], -v[25:26], v[27:28], 1.0
	v_fma_f64 v[27:28], v[27:28], v[33:34], v[27:28]
	v_div_scale_f64 v[33:34], vcc, 1.0, v[21:22], 1.0
	v_mul_f64 v[35:36], v[33:34], v[27:28]
	v_fma_f64 v[25:26], -v[25:26], v[35:36], v[33:34]
	s_nop 1
	v_div_fmas_f64 v[25:26], v[25:26], v[27:28], v[35:36]
	v_add_u32_e32 v35, v29, v30
	v_add_u32_e32 v1, s28, v35
	v_lshlrev_b64 v[27:28], 3, v[1:2]
	v_mov_b32_e32 v36, s9
	v_add_co_u32_e32 v33, vcc, s8, v27
	v_addc_co_u32_e32 v34, vcc, v36, v28, vcc
	v_add_u32_e32 v1, s29, v35
	v_lshlrev_b64 v[27:28], 3, v[1:2]
	v_add_co_u32_e32 v35, vcc, s8, v27
	v_addc_co_u32_e32 v36, vcc, v36, v28, vcc
	v_div_fixup_f64 v[21:22], v[25:26], v[21:22], 1.0
	global_load_dwordx2 v[25:26], v[33:34], off
	global_load_dwordx2 v[37:38], v[35:36], off
	s_waitcnt vmcnt(3)
	v_mul_f64 v[23:24], v[21:22], v[23:24]
	s_waitcnt vmcnt(1)
	v_mul_f64 v[25:26], v[21:22], v[25:26]
	v_mul_f64 v[27:28], v[13:14], v[25:26]
	v_fma_f64 v[27:28], v[7:8], v[23:24], -v[27:28]
	global_store_dwordx2 v[15:16], v[27:28], off
	s_waitcnt vmcnt(1)
	v_mul_f64 v[27:28], v[21:22], v[37:38]
	v_mul_f64 v[15:16], v[21:22], v[19:20]
	;; [unrolled: 1-line block ×3, first 2 shown]
	v_fma_f64 v[7:8], v[7:8], v[15:16], -v[13:14]
	global_store_dwordx2 v[17:18], v[7:8], off
	v_mul_f64 v[7:8], v[5:6], v[23:24]
	v_fma_f64 v[7:8], v[3:4], v[25:26], -v[7:8]
	global_store_dwordx2 v[33:34], v[7:8], off
	v_mul_f64 v[7:8], v[5:6], v[15:16]
	v_fma_f64 v[13:14], v[3:4], v[27:28], -v[7:8]
	v_mov_b32_e32 v7, 0
	v_mov_b32_e32 v8, 0
	global_store_dwordx2 v[35:36], v[13:14], off
	s_and_saveexec_b64 s[20:21], s[2:3]
	s_cbranch_execz .LBB152_16
; %bb.15:                               ;   in Loop: Header=BB152_5 Depth=1
	v_add_u32_e32 v7, v31, v30
	v_add_u32_e32 v1, s28, v7
	v_lshlrev_b64 v[13:14], 3, v[1:2]
	v_add_u32_e32 v1, s29, v7
	v_mov_b32_e32 v8, s9
	v_add_co_u32_e32 v13, vcc, s8, v13
	v_lshlrev_b64 v[17:18], 3, v[1:2]
	v_addc_co_u32_e32 v14, vcc, v8, v14, vcc
	v_add_co_u32_e32 v17, vcc, s8, v17
	v_addc_co_u32_e32 v18, vcc, v8, v18, vcc
	v_ashrrev_i32_e32 v8, 31, v7
	v_lshlrev_b64 v[7:8], 3, v[7:8]
	v_mov_b32_e32 v1, s15
	v_add_co_u32_e32 v7, vcc, s14, v7
	v_addc_co_u32_e32 v8, vcc, v1, v8, vcc
	global_load_dwordx2 v[19:20], v[13:14], off
	global_load_dwordx2 v[33:34], v[17:18], off
	v_mul_f64 v[3:4], v[3:4], v[11:12]
	global_load_dwordx2 v[7:8], v[7:8], off
	v_mul_f64 v[5:6], v[5:6], v[11:12]
	v_mul_f64 v[11:12], v[3:4], v[25:26]
	;; [unrolled: 1-line block ×4, first 2 shown]
	v_fma_f64 v[11:12], v[5:6], v[23:24], -v[11:12]
	v_fma_f64 v[5:6], v[5:6], v[15:16], -v[25:26]
	s_waitcnt vmcnt(2)
	v_add_f64 v[9:10], v[11:12], v[19:20]
	s_waitcnt vmcnt(1)
	v_add_f64 v[5:6], v[5:6], v[33:34]
	global_store_dwordx2 v[13:14], v[9:10], off
	global_store_dwordx2 v[17:18], v[5:6], off
	s_waitcnt vmcnt(2)
	v_fma_f64 v[7:8], -v[21:22], v[3:4], v[7:8]
.LBB152_16:                             ;   in Loop: Header=BB152_5 Depth=1
	s_or_b64 exec, exec, s[20:21]
	v_mov_b32_e32 v3, v7
	v_mov_b32_e32 v4, v8
                                        ; implicit-def: $vgpr21_vgpr22
                                        ; implicit-def: $vgpr7_vgpr8
                                        ; implicit-def: $vgpr23_vgpr24
                                        ; implicit-def: $vgpr19_vgpr20
                                        ; implicit-def: $vgpr15_vgpr16
                                        ; implicit-def: $vgpr17_vgpr18
                                        ; implicit-def: $vgpr5_vgpr6
.LBB152_17:                             ;   in Loop: Header=BB152_5 Depth=1
	s_or_saveexec_b64 s[2:3], s[4:5]
	v_mov_b32_e32 v1, s27
	s_xor_b64 exec, exec, s[2:3]
	s_cbranch_execz .LBB152_4
; %bb.18:                               ;   in Loop: Header=BB152_5 Depth=1
	v_div_scale_f64 v[9:10], s[4:5], v[3:4], v[3:4], 1.0
	v_rcp_f64_e32 v[11:12], v[9:10]
	v_fma_f64 v[13:14], -v[9:10], v[11:12], 1.0
	v_fma_f64 v[11:12], v[11:12], v[13:14], v[11:12]
	v_div_scale_f64 v[13:14], vcc, 1.0, v[3:4], 1.0
	v_fma_f64 v[25:26], -v[9:10], v[11:12], 1.0
	v_fma_f64 v[11:12], v[11:12], v[25:26], v[11:12]
	v_mul_f64 v[25:26], v[13:14], v[11:12]
	v_fma_f64 v[9:10], -v[9:10], v[25:26], v[13:14]
	v_div_fmas_f64 v[9:10], v[9:10], v[11:12], v[25:26]
	v_div_fixup_f64 v[3:4], v[9:10], v[3:4], 1.0
	s_waitcnt vmcnt(1)
	v_mul_f64 v[9:10], v[3:4], v[23:24]
	s_waitcnt vmcnt(0)
	v_mul_f64 v[11:12], v[3:4], v[19:20]
	global_store_dwordx2 v[15:16], v[9:10], off
	global_store_dwordx2 v[17:18], v[11:12], off
	s_and_saveexec_b64 s[4:5], s[0:1]
	s_cbranch_execz .LBB152_3
; %bb.19:                               ;   in Loop: Header=BB152_5 Depth=1
	v_add_u32_e32 v15, v29, v30
	v_add_u32_e32 v1, s28, v15
	v_lshlrev_b64 v[13:14], 3, v[1:2]
	v_add_u32_e32 v1, s29, v15
	v_mov_b32_e32 v17, s9
	v_add_co_u32_e32 v13, vcc, s8, v13
	v_lshlrev_b64 v[15:16], 3, v[1:2]
	v_addc_co_u32_e32 v14, vcc, v17, v14, vcc
	v_add_co_u32_e32 v15, vcc, s8, v15
	v_addc_co_u32_e32 v16, vcc, v17, v16, vcc
	global_load_dwordx2 v[17:18], v[13:14], off
	global_load_dwordx2 v[19:20], v[15:16], off
	s_waitcnt vmcnt(1)
	v_fma_f64 v[9:10], -v[5:6], v[9:10], v[17:18]
	s_waitcnt vmcnt(0)
	v_fma_f64 v[5:6], -v[5:6], v[11:12], v[19:20]
	global_store_dwordx2 v[13:14], v[9:10], off
	global_store_dwordx2 v[15:16], v[5:6], off
	s_branch .LBB152_3
.LBB152_20:
	s_or_b64 exec, exec, s[18:19]
	s_branch .LBB152_22
.LBB152_21:
	v_mov_b32_e32 v30, 0
.LBB152_22:
	v_subrev_u32_e32 v3, s22, v30
	v_add_u32_e32 v1, v3, v0
	v_ashrrev_i32_e32 v2, 31, v1
	v_lshlrev_b64 v[1:2], 2, v[1:2]
	s_waitcnt lgkmcnt(0)
	v_mov_b32_e32 v4, s17
	v_add_co_u32_e32 v1, vcc, s16, v1
	v_addc_co_u32_e32 v2, vcc, v4, v2, vcc
	s_waitcnt vmcnt(0)
	buffer_wbinvl1_vol
	global_load_dword v1, v[1:2], off
	s_waitcnt vmcnt(0)
	v_mul_lo_u32 v1, v1, s22
	v_sub_u32_e32 v7, v3, v1
	v_cmp_lt_i32_e32 vcc, -1, v7
	s_and_b64 exec, exec, vcc
	s_cbranch_execz .LBB152_29
; %bb.23:
	s_lshl_b32 s4, s24, 1
	s_add_i32 s5, s4, s23
	s_lshl_b32 s6, s22, 1
	s_mov_b64 s[0:1], 0
	v_mov_b32_e32 v8, s17
	v_mov_b32_e32 v9, s11
	;; [unrolled: 1-line block ×3, first 2 shown]
	s_branch .LBB152_25
.LBB152_24:                             ;   in Loop: Header=BB152_25 Depth=1
	s_or_b64 exec, exec, s[2:3]
	v_sub_u32_e32 v7, v7, v1
	v_cmp_gt_i32_e32 vcc, 0, v7
	s_or_b64 s[0:1], vcc, s[0:1]
	s_andn2_b64 exec, exec, s[0:1]
	s_cbranch_execz .LBB152_29
.LBB152_25:                             ; =>This Inner Loop Header: Depth=1
	v_add_u32_e32 v5, v7, v0
	v_ashrrev_i32_e32 v6, 31, v5
	s_waitcnt vmcnt(0)
	v_lshlrev_b64 v[3:4], 2, v[5:6]
	v_add_co_u32_e32 v3, vcc, s16, v3
	v_addc_co_u32_e32 v4, vcc, v8, v4, vcc
	global_load_dword v1, v[3:4], off
	v_lshlrev_b64 v[3:4], 3, v[5:6]
	v_add_co_u32_e32 v3, vcc, s10, v3
	v_addc_co_u32_e32 v4, vcc, v9, v4, vcc
	global_load_dwordx2 v[3:4], v[3:4], off
	s_waitcnt vmcnt(1)
	v_cmp_ne_u32_e32 vcc, 1, v1
	s_and_saveexec_b64 s[2:3], vcc
	s_xor_b64 s[2:3], exec, s[2:3]
	s_cbranch_execz .LBB152_27
; %bb.26:                               ;   in Loop: Header=BB152_25 Depth=1
	v_add_u32_e32 v6, v29, v7
	v_add_u32_e32 v1, s4, v6
	v_lshlrev_b64 v[10:11], 3, v[1:2]
	v_mov_b32_e32 v1, s9
	v_add_co_u32_e32 v10, vcc, s8, v10
	v_addc_co_u32_e32 v11, vcc, v1, v11, vcc
	v_add_u32_e32 v1, s5, v6
	v_lshlrev_b64 v[12:13], 3, v[1:2]
	v_add_u32_e32 v1, s4, v5
	v_lshlrev_b64 v[14:15], 3, v[1:2]
	v_mov_b32_e32 v1, s9
	v_add_co_u32_e32 v14, vcc, s8, v14
	v_addc_co_u32_e32 v15, vcc, v1, v15, vcc
	global_load_dwordx2 v[16:17], v[10:11], off
	global_load_dwordx2 v[18:19], v[14:15], off
	v_add_co_u32_e32 v10, vcc, s8, v12
	v_addc_co_u32_e32 v11, vcc, v1, v13, vcc
	v_add_u32_e32 v1, s5, v5
	v_lshlrev_b64 v[5:6], 3, v[1:2]
	global_load_dwordx2 v[10:11], v[10:11], off
	v_add_co_u32_e32 v5, vcc, s8, v5
	v_subrev_u32_e32 v1, s22, v7
	v_mov_b32_e32 v20, s9
	s_waitcnt vmcnt(1)
	v_fma_f64 v[12:13], -v[3:4], v[16:17], v[18:19]
	v_mov_b32_e32 v18, s9
	v_addc_co_u32_e32 v6, vcc, v18, v6, vcc
	global_store_dwordx2 v[14:15], v[12:13], off
	global_load_dwordx2 v[12:13], v[5:6], off
	v_add_u32_e32 v14, v1, v0
	v_ashrrev_i32_e32 v15, 31, v14
	v_lshlrev_b64 v[18:19], 3, v[14:15]
	v_add_u32_e32 v1, s4, v14
	v_add_co_u32_e32 v18, vcc, s10, v18
	v_addc_co_u32_e32 v19, vcc, v9, v19, vcc
	v_mov_b32_e32 v15, s9
	s_waitcnt vmcnt(0)
	v_fma_f64 v[3:4], -v[3:4], v[10:11], v[12:13]
	global_load_dwordx2 v[12:13], v[18:19], off
	v_lshlrev_b64 v[18:19], 3, v[1:2]
	v_add_u32_e32 v1, s5, v14
	v_add_co_u32_e32 v18, vcc, s8, v18
	v_addc_co_u32_e32 v19, vcc, v20, v19, vcc
	global_store_dwordx2 v[5:6], v[3:4], off
	global_load_dwordx2 v[3:4], v[18:19], off
	v_lshlrev_b64 v[5:6], 3, v[1:2]
	s_waitcnt vmcnt(0)
	v_fma_f64 v[3:4], -v[12:13], v[16:17], v[3:4]
	global_store_dwordx2 v[18:19], v[3:4], off
	v_add_co_u32_e32 v3, vcc, s8, v5
	v_addc_co_u32_e32 v4, vcc, v15, v6, vcc
	global_load_dwordx2 v[5:6], v[3:4], off
	s_waitcnt vmcnt(0)
	v_fma_f64 v[5:6], -v[12:13], v[10:11], v[5:6]
	global_store_dwordx2 v[3:4], v[5:6], off
                                        ; implicit-def: $vgpr5
                                        ; implicit-def: $vgpr3_vgpr4
.LBB152_27:                             ;   in Loop: Header=BB152_25 Depth=1
	s_or_saveexec_b64 s[2:3], s[2:3]
	v_mov_b32_e32 v1, s6
	s_xor_b64 exec, exec, s[2:3]
	s_cbranch_execz .LBB152_24
; %bb.28:                               ;   in Loop: Header=BB152_25 Depth=1
	v_add_u32_e32 v6, v29, v7
	v_add_u32_e32 v1, s4, v6
	v_lshlrev_b64 v[10:11], 3, v[1:2]
	v_mov_b32_e32 v1, s9
	v_add_co_u32_e32 v10, vcc, s8, v10
	v_addc_co_u32_e32 v11, vcc, v1, v11, vcc
	v_add_u32_e32 v1, s4, v5
	v_lshlrev_b64 v[12:13], 3, v[1:2]
	v_mov_b32_e32 v1, s9
	v_add_co_u32_e32 v12, vcc, s8, v12
	v_addc_co_u32_e32 v13, vcc, v1, v13, vcc
	global_load_dwordx2 v[14:15], v[10:11], off
	global_load_dwordx2 v[16:17], v[12:13], off
	v_add_u32_e32 v1, s5, v6
	v_lshlrev_b64 v[10:11], 3, v[1:2]
	v_add_u32_e32 v1, s5, v5
	v_mov_b32_e32 v18, s9
	v_lshlrev_b64 v[5:6], 3, v[1:2]
	v_add_co_u32_e32 v10, vcc, s8, v10
	v_addc_co_u32_e32 v11, vcc, v18, v11, vcc
	v_mov_b32_e32 v19, s9
	v_add_co_u32_e32 v5, vcc, s8, v5
	v_addc_co_u32_e32 v6, vcc, v19, v6, vcc
	v_mov_b32_e32 v1, s22
	s_waitcnt vmcnt(0)
	v_fma_f64 v[14:15], -v[3:4], v[14:15], v[16:17]
	global_store_dwordx2 v[12:13], v[14:15], off
	global_load_dwordx2 v[12:13], v[10:11], off
	s_nop 0
	global_load_dwordx2 v[14:15], v[5:6], off
	s_waitcnt vmcnt(0)
	v_fma_f64 v[3:4], -v[3:4], v[12:13], v[14:15]
	global_store_dwordx2 v[5:6], v[3:4], off
	s_branch .LBB152_24
.LBB152_29:
	s_endpgm
	.section	.rodata,"a",@progbits
	.p2align	6, 0x0
	.amdhsa_kernel _ZN9rocsparseL19gtsv_LBM_rhs_kernelILj256ELj64ELj2EdEEviiiPKT2_S3_S3_PS1_S3_PKi
		.amdhsa_group_segment_fixed_size 0
		.amdhsa_private_segment_fixed_size 0
		.amdhsa_kernarg_size 64
		.amdhsa_user_sgpr_count 6
		.amdhsa_user_sgpr_private_segment_buffer 1
		.amdhsa_user_sgpr_dispatch_ptr 0
		.amdhsa_user_sgpr_queue_ptr 0
		.amdhsa_user_sgpr_kernarg_segment_ptr 1
		.amdhsa_user_sgpr_dispatch_id 0
		.amdhsa_user_sgpr_flat_scratch_init 0
		.amdhsa_user_sgpr_private_segment_size 0
		.amdhsa_uses_dynamic_stack 0
		.amdhsa_system_sgpr_private_segment_wavefront_offset 0
		.amdhsa_system_sgpr_workgroup_id_x 1
		.amdhsa_system_sgpr_workgroup_id_y 1
		.amdhsa_system_sgpr_workgroup_id_z 0
		.amdhsa_system_sgpr_workgroup_info 0
		.amdhsa_system_vgpr_workitem_id 0
		.amdhsa_next_free_vgpr 39
		.amdhsa_next_free_sgpr 30
		.amdhsa_reserve_vcc 1
		.amdhsa_reserve_flat_scratch 0
		.amdhsa_float_round_mode_32 0
		.amdhsa_float_round_mode_16_64 0
		.amdhsa_float_denorm_mode_32 3
		.amdhsa_float_denorm_mode_16_64 3
		.amdhsa_dx10_clamp 1
		.amdhsa_ieee_mode 1
		.amdhsa_fp16_overflow 0
		.amdhsa_exception_fp_ieee_invalid_op 0
		.amdhsa_exception_fp_denorm_src 0
		.amdhsa_exception_fp_ieee_div_zero 0
		.amdhsa_exception_fp_ieee_overflow 0
		.amdhsa_exception_fp_ieee_underflow 0
		.amdhsa_exception_fp_ieee_inexact 0
		.amdhsa_exception_int_div_zero 0
	.end_amdhsa_kernel
	.section	.text._ZN9rocsparseL19gtsv_LBM_rhs_kernelILj256ELj64ELj2EdEEviiiPKT2_S3_S3_PS1_S3_PKi,"axG",@progbits,_ZN9rocsparseL19gtsv_LBM_rhs_kernelILj256ELj64ELj2EdEEviiiPKT2_S3_S3_PS1_S3_PKi,comdat
.Lfunc_end152:
	.size	_ZN9rocsparseL19gtsv_LBM_rhs_kernelILj256ELj64ELj2EdEEviiiPKT2_S3_S3_PS1_S3_PKi, .Lfunc_end152-_ZN9rocsparseL19gtsv_LBM_rhs_kernelILj256ELj64ELj2EdEEviiiPKT2_S3_S3_PS1_S3_PKi
                                        ; -- End function
	.set _ZN9rocsparseL19gtsv_LBM_rhs_kernelILj256ELj64ELj2EdEEviiiPKT2_S3_S3_PS1_S3_PKi.num_vgpr, 39
	.set _ZN9rocsparseL19gtsv_LBM_rhs_kernelILj256ELj64ELj2EdEEviiiPKT2_S3_S3_PS1_S3_PKi.num_agpr, 0
	.set _ZN9rocsparseL19gtsv_LBM_rhs_kernelILj256ELj64ELj2EdEEviiiPKT2_S3_S3_PS1_S3_PKi.numbered_sgpr, 30
	.set _ZN9rocsparseL19gtsv_LBM_rhs_kernelILj256ELj64ELj2EdEEviiiPKT2_S3_S3_PS1_S3_PKi.num_named_barrier, 0
	.set _ZN9rocsparseL19gtsv_LBM_rhs_kernelILj256ELj64ELj2EdEEviiiPKT2_S3_S3_PS1_S3_PKi.private_seg_size, 0
	.set _ZN9rocsparseL19gtsv_LBM_rhs_kernelILj256ELj64ELj2EdEEviiiPKT2_S3_S3_PS1_S3_PKi.uses_vcc, 1
	.set _ZN9rocsparseL19gtsv_LBM_rhs_kernelILj256ELj64ELj2EdEEviiiPKT2_S3_S3_PS1_S3_PKi.uses_flat_scratch, 0
	.set _ZN9rocsparseL19gtsv_LBM_rhs_kernelILj256ELj64ELj2EdEEviiiPKT2_S3_S3_PS1_S3_PKi.has_dyn_sized_stack, 0
	.set _ZN9rocsparseL19gtsv_LBM_rhs_kernelILj256ELj64ELj2EdEEviiiPKT2_S3_S3_PS1_S3_PKi.has_recursion, 0
	.set _ZN9rocsparseL19gtsv_LBM_rhs_kernelILj256ELj64ELj2EdEEviiiPKT2_S3_S3_PS1_S3_PKi.has_indirect_call, 0
	.section	.AMDGPU.csdata,"",@progbits
; Kernel info:
; codeLenInByte = 2144
; TotalNumSgprs: 34
; NumVgprs: 39
; ScratchSize: 0
; MemoryBound: 0
; FloatMode: 240
; IeeeMode: 1
; LDSByteSize: 0 bytes/workgroup (compile time only)
; SGPRBlocks: 4
; VGPRBlocks: 9
; NumSGPRsForWavesPerEU: 34
; NumVGPRsForWavesPerEU: 39
; Occupancy: 6
; WaveLimiterHint : 0
; COMPUTE_PGM_RSRC2:SCRATCH_EN: 0
; COMPUTE_PGM_RSRC2:USER_SGPR: 6
; COMPUTE_PGM_RSRC2:TRAP_HANDLER: 0
; COMPUTE_PGM_RSRC2:TGID_X_EN: 1
; COMPUTE_PGM_RSRC2:TGID_Y_EN: 1
; COMPUTE_PGM_RSRC2:TGID_Z_EN: 0
; COMPUTE_PGM_RSRC2:TIDIG_COMP_CNT: 0
	.section	.text._ZN9rocsparseL19gtsv_LBM_rhs_kernelILj256ELj64ELj1EdEEviiiPKT2_S3_S3_PS1_S3_PKi,"axG",@progbits,_ZN9rocsparseL19gtsv_LBM_rhs_kernelILj256ELj64ELj1EdEEviiiPKT2_S3_S3_PS1_S3_PKi,comdat
	.globl	_ZN9rocsparseL19gtsv_LBM_rhs_kernelILj256ELj64ELj1EdEEviiiPKT2_S3_S3_PS1_S3_PKi ; -- Begin function _ZN9rocsparseL19gtsv_LBM_rhs_kernelILj256ELj64ELj1EdEEviiiPKT2_S3_S3_PS1_S3_PKi
	.p2align	8
	.type	_ZN9rocsparseL19gtsv_LBM_rhs_kernelILj256ELj64ELj1EdEEviiiPKT2_S3_S3_PS1_S3_PKi,@function
_ZN9rocsparseL19gtsv_LBM_rhs_kernelILj256ELj64ELj1EdEEviiiPKT2_S3_S3_PS1_S3_PKi: ; @_ZN9rocsparseL19gtsv_LBM_rhs_kernelILj256ELj64ELj1EdEEviiiPKT2_S3_S3_PS1_S3_PKi
; %bb.0:
	s_load_dword s24, s[4:5], 0x0
	v_lshl_or_b32 v0, s6, 8, v0
	s_waitcnt lgkmcnt(0)
	s_lshr_b32 s22, s24, 6
	v_cmp_gt_i32_e32 vcc, s22, v0
	s_and_saveexec_b64 s[0:1], vcc
	s_cbranch_execz .LBB153_29
; %bb.1:
	s_load_dwordx4 s[8:11], s[4:5], 0x28
	s_load_dwordx2 s[16:17], s[4:5], 0x38
	s_cmp_lt_i32 s24, 1
	s_mul_i32 s23, s24, s7
	s_cbranch_scc1 .LBB153_21
; %bb.2:
	s_load_dwordx4 s[12:15], s[4:5], 0x10
	s_load_dwordx2 s[6:7], s[4:5], 0x20
	v_ashrrev_i32_e32 v1, 31, v0
	v_lshlrev_b64 v[1:2], 3, v[0:1]
	v_add_u32_e32 v24, s22, v0
	s_waitcnt lgkmcnt(0)
	v_mov_b32_e32 v3, s15
	v_add_co_u32_e32 v1, vcc, s14, v1
	v_addc_co_u32_e32 v2, vcc, v3, v2, vcc
	global_load_dwordx2 v[3:4], v[1:2], off
	s_mul_i32 s25, s22, 63
	s_mul_i32 s26, s22, 62
	s_lshl_b32 s27, s22, 1
	v_add_u32_e32 v25, s22, v24
	v_add_u32_e32 v26, s23, v24
	v_mov_b32_e32 v2, 0
	s_mov_b64 s[18:19], 0
	v_mov_b32_e32 v27, s7
	v_mov_b32_e32 v23, 0
	s_branch .LBB153_5
.LBB153_3:                              ;   in Loop: Header=BB153_5 Depth=1
	s_or_b64 exec, exec, s[4:5]
	v_fma_f64 v[3:4], -v[3:4], v[19:20], v[7:8]
	v_mov_b32_e32 v1, s22
.LBB153_4:                              ;   in Loop: Header=BB153_5 Depth=1
	s_or_b64 exec, exec, s[2:3]
	v_add_u32_e32 v23, v1, v23
	v_cmp_le_i32_e32 vcc, s24, v23
	s_or_b64 s[18:19], vcc, s[18:19]
	s_andn2_b64 exec, exec, s[18:19]
	s_cbranch_execz .LBB153_20
.LBB153_5:                              ; =>This Inner Loop Header: Depth=1
	v_add_u32_e32 v15, v23, v0
	v_ashrrev_i32_e32 v16, 31, v15
	v_lshlrev_b64 v[5:6], 3, v[15:16]
	v_mov_b32_e32 v7, 0
	v_add_co_u32_e32 v5, vcc, s6, v5
	v_addc_co_u32_e32 v6, vcc, v27, v6, vcc
	global_load_dwordx2 v[9:10], v[5:6], off
	v_mov_b32_e32 v5, 0
	v_cmp_gt_u32_e64 s[0:1], s25, v23
	v_mov_b32_e32 v8, 0
	v_mov_b32_e32 v6, 0
	s_waitcnt vmcnt(1)
	v_add_u32_e32 v17, v24, v23
	s_and_saveexec_b64 s[2:3], s[0:1]
	s_cbranch_execz .LBB153_7
; %bb.6:                                ;   in Loop: Header=BB153_5 Depth=1
	v_ashrrev_i32_e32 v18, 31, v17
	v_lshlrev_b64 v[5:6], 3, v[17:18]
	v_mov_b32_e32 v1, s13
	v_add_co_u32_e32 v5, vcc, s12, v5
	v_addc_co_u32_e32 v6, vcc, v1, v6, vcc
	global_load_dwordx2 v[5:6], v[5:6], off
.LBB153_7:                              ;   in Loop: Header=BB153_5 Depth=1
	s_or_b64 exec, exec, s[2:3]
	s_and_saveexec_b64 s[2:3], s[0:1]
	s_cbranch_execz .LBB153_9
; %bb.8:                                ;   in Loop: Header=BB153_5 Depth=1
	v_ashrrev_i32_e32 v18, 31, v17
	v_lshlrev_b64 v[7:8], 3, v[17:18]
	v_mov_b32_e32 v1, s15
	v_add_co_u32_e32 v7, vcc, s14, v7
	v_addc_co_u32_e32 v8, vcc, v1, v8, vcc
	global_load_dwordx2 v[7:8], v[7:8], off
.LBB153_9:                              ;   in Loop: Header=BB153_5 Depth=1
	s_or_b64 exec, exec, s[2:3]
	v_mov_b32_e32 v13, 0
	v_mov_b32_e32 v11, 0
	;; [unrolled: 1-line block ×4, first 2 shown]
	s_and_saveexec_b64 s[2:3], s[0:1]
	s_cbranch_execz .LBB153_11
; %bb.10:                               ;   in Loop: Header=BB153_5 Depth=1
	v_ashrrev_i32_e32 v18, 31, v17
	v_lshlrev_b64 v[11:12], 3, v[17:18]
	v_mov_b32_e32 v1, s7
	v_add_co_u32_e32 v11, vcc, s6, v11
	v_addc_co_u32_e32 v12, vcc, v1, v12, vcc
	global_load_dwordx2 v[11:12], v[11:12], off
.LBB153_11:                             ;   in Loop: Header=BB153_5 Depth=1
	s_or_b64 exec, exec, s[2:3]
	v_cmp_gt_u32_e64 s[2:3], s26, v23
	s_and_saveexec_b64 s[4:5], s[2:3]
	s_cbranch_execz .LBB153_13
; %bb.12:                               ;   in Loop: Header=BB153_5 Depth=1
	v_add_u32_e32 v13, v25, v23
	v_ashrrev_i32_e32 v14, 31, v13
	v_lshlrev_b64 v[13:14], 3, v[13:14]
	v_mov_b32_e32 v1, s13
	v_add_co_u32_e32 v13, vcc, s12, v13
	v_addc_co_u32_e32 v14, vcc, v1, v14, vcc
	global_load_dwordx2 v[13:14], v[13:14], off
.LBB153_13:                             ;   in Loop: Header=BB153_5 Depth=1
	s_or_b64 exec, exec, s[4:5]
	v_lshlrev_b64 v[16:17], 2, v[15:16]
	v_mov_b32_e32 v1, s17
	v_add_co_u32_e32 v16, vcc, s16, v16
	v_addc_co_u32_e32 v17, vcc, v1, v17, vcc
	v_add_u32_e32 v1, s23, v15
	global_load_dword v21, v[16:17], off
	v_lshlrev_b64 v[15:16], 3, v[1:2]
	v_mov_b32_e32 v1, s9
	v_add_co_u32_e32 v15, vcc, s8, v15
	v_addc_co_u32_e32 v16, vcc, v1, v16, vcc
	global_load_dwordx2 v[17:18], v[15:16], off
	s_waitcnt vmcnt(2)
	v_mul_f64 v[19:20], v[9:10], v[5:6]
	v_cmp_ne_u32_e64 s[4:5], s25, v23
	s_waitcnt vmcnt(1)
	v_cmp_ne_u32_e32 vcc, 1, v21
	s_and_b64 s[4:5], s[4:5], vcc
	s_and_saveexec_b64 s[20:21], s[4:5]
	s_xor_b64 s[4:5], exec, s[20:21]
	s_cbranch_execz .LBB153_17
; %bb.14:                               ;   in Loop: Header=BB153_5 Depth=1
	v_fma_f64 v[19:20], v[3:4], v[7:8], -v[19:20]
	v_add_u32_e32 v1, v26, v23
	v_div_scale_f64 v[21:22], s[20:21], v[19:20], v[19:20], 1.0
	v_rcp_f64_e32 v[28:29], v[21:22]
	v_fma_f64 v[30:31], -v[21:22], v[28:29], 1.0
	v_fma_f64 v[28:29], v[28:29], v[30:31], v[28:29]
	v_fma_f64 v[30:31], -v[21:22], v[28:29], 1.0
	v_fma_f64 v[28:29], v[28:29], v[30:31], v[28:29]
	v_div_scale_f64 v[30:31], vcc, 1.0, v[19:20], 1.0
	v_mul_f64 v[32:33], v[30:31], v[28:29]
	v_fma_f64 v[21:22], -v[21:22], v[32:33], v[30:31]
	v_mov_b32_e32 v30, s9
	s_nop 0
	v_div_fmas_f64 v[21:22], v[21:22], v[28:29], v[32:33]
	v_lshlrev_b64 v[28:29], 3, v[1:2]
	v_add_co_u32_e32 v28, vcc, s8, v28
	v_addc_co_u32_e32 v29, vcc, v30, v29, vcc
	v_div_fixup_f64 v[19:20], v[21:22], v[19:20], 1.0
	global_load_dwordx2 v[21:22], v[28:29], off
	s_waitcnt vmcnt(1)
	v_mul_f64 v[17:18], v[19:20], v[17:18]
	s_waitcnt vmcnt(0)
	v_mul_f64 v[21:22], v[19:20], v[21:22]
	v_mul_f64 v[9:10], v[9:10], v[21:22]
	v_fma_f64 v[7:8], v[7:8], v[17:18], -v[9:10]
	global_store_dwordx2 v[15:16], v[7:8], off
	v_mul_f64 v[7:8], v[5:6], v[17:18]
	v_fma_f64 v[9:10], v[3:4], v[21:22], -v[7:8]
	v_mov_b32_e32 v7, 0
	v_mov_b32_e32 v8, 0
	global_store_dwordx2 v[28:29], v[9:10], off
	s_and_saveexec_b64 s[20:21], s[2:3]
	s_cbranch_execz .LBB153_16
; %bb.15:                               ;   in Loop: Header=BB153_5 Depth=1
	v_add_u32_e32 v7, v25, v23
	v_add_u32_e32 v1, s23, v7
	v_lshlrev_b64 v[8:9], 3, v[1:2]
	v_mov_b32_e32 v1, s9
	v_add_co_u32_e32 v15, vcc, s8, v8
	v_ashrrev_i32_e32 v8, 31, v7
	v_lshlrev_b64 v[7:8], 3, v[7:8]
	v_addc_co_u32_e32 v16, vcc, v1, v9, vcc
	v_mov_b32_e32 v1, s15
	v_add_co_u32_e32 v7, vcc, s14, v7
	v_addc_co_u32_e32 v8, vcc, v1, v8, vcc
	global_load_dwordx2 v[9:10], v[15:16], off
	v_mul_f64 v[3:4], v[3:4], v[13:14]
	global_load_dwordx2 v[7:8], v[7:8], off
	v_mul_f64 v[5:6], v[5:6], v[13:14]
	v_mul_f64 v[13:14], v[3:4], v[21:22]
	;; [unrolled: 1-line block ×3, first 2 shown]
	v_fma_f64 v[5:6], v[5:6], v[17:18], -v[13:14]
	s_waitcnt vmcnt(1)
	v_add_f64 v[5:6], v[5:6], v[9:10]
	s_waitcnt vmcnt(0)
	v_fma_f64 v[7:8], -v[19:20], v[3:4], v[7:8]
	global_store_dwordx2 v[15:16], v[5:6], off
.LBB153_16:                             ;   in Loop: Header=BB153_5 Depth=1
	s_or_b64 exec, exec, s[20:21]
	v_mov_b32_e32 v3, v7
	v_mov_b32_e32 v4, v8
                                        ; implicit-def: $vgpr19_vgpr20
                                        ; implicit-def: $vgpr7_vgpr8
                                        ; implicit-def: $vgpr17_vgpr18
                                        ; implicit-def: $vgpr15_vgpr16
                                        ; implicit-def: $vgpr5_vgpr6
.LBB153_17:                             ;   in Loop: Header=BB153_5 Depth=1
	s_or_saveexec_b64 s[2:3], s[4:5]
	v_mov_b32_e32 v1, s27
	s_xor_b64 exec, exec, s[2:3]
	s_cbranch_execz .LBB153_4
; %bb.18:                               ;   in Loop: Header=BB153_5 Depth=1
	v_div_scale_f64 v[9:10], s[4:5], v[3:4], v[3:4], 1.0
	v_div_scale_f64 v[21:22], vcc, 1.0, v[3:4], 1.0
	v_rcp_f64_e32 v[11:12], v[9:10]
	v_fma_f64 v[13:14], -v[9:10], v[11:12], 1.0
	v_fma_f64 v[11:12], v[11:12], v[13:14], v[11:12]
	v_fma_f64 v[13:14], -v[9:10], v[11:12], 1.0
	v_fma_f64 v[11:12], v[11:12], v[13:14], v[11:12]
	v_mul_f64 v[13:14], v[21:22], v[11:12]
	v_fma_f64 v[9:10], -v[9:10], v[13:14], v[21:22]
	v_div_fmas_f64 v[9:10], v[9:10], v[11:12], v[13:14]
	v_div_fixup_f64 v[3:4], v[9:10], v[3:4], 1.0
	s_waitcnt vmcnt(0)
	v_mul_f64 v[9:10], v[3:4], v[17:18]
	global_store_dwordx2 v[15:16], v[9:10], off
	s_and_saveexec_b64 s[4:5], s[0:1]
	s_cbranch_execz .LBB153_3
; %bb.19:                               ;   in Loop: Header=BB153_5 Depth=1
	v_add_u32_e32 v1, v26, v23
	v_lshlrev_b64 v[11:12], 3, v[1:2]
	v_mov_b32_e32 v1, s9
	v_add_co_u32_e32 v11, vcc, s8, v11
	v_addc_co_u32_e32 v12, vcc, v1, v12, vcc
	global_load_dwordx2 v[13:14], v[11:12], off
	s_waitcnt vmcnt(0)
	v_fma_f64 v[5:6], -v[5:6], v[9:10], v[13:14]
	global_store_dwordx2 v[11:12], v[5:6], off
	s_branch .LBB153_3
.LBB153_20:
	s_or_b64 exec, exec, s[18:19]
	s_branch .LBB153_22
.LBB153_21:
	v_mov_b32_e32 v23, 0
.LBB153_22:
	v_subrev_u32_e32 v3, s22, v23
	v_add_u32_e32 v1, v3, v0
	v_ashrrev_i32_e32 v2, 31, v1
	v_lshlrev_b64 v[1:2], 2, v[1:2]
	s_waitcnt lgkmcnt(0)
	v_mov_b32_e32 v4, s17
	v_add_co_u32_e32 v1, vcc, s16, v1
	v_addc_co_u32_e32 v2, vcc, v4, v2, vcc
	s_waitcnt vmcnt(0)
	buffer_wbinvl1_vol
	global_load_dword v1, v[1:2], off
	s_waitcnt vmcnt(0)
	v_mul_lo_u32 v1, v1, s22
	v_sub_u32_e32 v7, v3, v1
	v_cmp_lt_i32_e32 vcc, -1, v7
	s_and_b64 exec, exec, vcc
	s_cbranch_execz .LBB153_29
; %bb.23:
	s_add_i32 s0, s23, s22
	v_add_u32_e32 v8, s0, v0
	s_lshl_b32 s4, s22, 1
	s_mov_b64 s[0:1], 0
	v_mov_b32_e32 v9, s17
	v_mov_b32_e32 v10, s11
	;; [unrolled: 1-line block ×3, first 2 shown]
	s_branch .LBB153_25
.LBB153_24:                             ;   in Loop: Header=BB153_25 Depth=1
	s_or_b64 exec, exec, s[2:3]
	v_sub_u32_e32 v7, v7, v1
	v_cmp_gt_i32_e32 vcc, 0, v7
	s_or_b64 s[0:1], vcc, s[0:1]
	s_andn2_b64 exec, exec, s[0:1]
	s_cbranch_execz .LBB153_29
.LBB153_25:                             ; =>This Inner Loop Header: Depth=1
	v_add_u32_e32 v5, v7, v0
	v_ashrrev_i32_e32 v6, 31, v5
	s_waitcnt vmcnt(0)
	v_lshlrev_b64 v[3:4], 2, v[5:6]
	v_add_co_u32_e32 v3, vcc, s16, v3
	v_addc_co_u32_e32 v4, vcc, v9, v4, vcc
	global_load_dword v1, v[3:4], off
	v_lshlrev_b64 v[3:4], 3, v[5:6]
	v_add_co_u32_e32 v3, vcc, s10, v3
	v_addc_co_u32_e32 v4, vcc, v10, v4, vcc
	global_load_dwordx2 v[3:4], v[3:4], off
	s_waitcnt vmcnt(1)
	v_cmp_ne_u32_e32 vcc, 1, v1
	s_and_saveexec_b64 s[2:3], vcc
	s_xor_b64 s[2:3], exec, s[2:3]
	s_cbranch_execz .LBB153_27
; %bb.26:                               ;   in Loop: Header=BB153_25 Depth=1
	v_add_u32_e32 v1, v8, v7
	v_lshlrev_b64 v[11:12], 3, v[1:2]
	v_mov_b32_e32 v1, s9
	v_add_co_u32_e32 v11, vcc, s8, v11
	v_addc_co_u32_e32 v12, vcc, v1, v12, vcc
	v_add_u32_e32 v1, s23, v5
	v_lshlrev_b64 v[5:6], 3, v[1:2]
	v_mov_b32_e32 v1, s9
	v_add_co_u32_e32 v5, vcc, s8, v5
	v_addc_co_u32_e32 v6, vcc, v1, v6, vcc
	global_load_dwordx2 v[13:14], v[11:12], off
	global_load_dwordx2 v[15:16], v[5:6], off
	v_subrev_u32_e32 v1, s22, v7
	v_add_u32_e32 v11, v1, v0
	v_ashrrev_i32_e32 v12, 31, v11
	v_add_u32_e32 v1, s23, v11
	v_lshlrev_b64 v[11:12], 3, v[11:12]
	v_mov_b32_e32 v17, s9
	v_add_co_u32_e32 v11, vcc, s10, v11
	v_addc_co_u32_e32 v12, vcc, v10, v12, vcc
	global_load_dwordx2 v[11:12], v[11:12], off
	s_waitcnt vmcnt(1)
	v_fma_f64 v[3:4], -v[3:4], v[13:14], v[15:16]
	v_lshlrev_b64 v[15:16], 3, v[1:2]
	global_store_dwordx2 v[5:6], v[3:4], off
	v_add_co_u32_e32 v3, vcc, s8, v15
	v_addc_co_u32_e32 v4, vcc, v17, v16, vcc
	global_load_dwordx2 v[5:6], v[3:4], off
	s_waitcnt vmcnt(0)
	v_fma_f64 v[5:6], -v[11:12], v[13:14], v[5:6]
	global_store_dwordx2 v[3:4], v[5:6], off
                                        ; implicit-def: $vgpr5
                                        ; implicit-def: $vgpr3_vgpr4
.LBB153_27:                             ;   in Loop: Header=BB153_25 Depth=1
	s_or_saveexec_b64 s[2:3], s[2:3]
	v_mov_b32_e32 v1, s4
	s_xor_b64 exec, exec, s[2:3]
	s_cbranch_execz .LBB153_24
; %bb.28:                               ;   in Loop: Header=BB153_25 Depth=1
	v_add_u32_e32 v1, v8, v7
	v_lshlrev_b64 v[11:12], 3, v[1:2]
	v_mov_b32_e32 v1, s9
	v_add_co_u32_e32 v11, vcc, s8, v11
	v_addc_co_u32_e32 v12, vcc, v1, v12, vcc
	v_add_u32_e32 v1, s23, v5
	v_lshlrev_b64 v[5:6], 3, v[1:2]
	v_mov_b32_e32 v1, s9
	v_add_co_u32_e32 v5, vcc, s8, v5
	v_addc_co_u32_e32 v6, vcc, v1, v6, vcc
	global_load_dwordx2 v[13:14], v[11:12], off
	global_load_dwordx2 v[15:16], v[5:6], off
	v_mov_b32_e32 v1, s22
	s_waitcnt vmcnt(0)
	v_fma_f64 v[3:4], -v[3:4], v[13:14], v[15:16]
	global_store_dwordx2 v[5:6], v[3:4], off
	s_branch .LBB153_24
.LBB153_29:
	s_endpgm
	.section	.rodata,"a",@progbits
	.p2align	6, 0x0
	.amdhsa_kernel _ZN9rocsparseL19gtsv_LBM_rhs_kernelILj256ELj64ELj1EdEEviiiPKT2_S3_S3_PS1_S3_PKi
		.amdhsa_group_segment_fixed_size 0
		.amdhsa_private_segment_fixed_size 0
		.amdhsa_kernarg_size 64
		.amdhsa_user_sgpr_count 6
		.amdhsa_user_sgpr_private_segment_buffer 1
		.amdhsa_user_sgpr_dispatch_ptr 0
		.amdhsa_user_sgpr_queue_ptr 0
		.amdhsa_user_sgpr_kernarg_segment_ptr 1
		.amdhsa_user_sgpr_dispatch_id 0
		.amdhsa_user_sgpr_flat_scratch_init 0
		.amdhsa_user_sgpr_private_segment_size 0
		.amdhsa_uses_dynamic_stack 0
		.amdhsa_system_sgpr_private_segment_wavefront_offset 0
		.amdhsa_system_sgpr_workgroup_id_x 1
		.amdhsa_system_sgpr_workgroup_id_y 1
		.amdhsa_system_sgpr_workgroup_id_z 0
		.amdhsa_system_sgpr_workgroup_info 0
		.amdhsa_system_vgpr_workitem_id 0
		.amdhsa_next_free_vgpr 34
		.amdhsa_next_free_sgpr 28
		.amdhsa_reserve_vcc 1
		.amdhsa_reserve_flat_scratch 0
		.amdhsa_float_round_mode_32 0
		.amdhsa_float_round_mode_16_64 0
		.amdhsa_float_denorm_mode_32 3
		.amdhsa_float_denorm_mode_16_64 3
		.amdhsa_dx10_clamp 1
		.amdhsa_ieee_mode 1
		.amdhsa_fp16_overflow 0
		.amdhsa_exception_fp_ieee_invalid_op 0
		.amdhsa_exception_fp_denorm_src 0
		.amdhsa_exception_fp_ieee_div_zero 0
		.amdhsa_exception_fp_ieee_overflow 0
		.amdhsa_exception_fp_ieee_underflow 0
		.amdhsa_exception_fp_ieee_inexact 0
		.amdhsa_exception_int_div_zero 0
	.end_amdhsa_kernel
	.section	.text._ZN9rocsparseL19gtsv_LBM_rhs_kernelILj256ELj64ELj1EdEEviiiPKT2_S3_S3_PS1_S3_PKi,"axG",@progbits,_ZN9rocsparseL19gtsv_LBM_rhs_kernelILj256ELj64ELj1EdEEviiiPKT2_S3_S3_PS1_S3_PKi,comdat
.Lfunc_end153:
	.size	_ZN9rocsparseL19gtsv_LBM_rhs_kernelILj256ELj64ELj1EdEEviiiPKT2_S3_S3_PS1_S3_PKi, .Lfunc_end153-_ZN9rocsparseL19gtsv_LBM_rhs_kernelILj256ELj64ELj1EdEEviiiPKT2_S3_S3_PS1_S3_PKi
                                        ; -- End function
	.set _ZN9rocsparseL19gtsv_LBM_rhs_kernelILj256ELj64ELj1EdEEviiiPKT2_S3_S3_PS1_S3_PKi.num_vgpr, 34
	.set _ZN9rocsparseL19gtsv_LBM_rhs_kernelILj256ELj64ELj1EdEEviiiPKT2_S3_S3_PS1_S3_PKi.num_agpr, 0
	.set _ZN9rocsparseL19gtsv_LBM_rhs_kernelILj256ELj64ELj1EdEEviiiPKT2_S3_S3_PS1_S3_PKi.numbered_sgpr, 28
	.set _ZN9rocsparseL19gtsv_LBM_rhs_kernelILj256ELj64ELj1EdEEviiiPKT2_S3_S3_PS1_S3_PKi.num_named_barrier, 0
	.set _ZN9rocsparseL19gtsv_LBM_rhs_kernelILj256ELj64ELj1EdEEviiiPKT2_S3_S3_PS1_S3_PKi.private_seg_size, 0
	.set _ZN9rocsparseL19gtsv_LBM_rhs_kernelILj256ELj64ELj1EdEEviiiPKT2_S3_S3_PS1_S3_PKi.uses_vcc, 1
	.set _ZN9rocsparseL19gtsv_LBM_rhs_kernelILj256ELj64ELj1EdEEviiiPKT2_S3_S3_PS1_S3_PKi.uses_flat_scratch, 0
	.set _ZN9rocsparseL19gtsv_LBM_rhs_kernelILj256ELj64ELj1EdEEviiiPKT2_S3_S3_PS1_S3_PKi.has_dyn_sized_stack, 0
	.set _ZN9rocsparseL19gtsv_LBM_rhs_kernelILj256ELj64ELj1EdEEviiiPKT2_S3_S3_PS1_S3_PKi.has_recursion, 0
	.set _ZN9rocsparseL19gtsv_LBM_rhs_kernelILj256ELj64ELj1EdEEviiiPKT2_S3_S3_PS1_S3_PKi.has_indirect_call, 0
	.section	.AMDGPU.csdata,"",@progbits
; Kernel info:
; codeLenInByte = 1640
; TotalNumSgprs: 32
; NumVgprs: 34
; ScratchSize: 0
; MemoryBound: 0
; FloatMode: 240
; IeeeMode: 1
; LDSByteSize: 0 bytes/workgroup (compile time only)
; SGPRBlocks: 3
; VGPRBlocks: 8
; NumSGPRsForWavesPerEU: 32
; NumVGPRsForWavesPerEU: 34
; Occupancy: 7
; WaveLimiterHint : 0
; COMPUTE_PGM_RSRC2:SCRATCH_EN: 0
; COMPUTE_PGM_RSRC2:USER_SGPR: 6
; COMPUTE_PGM_RSRC2:TRAP_HANDLER: 0
; COMPUTE_PGM_RSRC2:TGID_X_EN: 1
; COMPUTE_PGM_RSRC2:TGID_Y_EN: 1
; COMPUTE_PGM_RSRC2:TGID_Z_EN: 0
; COMPUTE_PGM_RSRC2:TIDIG_COMP_CNT: 0
	.section	.text._ZN9rocsparseL29gtsv_spike_block_level_kernelILj256ELj64EdEEviiiPT1_PKS1_S4_S2_S2_S2_S2_S2_,"axG",@progbits,_ZN9rocsparseL29gtsv_spike_block_level_kernelILj256ELj64EdEEviiiPT1_PKS1_S4_S2_S2_S2_S2_S2_,comdat
	.globl	_ZN9rocsparseL29gtsv_spike_block_level_kernelILj256ELj64EdEEviiiPT1_PKS1_S4_S2_S2_S2_S2_S2_ ; -- Begin function _ZN9rocsparseL29gtsv_spike_block_level_kernelILj256ELj64EdEEviiiPT1_PKS1_S4_S2_S2_S2_S2_S2_
	.p2align	8
	.type	_ZN9rocsparseL29gtsv_spike_block_level_kernelILj256ELj64EdEEviiiPT1_PKS1_S4_S2_S2_S2_S2_S2_,@function
_ZN9rocsparseL29gtsv_spike_block_level_kernelILj256ELj64EdEEviiiPT1_PKS1_S4_S2_S2_S2_S2_S2_: ; @_ZN9rocsparseL29gtsv_spike_block_level_kernelILj256ELj64EdEEviiiPT1_PKS1_S4_S2_S2_S2_S2_S2_
; %bb.0:
	s_load_dword s14, s[4:5], 0x0
	s_load_dwordx2 s[8:9], s[4:5], 0x18
	v_lshl_or_b32 v1, s6, 8, v0
	v_mov_b32_e32 v3, 0
	v_mov_b32_e32 v5, 0
	s_waitcnt lgkmcnt(0)
	s_lshr_b32 s18, s14, 6
	v_mov_b32_e32 v4, 0
	v_mov_b32_e32 v6, 0
	v_cmp_gt_i32_e64 s[0:1], s18, v1
	s_and_saveexec_b64 s[2:3], s[0:1]
	s_cbranch_execz .LBB154_2
; %bb.1:
	v_ashrrev_i32_e32 v2, 31, v1
	v_lshlrev_b64 v[5:6], 3, v[1:2]
	v_mov_b32_e32 v2, s9
	v_add_co_u32_e32 v5, vcc, s8, v5
	v_addc_co_u32_e32 v6, vcc, v2, v6, vcc
	global_load_dwordx2 v[5:6], v[5:6], off
.LBB154_2:
	s_or_b64 exec, exec, s[2:3]
	s_load_dwordx2 s[2:3], s[4:5], 0x20
	v_lshlrev_b32_e32 v9, 3, v0
	v_or_b32_e32 v10, 0x1000, v9
	s_waitcnt vmcnt(0)
	ds_write_b64 v9, v[5:6] offset:4096
	s_and_saveexec_b64 s[10:11], s[0:1]
	s_cbranch_execz .LBB154_4
; %bb.3:
	v_mad_u64_u32 v[2:3], s[12:13], s18, 63, v[1:2]
	v_mov_b32_e32 v3, 0
	v_mov_b32_e32 v4, s9
	v_lshlrev_b64 v[2:3], 3, v[2:3]
	v_add_co_u32_e32 v2, vcc, s8, v2
	v_addc_co_u32_e32 v3, vcc, v4, v3, vcc
	global_load_dwordx2 v[3:4], v[2:3], off
.LBB154_4:
	s_or_b64 exec, exec, s[10:11]
	v_mov_b32_e32 v5, 0
	v_mov_b32_e32 v7, 0
	v_mov_b32_e32 v6, 0
	v_mov_b32_e32 v8, 0
	s_waitcnt vmcnt(0)
	ds_write_b64 v10, v[3:4] offset:2048
	s_and_saveexec_b64 s[8:9], s[0:1]
	s_cbranch_execz .LBB154_6
; %bb.5:
	v_ashrrev_i32_e32 v2, 31, v1
	v_lshlrev_b64 v[2:3], 3, v[1:2]
	s_waitcnt lgkmcnt(0)
	v_mov_b32_e32 v4, s3
	v_add_co_u32_e32 v2, vcc, s2, v2
	v_addc_co_u32_e32 v3, vcc, v4, v3, vcc
	global_load_dwordx2 v[7:8], v[2:3], off
.LBB154_6:
	s_or_b64 exec, exec, s[8:9]
	s_load_dwordx2 s[12:13], s[4:5], 0x10
	s_waitcnt vmcnt(0)
	ds_write_b64 v9, v[7:8]
	s_and_saveexec_b64 s[8:9], s[0:1]
	s_cbranch_execz .LBB154_8
; %bb.7:
	v_mad_u64_u32 v[2:3], s[10:11], s18, 63, v[1:2]
	v_mov_b32_e32 v3, 0
	s_waitcnt lgkmcnt(0)
	v_mov_b32_e32 v4, s3
	v_lshlrev_b64 v[2:3], 3, v[2:3]
	v_add_co_u32_e32 v2, vcc, s2, v2
	v_addc_co_u32_e32 v3, vcc, v4, v3, vcc
	global_load_dwordx2 v[5:6], v[2:3], off
.LBB154_8:
	s_or_b64 exec, exec, s[8:9]
	s_waitcnt vmcnt(0)
	ds_write_b64 v9, v[5:6] offset:2048
	v_mov_b32_e32 v5, 0
	s_mul_i32 s14, s14, s7
	v_mov_b32_e32 v7, 0
	v_mov_b32_e32 v6, 0
	;; [unrolled: 1-line block ×3, first 2 shown]
	v_add_u32_e32 v3, s14, v1
	s_waitcnt lgkmcnt(0)
	s_and_saveexec_b64 s[2:3], s[0:1]
	s_cbranch_execz .LBB154_10
; %bb.9:
	v_ashrrev_i32_e32 v4, 31, v3
	v_lshlrev_b64 v[7:8], 3, v[3:4]
	v_mov_b32_e32 v2, s13
	v_add_co_u32_e32 v7, vcc, s12, v7
	v_addc_co_u32_e32 v8, vcc, v2, v8, vcc
	global_load_dwordx2 v[7:8], v[7:8], off
.LBB154_10:
	s_or_b64 exec, exec, s[2:3]
	v_or_b32_e32 v4, 0x2000, v9
	s_mul_i32 s19, s18, 63
	s_waitcnt vmcnt(0)
	ds_write_b64 v9, v[7:8] offset:8192
	s_and_saveexec_b64 s[2:3], s[0:1]
	s_cbranch_execz .LBB154_12
; %bb.11:
	s_mul_i32 s8, s18, 63
	s_add_i32 s8, s8, s14
	v_add_u32_e32 v5, s8, v1
	v_mov_b32_e32 v6, 0
	v_lshlrev_b64 v[5:6], 3, v[5:6]
	v_mov_b32_e32 v2, s13
	v_add_co_u32_e32 v5, vcc, s12, v5
	v_addc_co_u32_e32 v6, vcc, v2, v6, vcc
	global_load_dwordx2 v[5:6], v[5:6], off
.LBB154_12:
	s_or_b64 exec, exec, s[2:3]
	s_movk_i32 s2, 0x80
	v_cmp_gt_u32_e32 vcc, s2, v0
	s_waitcnt vmcnt(0)
	ds_write_b64 v4, v[5:6] offset:2048
	s_waitcnt lgkmcnt(0)
	s_barrier
	s_and_saveexec_b64 s[2:3], vcc
	s_cbranch_execz .LBB154_14
; %bb.13:
	v_add_u32_e32 v2, v10, v9
	ds_read_b128 v[5:8], v2
	v_add_u32_e32 v37, v9, v9
	ds_read_b128 v[11:14], v37 offset:2048
	ds_read_b128 v[15:18], v37
	ds_read_b128 v[19:22], v2 offset:2048
	v_add_u32_e32 v38, v4, v9
	s_waitcnt lgkmcnt(2)
	v_fma_f64 v[31:32], -v[7:8], v[11:12], 1.0
	v_div_scale_f64 v[23:24], s[8:9], v[31:32], v[31:32], 1.0
	v_rcp_f64_e32 v[25:26], v[23:24]
	v_fma_f64 v[27:28], -v[23:24], v[25:26], 1.0
	v_fma_f64 v[25:26], v[25:26], v[27:28], v[25:26]
	v_div_scale_f64 v[27:28], vcc, 1.0, v[31:32], 1.0
	v_fma_f64 v[29:30], -v[23:24], v[25:26], 1.0
	v_fma_f64 v[25:26], v[25:26], v[29:30], v[25:26]
	v_mul_f64 v[29:30], v[27:28], v[25:26]
	v_fma_f64 v[23:24], -v[23:24], v[29:30], v[27:28]
	v_div_fmas_f64 v[33:34], v[23:24], v[25:26], v[29:30]
	ds_read_b128 v[23:26], v38 offset:2048
	ds_read_b128 v[27:30], v38
	s_waitcnt lgkmcnt(0)
	v_fma_f64 v[35:36], -v[7:8], v[23:24], v[29:30]
	v_fma_f64 v[23:24], -v[11:12], v[29:30], v[23:24]
	v_mul_f64 v[7:8], v[7:8], v[19:20]
	v_mul_f64 v[11:12], v[11:12], v[17:18]
	v_div_fixup_f64 v[31:32], v[33:34], v[31:32], 1.0
	v_mul_f64 v[29:30], v[35:36], v[31:32]
	v_mul_f64 v[23:24], v[31:32], v[23:24]
	v_mul_f64 v[7:8], v[7:8], -v[31:32]
	v_mul_f64 v[17:18], v[31:32], v[17:18]
	v_mul_f64 v[11:12], v[11:12], -v[31:32]
	v_mul_f64 v[19:20], v[31:32], v[19:20]
	v_fma_f64 v[27:28], -v[29:30], v[15:16], v[27:28]
	v_fma_f64 v[25:26], -v[21:22], v[23:24], v[25:26]
	;; [unrolled: 1-line block ×3, first 2 shown]
	v_mul_f64 v[15:16], v[17:18], -v[15:16]
	v_fma_f64 v[13:14], -v[11:12], v[21:22], v[13:14]
	v_mul_f64 v[21:22], v[19:20], -v[21:22]
	ds_write_b128 v38, v[27:30]
	ds_write_b128 v38, v[23:26] offset:2048
	ds_write_b128 v2, v[5:8]
	ds_write_b128 v37, v[15:18]
	ds_write_b128 v37, v[11:14] offset:2048
	ds_write_b128 v2, v[19:22] offset:2048
.LBB154_14:
	s_or_b64 exec, exec, s[2:3]
	v_cmp_gt_u32_e32 vcc, 64, v0
	s_waitcnt lgkmcnt(0)
	s_barrier
	s_and_saveexec_b64 s[2:3], vcc
	s_cbranch_execz .LBB154_16
; %bb.15:
	v_lshlrev_b32_e32 v2, 5, v0
	v_add_u32_e32 v37, 0x1000, v2
	v_add_u32_e32 v38, 0x800, v2
	ds_read2_b64 v[5:8], v37 offset1:2
	ds_read2_b64 v[11:14], v38 offset0:1 offset1:3
	v_mad_u32_u24 v39, v0, 24, v4
	v_add_u32_e32 v40, 0x800, v39
	v_add_u32_e32 v41, 0x1800, v2
	s_waitcnt lgkmcnt(0)
	v_fma_f64 v[31:32], -v[7:8], v[11:12], 1.0
	v_div_scale_f64 v[15:16], s[8:9], v[31:32], v[31:32], 1.0
	v_rcp_f64_e32 v[17:18], v[15:16]
	v_fma_f64 v[19:20], -v[15:16], v[17:18], 1.0
	v_fma_f64 v[17:18], v[17:18], v[19:20], v[17:18]
	v_div_scale_f64 v[19:20], vcc, 1.0, v[31:32], 1.0
	v_fma_f64 v[21:22], -v[15:16], v[17:18], 1.0
	v_fma_f64 v[17:18], v[17:18], v[21:22], v[17:18]
	v_mul_f64 v[21:22], v[19:20], v[17:18]
	v_fma_f64 v[15:16], -v[15:16], v[21:22], v[19:20]
	v_div_fmas_f64 v[33:34], v[15:16], v[17:18], v[21:22]
	ds_read2_b64 v[15:18], v39 offset1:2
	ds_read2_b64 v[19:22], v40 offset0:1 offset1:3
	ds_read2_b64 v[23:26], v41 offset0:1 offset1:3
	ds_read2_b64 v[27:30], v2 offset1:2
	s_waitcnt lgkmcnt(2)
	v_fma_f64 v[35:36], -v[7:8], v[19:20], v[17:18]
	v_fma_f64 v[17:18], -v[11:12], v[17:18], v[19:20]
	s_waitcnt lgkmcnt(1)
	v_mul_f64 v[7:8], v[7:8], v[23:24]
	s_waitcnt lgkmcnt(0)
	v_mul_f64 v[11:12], v[11:12], v[29:30]
	v_div_fixup_f64 v[31:32], v[33:34], v[31:32], 1.0
	v_mul_f64 v[19:20], v[35:36], v[31:32]
	v_mul_f64 v[17:18], v[31:32], v[17:18]
	v_mul_f64 v[7:8], v[7:8], -v[31:32]
	v_mul_f64 v[29:30], v[31:32], v[29:30]
	v_mul_f64 v[11:12], v[11:12], -v[31:32]
	v_mul_f64 v[23:24], v[31:32], v[23:24]
	v_fma_f64 v[15:16], -v[19:20], v[27:28], v[15:16]
	v_fma_f64 v[21:22], -v[25:26], v[17:18], v[21:22]
	;; [unrolled: 1-line block ×3, first 2 shown]
	v_mul_f64 v[27:28], v[29:30], -v[27:28]
	v_fma_f64 v[13:14], -v[11:12], v[25:26], v[13:14]
	v_mul_f64 v[25:26], v[23:24], -v[25:26]
	ds_write2_b64 v39, v[15:16], v[19:20] offset1:2
	ds_write2_b64 v40, v[17:18], v[21:22] offset0:1 offset1:3
	ds_write2_b64 v37, v[5:6], v[7:8] offset1:2
	ds_write2_b64 v2, v[27:28], v[29:30] offset1:2
	ds_write2_b64 v38, v[11:12], v[13:14] offset0:1 offset1:3
	ds_write2_b64 v41, v[23:24], v[25:26] offset0:1 offset1:3
.LBB154_16:
	s_or_b64 exec, exec, s[2:3]
	v_cmp_gt_u32_e32 vcc, 32, v0
	s_waitcnt lgkmcnt(0)
	s_barrier
	s_and_saveexec_b64 s[2:3], vcc
	s_cbranch_execz .LBB154_18
; %bb.17:
	v_lshlrev_b32_e32 v2, 6, v0
	v_add_u32_e32 v37, 0x1000, v2
	v_add_u32_e32 v38, 0x800, v2
	ds_read2_b64 v[5:8], v37 offset1:4
	ds_read2_b64 v[11:14], v38 offset0:3 offset1:7
	v_add_u32_e32 v39, 0x2800, v2
	v_add_u32_e32 v40, 0x2000, v2
	v_add_u32_e32 v41, 0x1800, v2
	s_waitcnt lgkmcnt(0)
	v_fma_f64 v[31:32], -v[7:8], v[11:12], 1.0
	v_div_scale_f64 v[15:16], s[8:9], v[31:32], v[31:32], 1.0
	v_rcp_f64_e32 v[17:18], v[15:16]
	v_fma_f64 v[19:20], -v[15:16], v[17:18], 1.0
	v_fma_f64 v[17:18], v[17:18], v[19:20], v[17:18]
	v_div_scale_f64 v[19:20], vcc, 1.0, v[31:32], 1.0
	v_fma_f64 v[21:22], -v[15:16], v[17:18], 1.0
	v_fma_f64 v[17:18], v[17:18], v[21:22], v[17:18]
	v_mul_f64 v[21:22], v[19:20], v[17:18]
	v_fma_f64 v[15:16], -v[15:16], v[21:22], v[19:20]
	v_div_fmas_f64 v[33:34], v[15:16], v[17:18], v[21:22]
	ds_read2_b64 v[15:18], v39 offset0:3 offset1:7
	ds_read2_b64 v[19:22], v40 offset1:4
	ds_read2_b64 v[23:26], v41 offset0:3 offset1:7
	ds_read2_b64 v[27:30], v2 offset1:4
	s_waitcnt lgkmcnt(2)
	v_fma_f64 v[35:36], -v[7:8], v[15:16], v[21:22]
	v_fma_f64 v[15:16], -v[11:12], v[21:22], v[15:16]
	s_waitcnt lgkmcnt(1)
	v_mul_f64 v[7:8], v[7:8], v[23:24]
	s_waitcnt lgkmcnt(0)
	v_mul_f64 v[11:12], v[11:12], v[29:30]
	v_div_fixup_f64 v[31:32], v[33:34], v[31:32], 1.0
	v_mul_f64 v[21:22], v[35:36], v[31:32]
	v_mul_f64 v[15:16], v[31:32], v[15:16]
	v_mul_f64 v[7:8], v[7:8], -v[31:32]
	v_mul_f64 v[29:30], v[31:32], v[29:30]
	v_mul_f64 v[11:12], v[11:12], -v[31:32]
	v_mul_f64 v[23:24], v[31:32], v[23:24]
	v_fma_f64 v[19:20], -v[21:22], v[27:28], v[19:20]
	v_fma_f64 v[17:18], -v[25:26], v[15:16], v[17:18]
	v_fma_f64 v[5:6], -v[7:8], v[27:28], v[5:6]
	v_mul_f64 v[27:28], v[29:30], -v[27:28]
	v_fma_f64 v[13:14], -v[11:12], v[25:26], v[13:14]
	v_mul_f64 v[25:26], v[23:24], -v[25:26]
	ds_write2_b64 v40, v[19:20], v[21:22] offset1:4
	ds_write2_b64 v39, v[15:16], v[17:18] offset0:3 offset1:7
	ds_write2_b64 v37, v[5:6], v[7:8] offset1:4
	ds_write2_b64 v2, v[27:28], v[29:30] offset1:4
	ds_write2_b64 v38, v[11:12], v[13:14] offset0:3 offset1:7
	ds_write2_b64 v41, v[23:24], v[25:26] offset0:3 offset1:7
.LBB154_18:
	s_or_b64 exec, exec, s[2:3]
	v_cmp_gt_u32_e32 vcc, 16, v0
	s_waitcnt lgkmcnt(0)
	s_barrier
	s_and_saveexec_b64 s[2:3], vcc
	s_cbranch_execz .LBB154_20
; %bb.19:
	v_lshlrev_b32_e32 v2, 7, v0
	v_add_u32_e32 v37, 0x1000, v2
	v_add_u32_e32 v38, 0x800, v2
	ds_read2_b64 v[5:8], v37 offset1:8
	ds_read2_b64 v[11:14], v38 offset0:7 offset1:15
	v_add_u32_e32 v39, 0x2800, v2
	v_add_u32_e32 v40, 0x2000, v2
	v_add_u32_e32 v41, 0x1800, v2
	s_waitcnt lgkmcnt(0)
	v_fma_f64 v[31:32], -v[7:8], v[11:12], 1.0
	v_div_scale_f64 v[15:16], s[8:9], v[31:32], v[31:32], 1.0
	v_rcp_f64_e32 v[17:18], v[15:16]
	v_fma_f64 v[19:20], -v[15:16], v[17:18], 1.0
	v_fma_f64 v[17:18], v[17:18], v[19:20], v[17:18]
	v_div_scale_f64 v[19:20], vcc, 1.0, v[31:32], 1.0
	v_fma_f64 v[21:22], -v[15:16], v[17:18], 1.0
	v_fma_f64 v[17:18], v[17:18], v[21:22], v[17:18]
	v_mul_f64 v[21:22], v[19:20], v[17:18]
	v_fma_f64 v[15:16], -v[15:16], v[21:22], v[19:20]
	v_div_fmas_f64 v[33:34], v[15:16], v[17:18], v[21:22]
	ds_read2_b64 v[15:18], v39 offset0:7 offset1:15
	ds_read2_b64 v[19:22], v40 offset1:8
	ds_read2_b64 v[23:26], v41 offset0:7 offset1:15
	ds_read2_b64 v[27:30], v2 offset1:8
	s_waitcnt lgkmcnt(2)
	v_fma_f64 v[35:36], -v[7:8], v[15:16], v[21:22]
	v_fma_f64 v[15:16], -v[11:12], v[21:22], v[15:16]
	s_waitcnt lgkmcnt(1)
	v_mul_f64 v[7:8], v[7:8], v[23:24]
	s_waitcnt lgkmcnt(0)
	v_mul_f64 v[11:12], v[11:12], v[29:30]
	v_div_fixup_f64 v[31:32], v[33:34], v[31:32], 1.0
	v_mul_f64 v[21:22], v[35:36], v[31:32]
	v_mul_f64 v[15:16], v[31:32], v[15:16]
	v_mul_f64 v[7:8], v[7:8], -v[31:32]
	v_mul_f64 v[29:30], v[31:32], v[29:30]
	v_mul_f64 v[11:12], v[11:12], -v[31:32]
	v_mul_f64 v[23:24], v[31:32], v[23:24]
	v_fma_f64 v[19:20], -v[21:22], v[27:28], v[19:20]
	v_fma_f64 v[17:18], -v[25:26], v[15:16], v[17:18]
	v_fma_f64 v[5:6], -v[7:8], v[27:28], v[5:6]
	v_mul_f64 v[27:28], v[29:30], -v[27:28]
	v_fma_f64 v[13:14], -v[11:12], v[25:26], v[13:14]
	v_mul_f64 v[25:26], v[23:24], -v[25:26]
	ds_write2_b64 v40, v[19:20], v[21:22] offset1:8
	ds_write2_b64 v39, v[15:16], v[17:18] offset0:7 offset1:15
	ds_write2_b64 v37, v[5:6], v[7:8] offset1:8
	ds_write2_b64 v2, v[27:28], v[29:30] offset1:8
	ds_write2_b64 v38, v[11:12], v[13:14] offset0:7 offset1:15
	ds_write2_b64 v41, v[23:24], v[25:26] offset0:7 offset1:15
.LBB154_20:
	;; [unrolled: 58-line block ×4, first 2 shown]
	s_or_b64 exec, exec, s[2:3]
	v_cmp_gt_u32_e32 vcc, 2, v0
	s_waitcnt lgkmcnt(0)
	s_barrier
	s_and_saveexec_b64 s[2:3], vcc
	s_cbranch_execz .LBB154_26
; %bb.25:
	v_lshlrev_b32_e32 v2, 10, v0
	v_add_u32_e32 v37, 0x1f8, v2
	ds_read2st64_b64 v[5:8], v37 offset0:4 offset1:5
	ds_read2st64_b64 v[11:14], v2 offset0:8 offset1:9
	ds_read2st64_b64 v[15:18], v2 offset1:1
	ds_read2st64_b64 v[19:22], v37 offset0:12 offset1:13
	s_waitcnt lgkmcnt(2)
	v_fma_f64 v[31:32], -v[13:14], v[5:6], 1.0
	v_div_scale_f64 v[23:24], s[8:9], v[31:32], v[31:32], 1.0
	v_rcp_f64_e32 v[25:26], v[23:24]
	v_fma_f64 v[27:28], -v[23:24], v[25:26], 1.0
	v_fma_f64 v[25:26], v[25:26], v[27:28], v[25:26]
	v_div_scale_f64 v[27:28], vcc, 1.0, v[31:32], 1.0
	v_fma_f64 v[29:30], -v[23:24], v[25:26], 1.0
	v_fma_f64 v[25:26], v[25:26], v[29:30], v[25:26]
	v_mul_f64 v[29:30], v[27:28], v[25:26]
	v_fma_f64 v[23:24], -v[23:24], v[29:30], v[27:28]
	v_div_fmas_f64 v[33:34], v[23:24], v[25:26], v[29:30]
	ds_read2st64_b64 v[23:26], v2 offset0:16 offset1:17
	ds_read2st64_b64 v[27:30], v37 offset0:20 offset1:21
	s_waitcnt lgkmcnt(0)
	v_fma_f64 v[35:36], -v[13:14], v[27:28], v[25:26]
	v_fma_f64 v[25:26], -v[5:6], v[25:26], v[27:28]
	v_mul_f64 v[13:14], v[13:14], v[19:20]
	v_mul_f64 v[5:6], v[5:6], v[17:18]
	v_div_fixup_f64 v[31:32], v[33:34], v[31:32], 1.0
	v_mul_f64 v[27:28], v[35:36], v[31:32]
	v_mul_f64 v[25:26], v[31:32], v[25:26]
	v_mul_f64 v[13:14], v[13:14], -v[31:32]
	v_mul_f64 v[17:18], v[31:32], v[17:18]
	v_mul_f64 v[5:6], v[5:6], -v[31:32]
	v_mul_f64 v[19:20], v[31:32], v[19:20]
	v_fma_f64 v[23:24], -v[27:28], v[15:16], v[23:24]
	v_fma_f64 v[29:30], -v[21:22], v[25:26], v[29:30]
	v_fma_f64 v[11:12], -v[13:14], v[15:16], v[11:12]
	v_mul_f64 v[15:16], v[17:18], -v[15:16]
	v_fma_f64 v[7:8], -v[5:6], v[21:22], v[7:8]
	v_mul_f64 v[21:22], v[19:20], -v[21:22]
	ds_write2st64_b64 v2, v[23:24], v[27:28] offset0:16 offset1:17
	ds_write2st64_b64 v37, v[25:26], v[29:30] offset0:20 offset1:21
	;; [unrolled: 1-line block ×3, first 2 shown]
	ds_write2st64_b64 v2, v[15:16], v[17:18] offset1:1
	ds_write2st64_b64 v37, v[5:6], v[7:8] offset0:4 offset1:5
	ds_write2st64_b64 v37, v[19:20], v[21:22] offset0:12 offset1:13
.LBB154_26:
	s_or_b64 exec, exec, s[2:3]
	v_cmp_eq_u32_e64 s[2:3], 0, v0
	s_waitcnt lgkmcnt(0)
	s_barrier
	s_and_saveexec_b64 s[8:9], s[2:3]
	s_cbranch_execz .LBB154_28
; %bb.27:
	s_movk_i32 s10, 0x1400
	v_add_u32_e64 v2, s10, 0
	v_mov_b32_e32 v0, 0
	ds_read2_b64 v[5:8], v2 offset1:255
	ds_read_b64 v[19:20], v0 offset:3064
	ds_read_b64 v[21:22], v0 offset:12280
	v_mov_b32_e32 v32, 0x1ff8
	v_mov_b32_e32 v33, 0xff8
	s_waitcnt lgkmcnt(1)
	v_fma_f64 v[23:24], -v[5:6], v[19:20], 1.0
	v_div_scale_f64 v[11:12], s[10:11], v[23:24], v[23:24], 1.0
	s_movk_i32 s10, 0x2400
	v_add_u32_e64 v31, s10, 0
	v_rcp_f64_e32 v[13:14], v[11:12]
	v_fma_f64 v[15:16], -v[11:12], v[13:14], 1.0
	v_fma_f64 v[13:14], v[13:14], v[15:16], v[13:14]
	v_div_scale_f64 v[15:16], vcc, 1.0, v[23:24], 1.0
	v_fma_f64 v[17:18], -v[11:12], v[13:14], 1.0
	v_fma_f64 v[13:14], v[13:14], v[17:18], v[13:14]
	v_mul_f64 v[17:18], v[15:16], v[13:14]
	v_fma_f64 v[11:12], -v[11:12], v[17:18], v[15:16]
	v_div_fmas_f64 v[25:26], v[11:12], v[13:14], v[17:18]
	ds_read2_b64 v[11:14], v31 offset1:255
	ds_read2st64_b64 v[15:18], v0 offset1:2
	s_waitcnt lgkmcnt(1)
	v_fma_f64 v[27:28], -v[19:20], v[11:12], v[13:14]
	s_waitcnt lgkmcnt(0)
	v_mul_f64 v[19:20], v[19:20], v[17:18]
	v_div_fixup_f64 v[23:24], v[25:26], v[23:24], 1.0
	v_fma_f64 v[25:26], -v[5:6], v[13:14], v[11:12]
	v_mul_f64 v[5:6], v[5:6], v[7:8]
	ds_read2_b64 v[11:14], v32 offset1:1
	v_mul_f64 v[27:28], v[23:24], v[27:28]
	v_mul_f64 v[25:26], v[25:26], v[23:24]
	v_mul_f64 v[29:30], v[5:6], -v[23:24]
	v_mul_f64 v[17:18], v[23:24], v[17:18]
	v_mul_f64 v[19:20], v[19:20], -v[23:24]
	v_mul_f64 v[23:24], v[23:24], v[7:8]
	ds_read2_b64 v[5:8], v33 offset1:1
	s_waitcnt lgkmcnt(1)
	v_fma_f64 v[21:22], -v[11:12], v[27:28], v[21:22]
	v_fma_f64 v[13:14], -v[25:26], v[15:16], v[13:14]
	s_waitcnt lgkmcnt(0)
	v_fma_f64 v[7:8], -v[29:30], v[15:16], v[7:8]
	v_mul_f64 v[15:16], v[17:18], -v[15:16]
	v_fma_f64 v[5:6], -v[19:20], v[11:12], v[5:6]
	v_mul_f64 v[11:12], v[23:24], -v[11:12]
	ds_write2_b64 v31, v[25:26], v[27:28] offset1:255
	ds_write_b64 v0, v[19:20] offset:3064
	ds_write2_b64 v2, v[29:30], v[23:24] offset1:255
	ds_write_b64 v0, v[21:22] offset:12280
	ds_write2st64_b64 v0, v[15:16], v[17:18] offset1:2
	ds_write2_b64 v33, v[5:6], v[7:8] offset1:1
	ds_write2_b64 v32, v[11:12], v[13:14] offset1:1
.LBB154_28:
	s_or_b64 exec, exec, s[8:9]
	s_load_dwordx2 s[14:15], s[4:5], 0x48
	s_load_dwordx4 s[8:11], s[4:5], 0x38
	s_waitcnt lgkmcnt(0)
	s_barrier
	s_and_saveexec_b64 s[16:17], s[0:1]
	s_cbranch_execnz .LBB154_31
; %bb.29:
	s_or_b64 exec, exec, s[16:17]
	s_and_saveexec_b64 s[0:1], s[2:3]
	s_cbranch_execnz .LBB154_35
.LBB154_30:
	s_endpgm
.LBB154_31:
	s_cmp_eq_u32 s7, 0
	s_cbranch_scc1 .LBB154_39
; %bb.32:
	s_mul_i32 s18, s18, 63
	s_cbranch_execnz .LBB154_34
.LBB154_33:
	s_load_dwordx4 s[20:23], s[4:5], 0x28
	v_ashrrev_i32_e32 v2, 31, v1
	ds_read2st64_b64 v[5:8], v10 offset1:4
	v_lshlrev_b64 v[10:11], 3, v[1:2]
	s_mov_b32 s18, s19
	s_waitcnt lgkmcnt(0)
	v_mov_b32_e32 v0, s21
	v_add_co_u32_e32 v12, vcc, s20, v10
	v_addc_co_u32_e32 v13, vcc, v0, v11, vcc
	v_add_u32_e32 v0, s19, v1
	v_mov_b32_e32 v1, 0
	v_lshlrev_b64 v[0:1], 3, v[0:1]
	global_store_dwordx2 v[12:13], v[5:6], off
	v_mov_b32_e32 v2, s21
	v_add_co_u32_e32 v5, vcc, s20, v0
	v_addc_co_u32_e32 v6, vcc, v2, v1, vcc
	global_store_dwordx2 v[5:6], v[7:8], off
	ds_read2st64_b64 v[5:8], v9 offset1:4
	v_mov_b32_e32 v2, s23
	v_add_co_u32_e32 v9, vcc, s22, v10
	v_addc_co_u32_e32 v10, vcc, v2, v11, vcc
	v_add_co_u32_e32 v0, vcc, s22, v0
	v_addc_co_u32_e32 v1, vcc, v2, v1, vcc
	s_waitcnt lgkmcnt(0)
	global_store_dwordx2 v[9:10], v[5:6], off
	global_store_dwordx2 v[0:1], v[7:8], off
.LBB154_34:
	ds_read2st64_b64 v[5:8], v4 offset1:4
	v_ashrrev_i32_e32 v4, 31, v3
	v_lshlrev_b64 v[0:1], 3, v[3:4]
	v_mov_b32_e32 v2, s13
	v_add_co_u32_e32 v0, vcc, s12, v0
	v_addc_co_u32_e32 v1, vcc, v2, v1, vcc
	s_waitcnt lgkmcnt(0)
	global_store_dwordx2 v[0:1], v[5:6], off
	v_add_u32_e32 v0, s18, v3
	v_mov_b32_e32 v1, 0
	v_lshlrev_b64 v[0:1], 3, v[0:1]
	v_add_co_u32_e32 v0, vcc, s12, v0
	v_addc_co_u32_e32 v1, vcc, v2, v1, vcc
	global_store_dwordx2 v[0:1], v[7:8], off
	s_or_b64 exec, exec, s[16:17]
	s_and_saveexec_b64 s[0:1], s[2:3]
	s_cbranch_execz .LBB154_30
.LBB154_35:
	s_cmp_eq_u32 s7, 0
	s_cbranch_scc1 .LBB154_40
; %bb.36:
	s_load_dword s2, s[4:5], 0x50
	s_cbranch_execnz .LBB154_38
.LBB154_37:
	v_mov_b32_e32 v0, 0xff8
	ds_read2_b64 v[0:3], v0 offset1:1
	s_mov_b32 s0, s7
	s_ashr_i32 s7, s6, 31
	s_waitcnt lgkmcnt(0)
	s_load_dword s2, s[4:5], 0x50
	s_lshl_b64 s[12:13], s[6:7], 3
	s_mov_b32 s7, s0
	s_add_u32 s0, s10, s12
	s_addc_u32 s1, s11, s13
	v_mov_b32_e32 v6, 0
	ds_read_b64 v[4:5], v6
	global_store_dwordx2 v6, v[2:3], s[0:1]
	ds_read_b64 v[2:3], v6 offset:8184
	s_waitcnt lgkmcnt(0)
	s_add_i32 s0, s2, s6
	s_mov_b32 s1, 0
	s_lshl_b64 s[0:1], s[0:1], 3
	s_add_u32 s4, s10, s0
	s_addc_u32 s5, s11, s1
	global_store_dwordx2 v6, v[2:3], s[4:5]
	s_add_u32 s4, s14, s12
	s_addc_u32 s5, s15, s13
	s_add_u32 s0, s14, s0
	s_addc_u32 s1, s15, s1
	global_store_dwordx2 v6, v[4:5], s[4:5]
	global_store_dwordx2 v6, v[0:1], s[0:1]
.LBB154_38:
	s_waitcnt lgkmcnt(0)
	s_mul_i32 s0, s2, s7
	s_lshl_b32 s0, s0, 1
	s_add_i32 s0, s0, s6
	s_mov_b32 s1, 0
	v_mov_b32_e32 v4, 0
	s_lshl_b64 s[4:5], s[0:1], 3
	ds_read_b64 v[0:1], v4 offset:8192
	ds_read_b64 v[2:3], v4 offset:12280
	s_add_u32 s4, s8, s4
	s_addc_u32 s5, s9, s5
	s_add_i32 s0, s0, s2
	s_lshl_b64 s[0:1], s[0:1], 3
	s_add_u32 s0, s8, s0
	s_addc_u32 s1, s9, s1
	s_waitcnt lgkmcnt(1)
	global_store_dwordx2 v4, v[0:1], s[4:5]
	s_waitcnt lgkmcnt(0)
	global_store_dwordx2 v4, v[2:3], s[0:1]
	s_endpgm
.LBB154_39:
                                        ; implicit-def: $sgpr18
	s_branch .LBB154_33
.LBB154_40:
                                        ; implicit-def: $sgpr2
	s_branch .LBB154_37
	.section	.rodata,"a",@progbits
	.p2align	6, 0x0
	.amdhsa_kernel _ZN9rocsparseL29gtsv_spike_block_level_kernelILj256ELj64EdEEviiiPT1_PKS1_S4_S2_S2_S2_S2_S2_
		.amdhsa_group_segment_fixed_size 12288
		.amdhsa_private_segment_fixed_size 0
		.amdhsa_kernarg_size 336
		.amdhsa_user_sgpr_count 6
		.amdhsa_user_sgpr_private_segment_buffer 1
		.amdhsa_user_sgpr_dispatch_ptr 0
		.amdhsa_user_sgpr_queue_ptr 0
		.amdhsa_user_sgpr_kernarg_segment_ptr 1
		.amdhsa_user_sgpr_dispatch_id 0
		.amdhsa_user_sgpr_flat_scratch_init 0
		.amdhsa_user_sgpr_private_segment_size 0
		.amdhsa_uses_dynamic_stack 0
		.amdhsa_system_sgpr_private_segment_wavefront_offset 0
		.amdhsa_system_sgpr_workgroup_id_x 1
		.amdhsa_system_sgpr_workgroup_id_y 1
		.amdhsa_system_sgpr_workgroup_id_z 0
		.amdhsa_system_sgpr_workgroup_info 0
		.amdhsa_system_vgpr_workitem_id 0
		.amdhsa_next_free_vgpr 42
		.amdhsa_next_free_sgpr 98
		.amdhsa_reserve_vcc 1
		.amdhsa_reserve_flat_scratch 0
		.amdhsa_float_round_mode_32 0
		.amdhsa_float_round_mode_16_64 0
		.amdhsa_float_denorm_mode_32 3
		.amdhsa_float_denorm_mode_16_64 3
		.amdhsa_dx10_clamp 1
		.amdhsa_ieee_mode 1
		.amdhsa_fp16_overflow 0
		.amdhsa_exception_fp_ieee_invalid_op 0
		.amdhsa_exception_fp_denorm_src 0
		.amdhsa_exception_fp_ieee_div_zero 0
		.amdhsa_exception_fp_ieee_overflow 0
		.amdhsa_exception_fp_ieee_underflow 0
		.amdhsa_exception_fp_ieee_inexact 0
		.amdhsa_exception_int_div_zero 0
	.end_amdhsa_kernel
	.section	.text._ZN9rocsparseL29gtsv_spike_block_level_kernelILj256ELj64EdEEviiiPT1_PKS1_S4_S2_S2_S2_S2_S2_,"axG",@progbits,_ZN9rocsparseL29gtsv_spike_block_level_kernelILj256ELj64EdEEviiiPT1_PKS1_S4_S2_S2_S2_S2_S2_,comdat
.Lfunc_end154:
	.size	_ZN9rocsparseL29gtsv_spike_block_level_kernelILj256ELj64EdEEviiiPT1_PKS1_S4_S2_S2_S2_S2_S2_, .Lfunc_end154-_ZN9rocsparseL29gtsv_spike_block_level_kernelILj256ELj64EdEEviiiPT1_PKS1_S4_S2_S2_S2_S2_S2_
                                        ; -- End function
	.set _ZN9rocsparseL29gtsv_spike_block_level_kernelILj256ELj64EdEEviiiPT1_PKS1_S4_S2_S2_S2_S2_S2_.num_vgpr, 42
	.set _ZN9rocsparseL29gtsv_spike_block_level_kernelILj256ELj64EdEEviiiPT1_PKS1_S4_S2_S2_S2_S2_S2_.num_agpr, 0
	.set _ZN9rocsparseL29gtsv_spike_block_level_kernelILj256ELj64EdEEviiiPT1_PKS1_S4_S2_S2_S2_S2_S2_.numbered_sgpr, 24
	.set _ZN9rocsparseL29gtsv_spike_block_level_kernelILj256ELj64EdEEviiiPT1_PKS1_S4_S2_S2_S2_S2_S2_.num_named_barrier, 0
	.set _ZN9rocsparseL29gtsv_spike_block_level_kernelILj256ELj64EdEEviiiPT1_PKS1_S4_S2_S2_S2_S2_S2_.private_seg_size, 0
	.set _ZN9rocsparseL29gtsv_spike_block_level_kernelILj256ELj64EdEEviiiPT1_PKS1_S4_S2_S2_S2_S2_S2_.uses_vcc, 1
	.set _ZN9rocsparseL29gtsv_spike_block_level_kernelILj256ELj64EdEEviiiPT1_PKS1_S4_S2_S2_S2_S2_S2_.uses_flat_scratch, 0
	.set _ZN9rocsparseL29gtsv_spike_block_level_kernelILj256ELj64EdEEviiiPT1_PKS1_S4_S2_S2_S2_S2_S2_.has_dyn_sized_stack, 0
	.set _ZN9rocsparseL29gtsv_spike_block_level_kernelILj256ELj64EdEEviiiPT1_PKS1_S4_S2_S2_S2_S2_S2_.has_recursion, 0
	.set _ZN9rocsparseL29gtsv_spike_block_level_kernelILj256ELj64EdEEviiiPT1_PKS1_S4_S2_S2_S2_S2_S2_.has_indirect_call, 0
	.section	.AMDGPU.csdata,"",@progbits
; Kernel info:
; codeLenInByte = 4220
; TotalNumSgprs: 28
; NumVgprs: 42
; ScratchSize: 0
; MemoryBound: 0
; FloatMode: 240
; IeeeMode: 1
; LDSByteSize: 12288 bytes/workgroup (compile time only)
; SGPRBlocks: 12
; VGPRBlocks: 10
; NumSGPRsForWavesPerEU: 102
; NumVGPRsForWavesPerEU: 42
; Occupancy: 5
; WaveLimiterHint : 0
; COMPUTE_PGM_RSRC2:SCRATCH_EN: 0
; COMPUTE_PGM_RSRC2:USER_SGPR: 6
; COMPUTE_PGM_RSRC2:TRAP_HANDLER: 0
; COMPUTE_PGM_RSRC2:TGID_X_EN: 1
; COMPUTE_PGM_RSRC2:TGID_Y_EN: 1
; COMPUTE_PGM_RSRC2:TGID_Z_EN: 0
; COMPUTE_PGM_RSRC2:TIDIG_COMP_CNT: 0
	.section	.text._ZN9rocsparseL33gtsv_solve_spike_propagate_kernelILj256ELj64EdEEviiiPT1_PKS1_S4_S4_,"axG",@progbits,_ZN9rocsparseL33gtsv_solve_spike_propagate_kernelILj256ELj64EdEEviiiPT1_PKS1_S4_S4_,comdat
	.globl	_ZN9rocsparseL33gtsv_solve_spike_propagate_kernelILj256ELj64EdEEviiiPT1_PKS1_S4_S4_ ; -- Begin function _ZN9rocsparseL33gtsv_solve_spike_propagate_kernelILj256ELj64EdEEviiiPT1_PKS1_S4_S4_
	.p2align	8
	.type	_ZN9rocsparseL33gtsv_solve_spike_propagate_kernelILj256ELj64EdEEviiiPT1_PKS1_S4_S4_,@function
_ZN9rocsparseL33gtsv_solve_spike_propagate_kernelILj256ELj64EdEEviiiPT1_PKS1_S4_S4_: ; @_ZN9rocsparseL33gtsv_solve_spike_propagate_kernelILj256ELj64EdEEviiiPT1_PKS1_S4_S4_
; %bb.0:
	s_load_dword s10, s[4:5], 0x0
	v_lshl_or_b32 v1, s6, 8, v0
	v_mov_b32_e32 v3, 0
	v_mov_b32_e32 v5, 0
	;; [unrolled: 1-line block ×3, first 2 shown]
	s_waitcnt lgkmcnt(0)
	s_lshr_b32 s14, s10, 6
	v_cmp_le_i32_e64 s[0:1], s14, v1
	v_cmp_gt_i32_e32 vcc, s14, v1
	v_mov_b32_e32 v6, 0
	v_ashrrev_i32_e32 v2, 31, v1
	s_and_saveexec_b64 s[8:9], vcc
	s_cbranch_execz .LBB155_2
; %bb.1:
	s_load_dwordx2 s[12:13], s[4:5], 0x18
	v_lshlrev_b64 v[3:4], 3, v[1:2]
	v_mad_u64_u32 v[5:6], s[2:3], s14, 63, v[1:2]
	s_waitcnt lgkmcnt(0)
	v_mov_b32_e32 v6, s13
	v_add_co_u32_e64 v7, s[2:3], s12, v3
	v_addc_co_u32_e64 v8, s[2:3], v6, v4, s[2:3]
	v_mov_b32_e32 v6, 0
	v_lshlrev_b64 v[3:4], 3, v[5:6]
	v_mov_b32_e32 v5, s13
	v_add_co_u32_e64 v9, s[2:3], s12, v3
	v_addc_co_u32_e64 v10, s[2:3], v5, v4, s[2:3]
	global_load_dwordx2 v[3:4], v[7:8], off
	global_load_dwordx2 v[5:6], v[9:10], off
.LBB155_2:
	s_or_b64 exec, exec, s[8:9]
	s_load_dwordx2 s[2:3], s[4:5], 0x10
	v_lshlrev_b32_e32 v7, 3, v0
	v_add_u32_e32 v8, 16, v7
	s_waitcnt vmcnt(0)
	ds_write2st64_b64 v8, v[3:4], v[5:6] offset0:16 offset1:20
	s_and_saveexec_b64 s[8:9], s[0:1]
	s_xor_b64 s[0:1], exec, s[8:9]
; %bb.3:
	s_mov_b32 s8, 0
	s_mov_b32 s9, s8
	v_mov_b32_e32 v2, s8
	v_mov_b32_e32 v3, s9
	ds_write2st64_b64 v8, v[2:3], v[2:3] offset0:8 offset1:12
; %bb.4:
	s_or_saveexec_b64 s[8:9], s[0:1]
	v_mov_b32_e32 v3, 0
	v_mov_b32_e32 v5, 0
	v_mov_b32_e32 v4, 0
	v_mov_b32_e32 v6, 0
	s_mul_i32 s10, s10, s7
	s_xor_b64 exec, exec, s[8:9]
	s_cbranch_execz .LBB155_6
; %bb.5:
	s_load_dwordx2 s[12:13], s[4:5], 0x20
	v_mad_u64_u32 v[8:9], s[0:1], s14, 63, v[1:2]
	v_lshlrev_b64 v[5:6], 3, v[1:2]
	v_mov_b32_e32 v9, 0
	s_waitcnt lgkmcnt(0)
	v_mov_b32_e32 v2, s13
	v_add_co_u32_e64 v5, s[0:1], s12, v5
	v_lshlrev_b64 v[10:11], 3, v[8:9]
	v_addc_co_u32_e64 v6, s[0:1], v2, v6, s[0:1]
	v_add_co_u32_e64 v10, s[0:1], s12, v10
	v_add_u32_e32 v8, s10, v8
	v_addc_co_u32_e64 v11, s[0:1], v2, v11, s[0:1]
	global_load_dwordx2 v[12:13], v[5:6], off
	global_load_dwordx2 v[14:15], v[10:11], off
	v_lshlrev_b64 v[5:6], 3, v[8:9]
	v_mov_b32_e32 v2, s3
	v_add_co_u32_e64 v5, s[0:1], s2, v5
	v_addc_co_u32_e64 v6, s[0:1], v2, v6, s[0:1]
	global_load_dwordx2 v[5:6], v[5:6], off
	v_add_u32_e32 v2, 16, v7
	s_waitcnt vmcnt(1)
	ds_write2st64_b64 v2, v[12:13], v[14:15] offset0:8 offset1:12
.LBB155_6:
	s_or_b64 exec, exec, s[8:9]
	v_add_u32_e32 v1, s10, v1
	s_waitcnt vmcnt(0)
	ds_write_b64 v7, v[5:6] offset:8
	s_and_saveexec_b64 s[8:9], vcc
	s_cbranch_execz .LBB155_8
; %bb.7:
	v_ashrrev_i32_e32 v2, 31, v1
	v_lshlrev_b64 v[2:3], 3, v[1:2]
	s_waitcnt lgkmcnt(0)
	v_mov_b32_e32 v4, s3
	v_add_co_u32_e64 v2, s[0:1], s2, v2
	v_addc_co_u32_e64 v3, s[0:1], v4, v3, s[0:1]
	global_load_dwordx2 v[3:4], v[2:3], off
.LBB155_8:
	s_or_b64 exec, exec, s[8:9]
	v_cmp_eq_u32_e64 s[0:1], 0, v0
	s_waitcnt vmcnt(0)
	ds_write_b64 v7, v[3:4] offset:2056
	s_waitcnt lgkmcnt(0)
	s_barrier
	s_and_saveexec_b64 s[8:9], s[0:1]
	s_cbranch_execz .LBB155_14
; %bb.9:
	s_load_dword s15, s[4:5], 0x30
	s_load_dwordx2 s[10:11], s[4:5], 0x28
	s_cmp_lt_i32 s6, 1
	s_mov_b64 s[4:5], 0
	s_mov_b64 s[12:13], 0
	s_waitcnt lgkmcnt(0)
	s_mul_i32 s7, s7, s15
	s_cbranch_scc1 .LBB155_11
; %bb.10:
	s_lshl_b32 s12, s7, 1
	s_add_i32 s13, s6, s15
	s_add_i32 s12, s13, s12
	s_add_i32 s12, s12, -1
	s_mov_b32 s13, 0
	s_lshl_b64 s[12:13], s[12:13], 3
	s_add_u32 s12, s10, s12
	s_addc_u32 s13, s11, s13
	s_load_dwordx2 s[12:13], s[12:13], 0x0
.LBB155_11:
	s_waitcnt lgkmcnt(0)
	v_mov_b32_e32 v3, s12
	v_mov_b32_e32 v4, s13
	s_add_i32 s12, s15, -1
	v_mov_b32_e32 v2, 0
	s_cmp_ge_u32 s6, s12
	ds_write_b64 v2, v[3:4]
	s_cbranch_scc1 .LBB155_13
; %bb.12:
	s_lshl_b32 s4, s7, 1
	s_add_i32 s4, s6, s4
	s_add_i32 s4, s4, 1
	s_mov_b32 s5, 0
	s_lshl_b64 s[4:5], s[4:5], 3
	s_add_u32 s4, s10, s4
	s_addc_u32 s5, s11, s5
	s_load_dwordx2 s[4:5], s[4:5], 0x0
.LBB155_13:
	s_lshl_b32 s7, s7, 1
	s_add_i32 s6, s7, s6
	s_mov_b32 s7, 0
	s_lshl_b64 s[12:13], s[6:7], 3
	s_add_u32 s12, s10, s12
	s_addc_u32 s13, s11, s13
	s_add_i32 s6, s6, s15
	s_lshl_b64 s[6:7], s[6:7], 3
	s_add_u32 s6, s10, s6
	s_addc_u32 s7, s11, s7
	s_load_dwordx2 s[10:11], s[6:7], 0x0
	s_load_dwordx2 s[16:17], s[12:13], 0x0
	s_waitcnt lgkmcnt(0)
	v_mov_b32_e32 v3, s4
	v_mov_b32_e32 v4, s5
	ds_write_b64 v2, v[3:4] offset:4104
	v_mov_b32_e32 v3, s10
	v_mov_b32_e32 v4, s11
	;; [unrolled: 1-line block ×4, first 2 shown]
	ds_write_b128 v2, v[3:6] offset:2048
.LBB155_14:
	s_or_b64 exec, exec, s[8:9]
	s_waitcnt lgkmcnt(0)
	s_barrier
	s_and_saveexec_b64 s[4:5], s[0:1]
	s_cbranch_execz .LBB155_16
; %bb.15:
	s_movk_i32 s0, 0x1410
	v_mov_b32_e32 v6, 0
	v_add_u32_e64 v12, s0, 0
	v_add_u32_e64 v8, 8, 0
	ds_read2st64_b64 v[2:5], v6 offset1:2
	ds_read2st64_b64 v[8:11], v8 offset0:6 offset1:8
	ds_read2_b64 v[12:15], v12 offset1:255
	s_movk_i32 s0, 0x2410
	s_waitcnt lgkmcnt(0)
	v_fma_f64 v[4:5], -v[14:15], v[10:11], v[4:5]
	v_fma_f64 v[12:13], -v[12:13], v[10:11], v[8:9]
	v_add_u32_e64 v8, s0, 0
	ds_read2_b64 v[8:11], v8 offset1:255
	s_waitcnt lgkmcnt(0)
	v_fma_f64 v[4:5], -v[10:11], v[2:3], v[4:5]
	v_fma_f64 v[2:3], -v[8:9], v[2:3], v[12:13]
	ds_write_b64 v6, v[4:5] offset:1024
	ds_write_b64 v6, v[2:3] offset:3080
.LBB155_16:
	s_or_b64 exec, exec, s[4:5]
	v_cmp_gt_u32_e64 s[0:1], 2, v0
	s_waitcnt lgkmcnt(0)
	s_barrier
	s_and_saveexec_b64 s[4:5], s[0:1]
	s_cbranch_execz .LBB155_18
; %bb.17:
	s_movk_i32 s0, 0x3f8
	v_mad_u32_u24 v6, v0, s0, v7
	v_lshlrev_b32_e32 v16, 10, v0
	v_add_u32_e32 v8, 0x1210, v16
	v_add_u32_e32 v12, 8, v6
	ds_read2st64_b64 v[2:5], v6 offset1:1
	ds_read2_b64 v[8:11], v8 offset1:255
	ds_read2st64_b64 v[12:15], v12 offset0:5 offset1:6
	s_waitcnt lgkmcnt(0)
	v_fma_f64 v[4:5], -v[10:11], v[14:15], v[4:5]
	v_fma_f64 v[12:13], -v[8:9], v[14:15], v[12:13]
	v_add_u32_e32 v8, 0x2210, v16
	ds_read2_b64 v[8:11], v8 offset1:255
	s_waitcnt lgkmcnt(0)
	v_fma_f64 v[4:5], -v[10:11], v[2:3], v[4:5]
	v_fma_f64 v[2:3], -v[8:9], v[2:3], v[12:13]
	ds_write_b64 v6, v[4:5] offset:512
	ds_write_b64 v6, v[2:3] offset:2568
.LBB155_18:
	s_or_b64 exec, exec, s[4:5]
	v_cmp_gt_u32_e64 s[0:1], 4, v0
	s_waitcnt lgkmcnt(0)
	s_barrier
	s_and_saveexec_b64 s[4:5], s[0:1]
	s_cbranch_execz .LBB155_20
; %bb.19:
	v_lshlrev_b32_e32 v6, 9, v0
	v_add_u32_e32 v8, 0x1110, v6
	v_add_u32_e32 v12, 0x800, v6
	ds_read2_b64 v[2:5], v6 offset1:32
	ds_read2_b64 v[8:11], v8 offset1:255
	ds_read2_b64 v[12:15], v12 offset0:33 offset1:65
	s_waitcnt lgkmcnt(0)
	v_fma_f64 v[4:5], -v[10:11], v[14:15], v[4:5]
	v_fma_f64 v[12:13], -v[8:9], v[14:15], v[12:13]
	v_add_u32_e32 v8, 0x2110, v6
	ds_read2_b64 v[8:11], v8 offset1:255
	s_waitcnt lgkmcnt(0)
	v_fma_f64 v[4:5], -v[10:11], v[2:3], v[4:5]
	v_fma_f64 v[2:3], -v[8:9], v[2:3], v[12:13]
	ds_write_b64 v6, v[4:5] offset:256
	ds_write_b64 v6, v[2:3] offset:2312
.LBB155_20:
	s_or_b64 exec, exec, s[4:5]
	v_cmp_gt_u32_e64 s[0:1], 8, v0
	s_waitcnt lgkmcnt(0)
	s_barrier
	s_and_saveexec_b64 s[4:5], s[0:1]
	s_cbranch_execz .LBB155_22
; %bb.21:
	v_lshlrev_b32_e32 v6, 8, v0
	v_add_u32_e32 v8, 0x1090, v6
	v_add_u32_e32 v12, 0x800, v6
	ds_read2_b64 v[2:5], v6 offset1:16
	ds_read2_b64 v[8:11], v8 offset1:255
	ds_read2_b64 v[12:15], v12 offset0:17 offset1:33
	s_waitcnt lgkmcnt(0)
	v_fma_f64 v[4:5], -v[10:11], v[14:15], v[4:5]
	v_fma_f64 v[12:13], -v[8:9], v[14:15], v[12:13]
	v_add_u32_e32 v8, 0x2090, v6
	ds_read2_b64 v[8:11], v8 offset1:255
	s_waitcnt lgkmcnt(0)
	v_fma_f64 v[4:5], -v[10:11], v[2:3], v[4:5]
	v_fma_f64 v[2:3], -v[8:9], v[2:3], v[12:13]
	ds_write_b64 v6, v[4:5] offset:128
	ds_write_b64 v6, v[2:3] offset:2184
.LBB155_22:
	;; [unrolled: 24-line block ×5, first 2 shown]
	s_or_b64 exec, exec, s[4:5]
	s_movk_i32 s0, 0x80
	v_cmp_gt_u32_e64 s[0:1], s0, v0
	s_waitcnt lgkmcnt(0)
	s_barrier
	s_and_saveexec_b64 s[4:5], s[0:1]
	s_cbranch_execz .LBB155_30
; %bb.29:
	v_lshlrev_b32_e32 v0, 4, v0
	v_add_u32_e32 v6, 0x1018, v0
	ds_read_b128 v[2:5], v0
	ds_read_b128 v[8:11], v0 offset:2064
	ds_read2_b64 v[12:15], v6 offset1:255
	v_add_u32_e32 v6, 0x2018, v0
	s_waitcnt lgkmcnt(0)
	v_fma_f64 v[4:5], -v[14:15], v[10:11], v[4:5]
	v_fma_f64 v[12:13], -v[12:13], v[10:11], v[8:9]
	ds_read2_b64 v[8:11], v6 offset1:255
	s_waitcnt lgkmcnt(0)
	v_fma_f64 v[4:5], -v[10:11], v[2:3], v[4:5]
	v_fma_f64 v[2:3], -v[8:9], v[2:3], v[12:13]
	ds_write_b64 v0, v[4:5] offset:8
	ds_write_b64 v0, v[2:3] offset:2064
.LBB155_30:
	s_or_b64 exec, exec, s[4:5]
	s_waitcnt lgkmcnt(0)
	s_barrier
	s_and_saveexec_b64 s[0:1], vcc
	s_cbranch_execz .LBB155_32
; %bb.31:
	v_add_u32_e32 v0, 8, v7
	ds_read2st64_b64 v[3:6], v0 offset1:4
	v_ashrrev_i32_e32 v2, 31, v1
	v_lshlrev_b64 v[7:8], 3, v[1:2]
	v_mov_b32_e32 v2, s3
	v_mad_u64_u32 v[0:1], s[0:1], s14, 63, v[1:2]
	v_add_co_u32_e32 v1, vcc, s2, v7
	v_addc_co_u32_e32 v2, vcc, v2, v8, vcc
	s_waitcnt lgkmcnt(0)
	global_store_dwordx2 v[1:2], v[5:6], off
	v_mov_b32_e32 v1, 0
	v_lshlrev_b64 v[0:1], 3, v[0:1]
	v_mov_b32_e32 v2, s3
	v_add_co_u32_e32 v0, vcc, s2, v0
	v_addc_co_u32_e32 v1, vcc, v2, v1, vcc
	global_store_dwordx2 v[0:1], v[3:4], off
.LBB155_32:
	s_endpgm
	.section	.rodata,"a",@progbits
	.p2align	6, 0x0
	.amdhsa_kernel _ZN9rocsparseL33gtsv_solve_spike_propagate_kernelILj256ELj64EdEEviiiPT1_PKS1_S4_S4_
		.amdhsa_group_segment_fixed_size 12304
		.amdhsa_private_segment_fixed_size 0
		.amdhsa_kernarg_size 304
		.amdhsa_user_sgpr_count 6
		.amdhsa_user_sgpr_private_segment_buffer 1
		.amdhsa_user_sgpr_dispatch_ptr 0
		.amdhsa_user_sgpr_queue_ptr 0
		.amdhsa_user_sgpr_kernarg_segment_ptr 1
		.amdhsa_user_sgpr_dispatch_id 0
		.amdhsa_user_sgpr_flat_scratch_init 0
		.amdhsa_user_sgpr_private_segment_size 0
		.amdhsa_uses_dynamic_stack 0
		.amdhsa_system_sgpr_private_segment_wavefront_offset 0
		.amdhsa_system_sgpr_workgroup_id_x 1
		.amdhsa_system_sgpr_workgroup_id_y 1
		.amdhsa_system_sgpr_workgroup_id_z 0
		.amdhsa_system_sgpr_workgroup_info 0
		.amdhsa_system_vgpr_workitem_id 0
		.amdhsa_next_free_vgpr 41
		.amdhsa_next_free_sgpr 98
		.amdhsa_reserve_vcc 1
		.amdhsa_reserve_flat_scratch 0
		.amdhsa_float_round_mode_32 0
		.amdhsa_float_round_mode_16_64 0
		.amdhsa_float_denorm_mode_32 3
		.amdhsa_float_denorm_mode_16_64 3
		.amdhsa_dx10_clamp 1
		.amdhsa_ieee_mode 1
		.amdhsa_fp16_overflow 0
		.amdhsa_exception_fp_ieee_invalid_op 0
		.amdhsa_exception_fp_denorm_src 0
		.amdhsa_exception_fp_ieee_div_zero 0
		.amdhsa_exception_fp_ieee_overflow 0
		.amdhsa_exception_fp_ieee_underflow 0
		.amdhsa_exception_fp_ieee_inexact 0
		.amdhsa_exception_int_div_zero 0
	.end_amdhsa_kernel
	.section	.text._ZN9rocsparseL33gtsv_solve_spike_propagate_kernelILj256ELj64EdEEviiiPT1_PKS1_S4_S4_,"axG",@progbits,_ZN9rocsparseL33gtsv_solve_spike_propagate_kernelILj256ELj64EdEEviiiPT1_PKS1_S4_S4_,comdat
.Lfunc_end155:
	.size	_ZN9rocsparseL33gtsv_solve_spike_propagate_kernelILj256ELj64EdEEviiiPT1_PKS1_S4_S4_, .Lfunc_end155-_ZN9rocsparseL33gtsv_solve_spike_propagate_kernelILj256ELj64EdEEviiiPT1_PKS1_S4_S4_
                                        ; -- End function
	.set _ZN9rocsparseL33gtsv_solve_spike_propagate_kernelILj256ELj64EdEEviiiPT1_PKS1_S4_S4_.num_vgpr, 17
	.set _ZN9rocsparseL33gtsv_solve_spike_propagate_kernelILj256ELj64EdEEviiiPT1_PKS1_S4_S4_.num_agpr, 0
	.set _ZN9rocsparseL33gtsv_solve_spike_propagate_kernelILj256ELj64EdEEviiiPT1_PKS1_S4_S4_.numbered_sgpr, 18
	.set _ZN9rocsparseL33gtsv_solve_spike_propagate_kernelILj256ELj64EdEEviiiPT1_PKS1_S4_S4_.num_named_barrier, 0
	.set _ZN9rocsparseL33gtsv_solve_spike_propagate_kernelILj256ELj64EdEEviiiPT1_PKS1_S4_S4_.private_seg_size, 0
	.set _ZN9rocsparseL33gtsv_solve_spike_propagate_kernelILj256ELj64EdEEviiiPT1_PKS1_S4_S4_.uses_vcc, 1
	.set _ZN9rocsparseL33gtsv_solve_spike_propagate_kernelILj256ELj64EdEEviiiPT1_PKS1_S4_S4_.uses_flat_scratch, 0
	.set _ZN9rocsparseL33gtsv_solve_spike_propagate_kernelILj256ELj64EdEEviiiPT1_PKS1_S4_S4_.has_dyn_sized_stack, 0
	.set _ZN9rocsparseL33gtsv_solve_spike_propagate_kernelILj256ELj64EdEEviiiPT1_PKS1_S4_S4_.has_recursion, 0
	.set _ZN9rocsparseL33gtsv_solve_spike_propagate_kernelILj256ELj64EdEEviiiPT1_PKS1_S4_S4_.has_indirect_call, 0
	.section	.AMDGPU.csdata,"",@progbits
; Kernel info:
; codeLenInByte = 2036
; TotalNumSgprs: 22
; NumVgprs: 17
; ScratchSize: 0
; MemoryBound: 0
; FloatMode: 240
; IeeeMode: 1
; LDSByteSize: 12304 bytes/workgroup (compile time only)
; SGPRBlocks: 12
; VGPRBlocks: 10
; NumSGPRsForWavesPerEU: 102
; NumVGPRsForWavesPerEU: 41
; Occupancy: 5
; WaveLimiterHint : 0
; COMPUTE_PGM_RSRC2:SCRATCH_EN: 0
; COMPUTE_PGM_RSRC2:USER_SGPR: 6
; COMPUTE_PGM_RSRC2:TRAP_HANDLER: 0
; COMPUTE_PGM_RSRC2:TGID_X_EN: 1
; COMPUTE_PGM_RSRC2:TGID_Y_EN: 1
; COMPUTE_PGM_RSRC2:TGID_Z_EN: 0
; COMPUTE_PGM_RSRC2:TIDIG_COMP_CNT: 0
	.section	.text._ZN9rocsparseL39gtsv_spike_backward_substitution_kernelILj256ELj64EdEEviiiPT1_PKS1_S4_,"axG",@progbits,_ZN9rocsparseL39gtsv_spike_backward_substitution_kernelILj256ELj64EdEEviiiPT1_PKS1_S4_,comdat
	.globl	_ZN9rocsparseL39gtsv_spike_backward_substitution_kernelILj256ELj64EdEEviiiPT1_PKS1_S4_ ; -- Begin function _ZN9rocsparseL39gtsv_spike_backward_substitution_kernelILj256ELj64EdEEviiiPT1_PKS1_S4_
	.p2align	8
	.type	_ZN9rocsparseL39gtsv_spike_backward_substitution_kernelILj256ELj64EdEEviiiPT1_PKS1_S4_,@function
_ZN9rocsparseL39gtsv_spike_backward_substitution_kernelILj256ELj64EdEEviiiPT1_PKS1_S4_: ; @_ZN9rocsparseL39gtsv_spike_backward_substitution_kernelILj256ELj64EdEEviiiPT1_PKS1_S4_
; %bb.0:
	s_load_dword s12, s[4:5], 0x0
	s_lshl_b32 s6, s6, 8
	v_or_b32_e32 v5, s6, v0
	s_waitcnt lgkmcnt(0)
	s_lshr_b32 s10, s12, 6
	v_cmp_gt_i32_e32 vcc, s10, v5
	s_and_saveexec_b64 s[0:1], vcc
	s_cbranch_execz .LBB156_7
; %bb.1:
	s_load_dwordx2 s[8:9], s[4:5], 0x10
	v_mov_b32_e32 v1, 0
	v_cmp_lt_i32_e32 vcc, 0, v5
	v_mov_b32_e32 v2, 0
	s_mul_i32 s11, s12, s7
	s_and_saveexec_b64 s[0:1], vcc
	s_cbranch_execz .LBB156_3
; %bb.2:
	s_mul_i32 s2, s10, 63
	s_mul_i32 s3, s12, s7
	s_add_i32 s2, s2, s3
	v_add3_u32 v1, v5, s2, -1
	v_mov_b32_e32 v2, 0
	v_lshlrev_b64 v[1:2], 3, v[1:2]
	s_waitcnt lgkmcnt(0)
	v_mov_b32_e32 v3, s9
	v_add_co_u32_e32 v1, vcc, s8, v1
	v_addc_co_u32_e32 v2, vcc, v3, v2, vcc
	global_load_dwordx2 v[1:2], v[1:2], off
.LBB156_3:
	s_or_b64 exec, exec, s[0:1]
	s_load_dwordx4 s[0:3], s[4:5], 0x18
	v_add_u32_e32 v3, 64, v5
	v_cmp_le_u32_e32 vcc, s12, v3
	s_and_saveexec_b64 s[4:5], vcc
	s_xor_b64 s[4:5], exec, s[4:5]
	s_or_saveexec_b64 s[4:5], s[4:5]
	v_mov_b32_e32 v3, 0
	v_mov_b32_e32 v4, 0
	;; [unrolled: 1-line block ×3, first 2 shown]
	s_xor_b64 exec, exec, s[4:5]
	s_cbranch_execz .LBB156_5
; %bb.4:
	s_ashr_i32 s7, s11, 31
	v_ashrrev_i32_e32 v4, 31, v5
	v_mov_b32_e32 v6, s7
	v_add_co_u32_e32 v3, vcc, s11, v5
	v_addc_co_u32_e32 v4, vcc, v4, v6, vcc
	v_lshlrev_b64 v[3:4], 3, v[3:4]
	s_waitcnt lgkmcnt(0)
	v_mov_b32_e32 v6, s9
	v_add_co_u32_e32 v3, vcc, s8, v3
	v_addc_co_u32_e32 v4, vcc, v6, v4, vcc
	global_load_dwordx2 v[3:4], v[3:4], off offset:8
	v_mov_b32_e32 v9, s11
.LBB156_5:
	s_or_b64 exec, exec, s[4:5]
	s_lshl_b32 s4, s10, 1
	s_add_i32 s6, s6, s10
	v_add_u32_e32 v5, s4, v5
	v_add_u32_e32 v7, s6, v0
	s_mov_b32 s5, 62
	s_waitcnt lgkmcnt(0)
	v_mov_b32_e32 v0, s9
	v_mov_b32_e32 v10, s1
	;; [unrolled: 1-line block ×3, first 2 shown]
.LBB156_6:                              ; =>This Inner Loop Header: Depth=1
	v_ashrrev_i32_e32 v8, 31, v7
	v_lshlrev_b64 v[14:15], 3, v[7:8]
	v_add_u32_e32 v12, v9, v7
	v_add_co_u32_e32 v16, vcc, s0, v14
	v_ashrrev_i32_e32 v13, 31, v12
	v_addc_co_u32_e32 v17, vcc, v10, v15, vcc
	v_lshlrev_b64 v[12:13], 3, v[12:13]
	v_add_co_u32_e32 v14, vcc, s2, v14
	v_addc_co_u32_e32 v15, vcc, v11, v15, vcc
	v_add_co_u32_e32 v12, vcc, s8, v12
	v_addc_co_u32_e32 v13, vcc, v0, v13, vcc
	global_load_dwordx2 v[18:19], v[16:17], off
	global_load_dwordx2 v[20:21], v[12:13], off
	global_load_dwordx2 v[22:23], v[14:15], off
	v_ashrrev_i32_e32 v6, 31, v5
	v_add_u32_e32 v16, v9, v5
	v_ashrrev_i32_e32 v17, 31, v16
	v_lshlrev_b64 v[16:17], 3, v[16:17]
	s_add_i32 s5, s5, -2
	v_add_u32_e32 v7, s4, v7
	s_cmp_lg_u32 s5, 0
	s_waitcnt vmcnt(1)
	v_fma_f64 v[14:15], -v[1:2], v[18:19], v[20:21]
	v_lshlrev_b64 v[18:19], 3, v[5:6]
	v_add_u32_e32 v5, s4, v5
	s_waitcnt vmcnt(0)
	v_fma_f64 v[14:15], -v[3:4], v[22:23], v[14:15]
	global_store_dwordx2 v[12:13], v[14:15], off
	v_add_co_u32_e32 v12, vcc, s0, v18
	v_addc_co_u32_e32 v13, vcc, v10, v19, vcc
	v_add_co_u32_e32 v14, vcc, s2, v18
	v_addc_co_u32_e32 v15, vcc, v11, v19, vcc
	;; [unrolled: 2-line block ×3, first 2 shown]
	global_load_dwordx2 v[18:19], v[12:13], off
	global_load_dwordx2 v[20:21], v[16:17], off
	;; [unrolled: 1-line block ×3, first 2 shown]
	s_waitcnt vmcnt(1)
	v_fma_f64 v[12:13], -v[1:2], v[18:19], v[20:21]
	s_waitcnt vmcnt(0)
	v_fma_f64 v[12:13], -v[3:4], v[22:23], v[12:13]
	global_store_dwordx2 v[16:17], v[12:13], off
	s_cbranch_scc1 .LBB156_6
.LBB156_7:
	s_endpgm
	.section	.rodata,"a",@progbits
	.p2align	6, 0x0
	.amdhsa_kernel _ZN9rocsparseL39gtsv_spike_backward_substitution_kernelILj256ELj64EdEEviiiPT1_PKS1_S4_
		.amdhsa_group_segment_fixed_size 0
		.amdhsa_private_segment_fixed_size 0
		.amdhsa_kernarg_size 40
		.amdhsa_user_sgpr_count 6
		.amdhsa_user_sgpr_private_segment_buffer 1
		.amdhsa_user_sgpr_dispatch_ptr 0
		.amdhsa_user_sgpr_queue_ptr 0
		.amdhsa_user_sgpr_kernarg_segment_ptr 1
		.amdhsa_user_sgpr_dispatch_id 0
		.amdhsa_user_sgpr_flat_scratch_init 0
		.amdhsa_user_sgpr_private_segment_size 0
		.amdhsa_uses_dynamic_stack 0
		.amdhsa_system_sgpr_private_segment_wavefront_offset 0
		.amdhsa_system_sgpr_workgroup_id_x 1
		.amdhsa_system_sgpr_workgroup_id_y 1
		.amdhsa_system_sgpr_workgroup_id_z 0
		.amdhsa_system_sgpr_workgroup_info 0
		.amdhsa_system_vgpr_workitem_id 0
		.amdhsa_next_free_vgpr 24
		.amdhsa_next_free_sgpr 13
		.amdhsa_reserve_vcc 1
		.amdhsa_reserve_flat_scratch 0
		.amdhsa_float_round_mode_32 0
		.amdhsa_float_round_mode_16_64 0
		.amdhsa_float_denorm_mode_32 3
		.amdhsa_float_denorm_mode_16_64 3
		.amdhsa_dx10_clamp 1
		.amdhsa_ieee_mode 1
		.amdhsa_fp16_overflow 0
		.amdhsa_exception_fp_ieee_invalid_op 0
		.amdhsa_exception_fp_denorm_src 0
		.amdhsa_exception_fp_ieee_div_zero 0
		.amdhsa_exception_fp_ieee_overflow 0
		.amdhsa_exception_fp_ieee_underflow 0
		.amdhsa_exception_fp_ieee_inexact 0
		.amdhsa_exception_int_div_zero 0
	.end_amdhsa_kernel
	.section	.text._ZN9rocsparseL39gtsv_spike_backward_substitution_kernelILj256ELj64EdEEviiiPT1_PKS1_S4_,"axG",@progbits,_ZN9rocsparseL39gtsv_spike_backward_substitution_kernelILj256ELj64EdEEviiiPT1_PKS1_S4_,comdat
.Lfunc_end156:
	.size	_ZN9rocsparseL39gtsv_spike_backward_substitution_kernelILj256ELj64EdEEviiiPT1_PKS1_S4_, .Lfunc_end156-_ZN9rocsparseL39gtsv_spike_backward_substitution_kernelILj256ELj64EdEEviiiPT1_PKS1_S4_
                                        ; -- End function
	.set _ZN9rocsparseL39gtsv_spike_backward_substitution_kernelILj256ELj64EdEEviiiPT1_PKS1_S4_.num_vgpr, 24
	.set _ZN9rocsparseL39gtsv_spike_backward_substitution_kernelILj256ELj64EdEEviiiPT1_PKS1_S4_.num_agpr, 0
	.set _ZN9rocsparseL39gtsv_spike_backward_substitution_kernelILj256ELj64EdEEviiiPT1_PKS1_S4_.numbered_sgpr, 13
	.set _ZN9rocsparseL39gtsv_spike_backward_substitution_kernelILj256ELj64EdEEviiiPT1_PKS1_S4_.num_named_barrier, 0
	.set _ZN9rocsparseL39gtsv_spike_backward_substitution_kernelILj256ELj64EdEEviiiPT1_PKS1_S4_.private_seg_size, 0
	.set _ZN9rocsparseL39gtsv_spike_backward_substitution_kernelILj256ELj64EdEEviiiPT1_PKS1_S4_.uses_vcc, 1
	.set _ZN9rocsparseL39gtsv_spike_backward_substitution_kernelILj256ELj64EdEEviiiPT1_PKS1_S4_.uses_flat_scratch, 0
	.set _ZN9rocsparseL39gtsv_spike_backward_substitution_kernelILj256ELj64EdEEviiiPT1_PKS1_S4_.has_dyn_sized_stack, 0
	.set _ZN9rocsparseL39gtsv_spike_backward_substitution_kernelILj256ELj64EdEEviiiPT1_PKS1_S4_.has_recursion, 0
	.set _ZN9rocsparseL39gtsv_spike_backward_substitution_kernelILj256ELj64EdEEviiiPT1_PKS1_S4_.has_indirect_call, 0
	.section	.AMDGPU.csdata,"",@progbits
; Kernel info:
; codeLenInByte = 512
; TotalNumSgprs: 17
; NumVgprs: 24
; ScratchSize: 0
; MemoryBound: 0
; FloatMode: 240
; IeeeMode: 1
; LDSByteSize: 0 bytes/workgroup (compile time only)
; SGPRBlocks: 2
; VGPRBlocks: 5
; NumSGPRsForWavesPerEU: 17
; NumVGPRsForWavesPerEU: 24
; Occupancy: 10
; WaveLimiterHint : 0
; COMPUTE_PGM_RSRC2:SCRATCH_EN: 0
; COMPUTE_PGM_RSRC2:USER_SGPR: 6
; COMPUTE_PGM_RSRC2:TRAP_HANDLER: 0
; COMPUTE_PGM_RSRC2:TGID_X_EN: 1
; COMPUTE_PGM_RSRC2:TGID_Y_EN: 1
; COMPUTE_PGM_RSRC2:TGID_Z_EN: 0
; COMPUTE_PGM_RSRC2:TIDIG_COMP_CNT: 0
	.section	.text._ZN9rocsparseL32gtsv_transpose_back_array_kernelILj256ELj64EdEEviiiPKT1_PS1_,"axG",@progbits,_ZN9rocsparseL32gtsv_transpose_back_array_kernelILj256ELj64EdEEviiiPKT1_PS1_,comdat
	.globl	_ZN9rocsparseL32gtsv_transpose_back_array_kernelILj256ELj64EdEEviiiPKT1_PS1_ ; -- Begin function _ZN9rocsparseL32gtsv_transpose_back_array_kernelILj256ELj64EdEEviiiPKT1_PS1_
	.p2align	8
	.type	_ZN9rocsparseL32gtsv_transpose_back_array_kernelILj256ELj64EdEEviiiPKT1_PS1_,@function
_ZN9rocsparseL32gtsv_transpose_back_array_kernelILj256ELj64EdEEviiiPKT1_PS1_: ; @_ZN9rocsparseL32gtsv_transpose_back_array_kernelILj256ELj64EdEEviiiPKT1_PS1_
; %bb.0:
	s_load_dwordx4 s[0:3], s[4:5], 0x0
	v_lshl_or_b32 v0, s6, 8, v0
	v_lshlrev_b32_e32 v3, 6, v0
	s_waitcnt lgkmcnt(0)
	v_cvt_f32_u32_e32 v1, s1
	s_sub_i32 s3, 0, s1
	v_rcp_iflag_f32_e32 v1, v1
	v_mul_f32_e32 v1, 0x4f7ffffe, v1
	v_cvt_u32_f32_e32 v1, v1
	v_mul_lo_u32 v2, s3, v1
	v_mul_hi_u32 v2, v1, v2
	v_add_u32_e32 v1, v1, v2
	v_mul_hi_u32 v1, v3, v1
	v_mul_lo_u32 v2, v1, s1
	v_add_u32_e32 v4, 1, v1
	v_sub_u32_e32 v2, v3, v2
	v_cmp_le_u32_e32 vcc, s1, v2
	v_cndmask_b32_e32 v1, v1, v4, vcc
	v_subrev_u32_e32 v4, s1, v2
	v_cndmask_b32_e32 v2, v2, v4, vcc
	v_add_u32_e32 v4, 1, v1
	v_cmp_le_u32_e32 vcc, s1, v2
	v_cndmask_b32_e32 v1, v1, v4, vcc
	v_mul_lo_u32 v2, v1, s1
	v_sub_u32_e32 v2, v3, v2
	v_add_u32_e32 v1, v1, v2
	v_cmp_gt_i32_e32 vcc, s0, v1
	s_and_saveexec_b64 s[8:9], vcc
	s_cbranch_execz .LBB157_2
; %bb.1:
	s_load_dwordx4 s[8:11], s[4:5], 0x10
	s_mul_i32 s0, s1, s7
	v_add_u32_e32 v2, s0, v0
	v_ashrrev_i32_e32 v3, 31, v2
	v_lshlrev_b64 v[2:3], 3, v[2:3]
	s_waitcnt lgkmcnt(0)
	v_mov_b32_e32 v0, s9
	v_add_co_u32_e32 v2, vcc, s8, v2
	v_addc_co_u32_e32 v3, vcc, v0, v3, vcc
	global_load_dwordx2 v[2:3], v[2:3], off
	s_mul_i32 s0, s2, s7
	v_add_u32_e32 v0, s0, v1
	v_ashrrev_i32_e32 v1, 31, v0
	v_lshlrev_b64 v[0:1], 3, v[0:1]
	v_mov_b32_e32 v4, s11
	v_add_co_u32_e32 v0, vcc, s10, v0
	v_addc_co_u32_e32 v1, vcc, v4, v1, vcc
	s_waitcnt vmcnt(0)
	global_store_dwordx2 v[0:1], v[2:3], off
.LBB157_2:
	s_endpgm
	.section	.rodata,"a",@progbits
	.p2align	6, 0x0
	.amdhsa_kernel _ZN9rocsparseL32gtsv_transpose_back_array_kernelILj256ELj64EdEEviiiPKT1_PS1_
		.amdhsa_group_segment_fixed_size 0
		.amdhsa_private_segment_fixed_size 0
		.amdhsa_kernarg_size 32
		.amdhsa_user_sgpr_count 6
		.amdhsa_user_sgpr_private_segment_buffer 1
		.amdhsa_user_sgpr_dispatch_ptr 0
		.amdhsa_user_sgpr_queue_ptr 0
		.amdhsa_user_sgpr_kernarg_segment_ptr 1
		.amdhsa_user_sgpr_dispatch_id 0
		.amdhsa_user_sgpr_flat_scratch_init 0
		.amdhsa_user_sgpr_private_segment_size 0
		.amdhsa_uses_dynamic_stack 0
		.amdhsa_system_sgpr_private_segment_wavefront_offset 0
		.amdhsa_system_sgpr_workgroup_id_x 1
		.amdhsa_system_sgpr_workgroup_id_y 1
		.amdhsa_system_sgpr_workgroup_id_z 0
		.amdhsa_system_sgpr_workgroup_info 0
		.amdhsa_system_vgpr_workitem_id 0
		.amdhsa_next_free_vgpr 5
		.amdhsa_next_free_sgpr 12
		.amdhsa_reserve_vcc 1
		.amdhsa_reserve_flat_scratch 0
		.amdhsa_float_round_mode_32 0
		.amdhsa_float_round_mode_16_64 0
		.amdhsa_float_denorm_mode_32 3
		.amdhsa_float_denorm_mode_16_64 3
		.amdhsa_dx10_clamp 1
		.amdhsa_ieee_mode 1
		.amdhsa_fp16_overflow 0
		.amdhsa_exception_fp_ieee_invalid_op 0
		.amdhsa_exception_fp_denorm_src 0
		.amdhsa_exception_fp_ieee_div_zero 0
		.amdhsa_exception_fp_ieee_overflow 0
		.amdhsa_exception_fp_ieee_underflow 0
		.amdhsa_exception_fp_ieee_inexact 0
		.amdhsa_exception_int_div_zero 0
	.end_amdhsa_kernel
	.section	.text._ZN9rocsparseL32gtsv_transpose_back_array_kernelILj256ELj64EdEEviiiPKT1_PS1_,"axG",@progbits,_ZN9rocsparseL32gtsv_transpose_back_array_kernelILj256ELj64EdEEviiiPKT1_PS1_,comdat
.Lfunc_end157:
	.size	_ZN9rocsparseL32gtsv_transpose_back_array_kernelILj256ELj64EdEEviiiPKT1_PS1_, .Lfunc_end157-_ZN9rocsparseL32gtsv_transpose_back_array_kernelILj256ELj64EdEEviiiPKT1_PS1_
                                        ; -- End function
	.set _ZN9rocsparseL32gtsv_transpose_back_array_kernelILj256ELj64EdEEviiiPKT1_PS1_.num_vgpr, 5
	.set _ZN9rocsparseL32gtsv_transpose_back_array_kernelILj256ELj64EdEEviiiPKT1_PS1_.num_agpr, 0
	.set _ZN9rocsparseL32gtsv_transpose_back_array_kernelILj256ELj64EdEEviiiPKT1_PS1_.numbered_sgpr, 12
	.set _ZN9rocsparseL32gtsv_transpose_back_array_kernelILj256ELj64EdEEviiiPKT1_PS1_.num_named_barrier, 0
	.set _ZN9rocsparseL32gtsv_transpose_back_array_kernelILj256ELj64EdEEviiiPKT1_PS1_.private_seg_size, 0
	.set _ZN9rocsparseL32gtsv_transpose_back_array_kernelILj256ELj64EdEEviiiPKT1_PS1_.uses_vcc, 1
	.set _ZN9rocsparseL32gtsv_transpose_back_array_kernelILj256ELj64EdEEviiiPKT1_PS1_.uses_flat_scratch, 0
	.set _ZN9rocsparseL32gtsv_transpose_back_array_kernelILj256ELj64EdEEviiiPKT1_PS1_.has_dyn_sized_stack, 0
	.set _ZN9rocsparseL32gtsv_transpose_back_array_kernelILj256ELj64EdEEviiiPKT1_PS1_.has_recursion, 0
	.set _ZN9rocsparseL32gtsv_transpose_back_array_kernelILj256ELj64EdEEviiiPKT1_PS1_.has_indirect_call, 0
	.section	.AMDGPU.csdata,"",@progbits
; Kernel info:
; codeLenInByte = 248
; TotalNumSgprs: 16
; NumVgprs: 5
; ScratchSize: 0
; MemoryBound: 0
; FloatMode: 240
; IeeeMode: 1
; LDSByteSize: 0 bytes/workgroup (compile time only)
; SGPRBlocks: 1
; VGPRBlocks: 1
; NumSGPRsForWavesPerEU: 16
; NumVGPRsForWavesPerEU: 5
; Occupancy: 10
; WaveLimiterHint : 0
; COMPUTE_PGM_RSRC2:SCRATCH_EN: 0
; COMPUTE_PGM_RSRC2:USER_SGPR: 6
; COMPUTE_PGM_RSRC2:TRAP_HANDLER: 0
; COMPUTE_PGM_RSRC2:TGID_X_EN: 1
; COMPUTE_PGM_RSRC2:TGID_Y_EN: 1
; COMPUTE_PGM_RSRC2:TGID_Z_EN: 0
; COMPUTE_PGM_RSRC2:TIDIG_COMP_CNT: 0
	.section	.text._ZN9rocsparseL42gtsv_transpose_and_pad_array_shared_kernelILj256ELj128EdEEviiiPKT1_PS1_S1_,"axG",@progbits,_ZN9rocsparseL42gtsv_transpose_and_pad_array_shared_kernelILj256ELj128EdEEviiiPKT1_PS1_S1_,comdat
	.globl	_ZN9rocsparseL42gtsv_transpose_and_pad_array_shared_kernelILj256ELj128EdEEviiiPKT1_PS1_S1_ ; -- Begin function _ZN9rocsparseL42gtsv_transpose_and_pad_array_shared_kernelILj256ELj128EdEEviiiPKT1_PS1_S1_
	.p2align	8
	.type	_ZN9rocsparseL42gtsv_transpose_and_pad_array_shared_kernelILj256ELj128EdEEviiiPKT1_PS1_S1_,@function
_ZN9rocsparseL42gtsv_transpose_and_pad_array_shared_kernelILj256ELj128EdEEviiiPKT1_PS1_S1_: ; @_ZN9rocsparseL42gtsv_transpose_and_pad_array_shared_kernelILj256ELj128EdEEviiiPKT1_PS1_S1_
; %bb.0:
	s_load_dwordx4 s[0:3], s[4:5], 0x0
	s_load_dwordx2 s[8:9], s[4:5], 0x20
	v_lshl_or_b32 v3, s6, 8, v0
	s_waitcnt lgkmcnt(0)
	v_cmp_gt_i32_e32 vcc, s0, v3
	v_mov_b32_e32 v1, s8
	v_mov_b32_e32 v2, s9
	s_and_saveexec_b64 s[8:9], vcc
	s_cbranch_execz .LBB158_2
; %bb.1:
	s_load_dwordx2 s[10:11], s[4:5], 0x10
	s_mul_i32 s0, s2, s7
	v_add_u32_e32 v1, s0, v3
	v_ashrrev_i32_e32 v2, 31, v1
	v_lshlrev_b64 v[1:2], 3, v[1:2]
	s_waitcnt lgkmcnt(0)
	v_mov_b32_e32 v3, s11
	v_add_co_u32_e32 v1, vcc, s10, v1
	v_addc_co_u32_e32 v2, vcc, v3, v2, vcc
	global_load_dwordx2 v[1:2], v[1:2], off
.LBB158_2:
	s_or_b64 exec, exec, s[8:9]
	v_lshrrev_b32_e32 v3, 1, v0
	v_and_b32_e32 v4, 1, v0
	v_lshlrev_b32_e32 v0, 3, v0
	s_waitcnt vmcnt(0)
	ds_write_b64 v0, v[1:2]
	s_lshr_b32 s0, s1, 7
	v_lshl_or_b32 v0, s6, 1, v4
	v_mad_u64_u32 v[0:1], s[2:3], s0, v3, v[0:1]
	s_waitcnt lgkmcnt(0)
	s_barrier
	v_cmp_gt_i32_e32 vcc, s1, v0
	s_and_saveexec_b64 s[2:3], vcc
	s_cbranch_execz .LBB158_4
; %bb.3:
	s_load_dwordx2 s[2:3], s[4:5], 0x18
	v_lshlrev_b32_e32 v1, 3, v3
	s_mul_i32 s0, s1, s7
	v_lshl_or_b32 v1, v4, 10, v1
	v_add_u32_e32 v3, s0, v0
	ds_read_b64 v[1:2], v1
	v_ashrrev_i32_e32 v4, 31, v3
	v_lshlrev_b64 v[3:4], 3, v[3:4]
	s_waitcnt lgkmcnt(0)
	v_mov_b32_e32 v0, s3
	v_add_co_u32_e32 v3, vcc, s2, v3
	v_addc_co_u32_e32 v4, vcc, v0, v4, vcc
	global_store_dwordx2 v[3:4], v[1:2], off
.LBB158_4:
	s_endpgm
	.section	.rodata,"a",@progbits
	.p2align	6, 0x0
	.amdhsa_kernel _ZN9rocsparseL42gtsv_transpose_and_pad_array_shared_kernelILj256ELj128EdEEviiiPKT1_PS1_S1_
		.amdhsa_group_segment_fixed_size 2048
		.amdhsa_private_segment_fixed_size 0
		.amdhsa_kernarg_size 40
		.amdhsa_user_sgpr_count 6
		.amdhsa_user_sgpr_private_segment_buffer 1
		.amdhsa_user_sgpr_dispatch_ptr 0
		.amdhsa_user_sgpr_queue_ptr 0
		.amdhsa_user_sgpr_kernarg_segment_ptr 1
		.amdhsa_user_sgpr_dispatch_id 0
		.amdhsa_user_sgpr_flat_scratch_init 0
		.amdhsa_user_sgpr_private_segment_size 0
		.amdhsa_uses_dynamic_stack 0
		.amdhsa_system_sgpr_private_segment_wavefront_offset 0
		.amdhsa_system_sgpr_workgroup_id_x 1
		.amdhsa_system_sgpr_workgroup_id_y 1
		.amdhsa_system_sgpr_workgroup_id_z 0
		.amdhsa_system_sgpr_workgroup_info 0
		.amdhsa_system_vgpr_workitem_id 0
		.amdhsa_next_free_vgpr 5
		.amdhsa_next_free_sgpr 12
		.amdhsa_reserve_vcc 1
		.amdhsa_reserve_flat_scratch 0
		.amdhsa_float_round_mode_32 0
		.amdhsa_float_round_mode_16_64 0
		.amdhsa_float_denorm_mode_32 3
		.amdhsa_float_denorm_mode_16_64 3
		.amdhsa_dx10_clamp 1
		.amdhsa_ieee_mode 1
		.amdhsa_fp16_overflow 0
		.amdhsa_exception_fp_ieee_invalid_op 0
		.amdhsa_exception_fp_denorm_src 0
		.amdhsa_exception_fp_ieee_div_zero 0
		.amdhsa_exception_fp_ieee_overflow 0
		.amdhsa_exception_fp_ieee_underflow 0
		.amdhsa_exception_fp_ieee_inexact 0
		.amdhsa_exception_int_div_zero 0
	.end_amdhsa_kernel
	.section	.text._ZN9rocsparseL42gtsv_transpose_and_pad_array_shared_kernelILj256ELj128EdEEviiiPKT1_PS1_S1_,"axG",@progbits,_ZN9rocsparseL42gtsv_transpose_and_pad_array_shared_kernelILj256ELj128EdEEviiiPKT1_PS1_S1_,comdat
.Lfunc_end158:
	.size	_ZN9rocsparseL42gtsv_transpose_and_pad_array_shared_kernelILj256ELj128EdEEviiiPKT1_PS1_S1_, .Lfunc_end158-_ZN9rocsparseL42gtsv_transpose_and_pad_array_shared_kernelILj256ELj128EdEEviiiPKT1_PS1_S1_
                                        ; -- End function
	.set _ZN9rocsparseL42gtsv_transpose_and_pad_array_shared_kernelILj256ELj128EdEEviiiPKT1_PS1_S1_.num_vgpr, 5
	.set _ZN9rocsparseL42gtsv_transpose_and_pad_array_shared_kernelILj256ELj128EdEEviiiPKT1_PS1_S1_.num_agpr, 0
	.set _ZN9rocsparseL42gtsv_transpose_and_pad_array_shared_kernelILj256ELj128EdEEviiiPKT1_PS1_S1_.numbered_sgpr, 12
	.set _ZN9rocsparseL42gtsv_transpose_and_pad_array_shared_kernelILj256ELj128EdEEviiiPKT1_PS1_S1_.num_named_barrier, 0
	.set _ZN9rocsparseL42gtsv_transpose_and_pad_array_shared_kernelILj256ELj128EdEEviiiPKT1_PS1_S1_.private_seg_size, 0
	.set _ZN9rocsparseL42gtsv_transpose_and_pad_array_shared_kernelILj256ELj128EdEEviiiPKT1_PS1_S1_.uses_vcc, 1
	.set _ZN9rocsparseL42gtsv_transpose_and_pad_array_shared_kernelILj256ELj128EdEEviiiPKT1_PS1_S1_.uses_flat_scratch, 0
	.set _ZN9rocsparseL42gtsv_transpose_and_pad_array_shared_kernelILj256ELj128EdEEviiiPKT1_PS1_S1_.has_dyn_sized_stack, 0
	.set _ZN9rocsparseL42gtsv_transpose_and_pad_array_shared_kernelILj256ELj128EdEEviiiPKT1_PS1_S1_.has_recursion, 0
	.set _ZN9rocsparseL42gtsv_transpose_and_pad_array_shared_kernelILj256ELj128EdEEviiiPKT1_PS1_S1_.has_indirect_call, 0
	.section	.AMDGPU.csdata,"",@progbits
; Kernel info:
; codeLenInByte = 244
; TotalNumSgprs: 16
; NumVgprs: 5
; ScratchSize: 0
; MemoryBound: 0
; FloatMode: 240
; IeeeMode: 1
; LDSByteSize: 2048 bytes/workgroup (compile time only)
; SGPRBlocks: 1
; VGPRBlocks: 1
; NumSGPRsForWavesPerEU: 16
; NumVGPRsForWavesPerEU: 5
; Occupancy: 10
; WaveLimiterHint : 0
; COMPUTE_PGM_RSRC2:SCRATCH_EN: 0
; COMPUTE_PGM_RSRC2:USER_SGPR: 6
; COMPUTE_PGM_RSRC2:TRAP_HANDLER: 0
; COMPUTE_PGM_RSRC2:TGID_X_EN: 1
; COMPUTE_PGM_RSRC2:TGID_Y_EN: 1
; COMPUTE_PGM_RSRC2:TGID_Z_EN: 0
; COMPUTE_PGM_RSRC2:TIDIG_COMP_CNT: 0
	.section	.text._ZN9rocsparseL18gtsv_LBM_wv_kernelILj256ELj128EdEEviiiPKT1_S3_S3_PS1_S4_S4_Pi,"axG",@progbits,_ZN9rocsparseL18gtsv_LBM_wv_kernelILj256ELj128EdEEviiiPKT1_S3_S3_PS1_S4_S4_Pi,comdat
	.globl	_ZN9rocsparseL18gtsv_LBM_wv_kernelILj256ELj128EdEEviiiPKT1_S3_S3_PS1_S4_S4_Pi ; -- Begin function _ZN9rocsparseL18gtsv_LBM_wv_kernelILj256ELj128EdEEviiiPKT1_S3_S3_PS1_S4_S4_Pi
	.p2align	8
	.type	_ZN9rocsparseL18gtsv_LBM_wv_kernelILj256ELj128EdEEviiiPKT1_S3_S3_PS1_S4_S4_Pi,@function
_ZN9rocsparseL18gtsv_LBM_wv_kernelILj256ELj128EdEEviiiPKT1_S3_S3_PS1_S4_S4_Pi: ; @_ZN9rocsparseL18gtsv_LBM_wv_kernelILj256ELj128EdEEviiiPKT1_S3_S3_PS1_S4_S4_Pi
; %bb.0:
	s_load_dword s27, s[4:5], 0x0
	v_lshl_or_b32 v0, s6, 8, v0
	s_waitcnt lgkmcnt(0)
	s_lshr_b32 s26, s27, 7
	v_cmp_gt_i32_e32 vcc, s26, v0
	s_and_saveexec_b64 s[0:1], vcc
	s_cbranch_execz .LBB159_30
; %bb.1:
	s_load_dwordx2 s[16:17], s[4:5], 0x10
	s_load_dwordx8 s[8:15], s[4:5], 0x20
	v_ashrrev_i32_e32 v1, 31, v0
	v_lshlrev_b64 v[4:5], 3, v[0:1]
	s_mul_i32 s28, s26, 0x7f
	s_waitcnt lgkmcnt(0)
	v_mov_b32_e32 v2, s17
	v_add_co_u32_e32 v1, vcc, s16, v4
	v_addc_co_u32_e32 v2, vcc, v2, v5, vcc
	global_load_dwordx2 v[6:7], v[1:2], off
	v_add_u32_e32 v2, s28, v0
	v_mov_b32_e32 v3, 0
	v_lshlrev_b64 v[8:9], 3, v[2:3]
	v_mov_b32_e32 v2, s9
	v_add_co_u32_e32 v1, vcc, s8, v8
	v_addc_co_u32_e32 v2, vcc, v2, v9, vcc
	global_load_dwordx2 v[10:11], v[1:2], off
	s_load_dwordx2 s[6:7], s[4:5], 0x40
	v_mov_b32_e32 v2, s11
	v_add_co_u32_e32 v1, vcc, s10, v4
	v_addc_co_u32_e32 v2, vcc, v2, v5, vcc
	s_cmp_lt_i32 s27, 1
	v_add_u32_e32 v39, s26, v0
	v_mov_b32_e32 v12, s13
	v_add_co_u32_e32 v8, vcc, s12, v8
	v_addc_co_u32_e32 v9, vcc, v12, v9, vcc
	s_waitcnt vmcnt(1)
	global_store_dwordx2 v[1:2], v[6:7], off
	s_waitcnt vmcnt(1)
	global_store_dwordx2 v[8:9], v[10:11], off
	s_cbranch_scc1 .LBB159_23
; %bb.2:
	s_load_dwordx2 s[18:19], s[4:5], 0x18
	s_mov_b32 s22, 0x372fe950
	s_mul_i32 s29, s26, 0x7e
	s_lshl_b32 s30, s26, 1
	v_add_u32_e32 v40, s26, v39
	s_waitcnt lgkmcnt(0)
	v_mov_b32_e32 v6, s19
	v_add_co_u32_e32 v3, vcc, s18, v4
	v_addc_co_u32_e32 v4, vcc, v6, v5, vcc
	global_load_dwordx2 v[5:6], v[3:4], off
	v_mov_b32_e32 v3, 0
	s_mov_b64 s[20:21], 0
	s_mov_b32 s23, 0x3fe3c6ef
	v_mov_b32_e32 v41, 2
	v_mov_b32_e32 v42, 1
	;; [unrolled: 1-line block ×3, first 2 shown]
	s_branch .LBB159_5
.LBB159_3:                              ;   in Loop: Header=BB159_5 Depth=1
	s_or_b64 exec, exec, s[4:5]
	v_fma_f64 v[5:6], -v[4:5], v[21:22], v[9:10]
	v_mov_b32_e32 v4, s26
.LBB159_4:                              ;   in Loop: Header=BB159_5 Depth=1
	s_or_b64 exec, exec, s[2:3]
	v_add_u32_e32 v3, v4, v3
	v_cmp_le_i32_e32 vcc, s27, v3
	s_or_b64 s[20:21], vcc, s[20:21]
	s_andn2_b64 exec, exec, s[20:21]
	s_cbranch_execz .LBB159_22
.LBB159_5:                              ; =>This Inner Loop Header: Depth=1
	v_add_u32_e32 v13, v3, v0
	v_ashrrev_i32_e32 v14, 31, v13
	v_lshlrev_b64 v[11:12], 3, v[13:14]
	v_mov_b32_e32 v9, 0
	v_add_co_u32_e32 v7, vcc, s8, v11
	v_addc_co_u32_e32 v8, vcc, v43, v12, vcc
	global_load_dwordx2 v[15:16], v[7:8], off
	v_mov_b32_e32 v7, 0
	v_mov_b32_e32 v10, 0
	;; [unrolled: 1-line block ×3, first 2 shown]
	v_cmp_gt_u32_e64 s[0:1], s28, v3
	s_and_saveexec_b64 s[2:3], s[0:1]
	s_cbranch_execz .LBB159_7
; %bb.6:                                ;   in Loop: Header=BB159_5 Depth=1
	v_add_u32_e32 v7, v39, v3
	v_ashrrev_i32_e32 v8, 31, v7
	v_lshlrev_b64 v[7:8], 3, v[7:8]
	v_mov_b32_e32 v4, s17
	v_add_co_u32_e32 v7, vcc, s16, v7
	v_addc_co_u32_e32 v8, vcc, v4, v8, vcc
	global_load_dwordx2 v[7:8], v[7:8], off
.LBB159_7:                              ;   in Loop: Header=BB159_5 Depth=1
	s_or_b64 exec, exec, s[2:3]
	s_and_saveexec_b64 s[2:3], s[0:1]
	s_cbranch_execz .LBB159_9
; %bb.8:                                ;   in Loop: Header=BB159_5 Depth=1
	v_add_u32_e32 v9, v39, v3
	v_ashrrev_i32_e32 v10, 31, v9
	v_lshlrev_b64 v[9:10], 3, v[9:10]
	v_mov_b32_e32 v4, s19
	v_add_co_u32_e32 v9, vcc, s18, v9
	v_addc_co_u32_e32 v10, vcc, v4, v10, vcc
	global_load_dwordx2 v[9:10], v[9:10], off
.LBB159_9:                              ;   in Loop: Header=BB159_5 Depth=1
	s_or_b64 exec, exec, s[2:3]
	v_mov_b32_e32 v19, 0
	v_mov_b32_e32 v17, 0
	;; [unrolled: 1-line block ×4, first 2 shown]
	s_and_saveexec_b64 s[2:3], s[0:1]
	s_cbranch_execz .LBB159_11
; %bb.10:                               ;   in Loop: Header=BB159_5 Depth=1
	v_add_u32_e32 v17, v39, v3
	v_ashrrev_i32_e32 v18, 31, v17
	v_lshlrev_b64 v[17:18], 3, v[17:18]
	v_mov_b32_e32 v4, s9
	v_add_co_u32_e32 v17, vcc, s8, v17
	v_addc_co_u32_e32 v18, vcc, v4, v18, vcc
	global_load_dwordx2 v[17:18], v[17:18], off
.LBB159_11:                             ;   in Loop: Header=BB159_5 Depth=1
	s_or_b64 exec, exec, s[2:3]
	v_cmp_gt_u32_e64 s[2:3], s29, v3
	s_and_saveexec_b64 s[4:5], s[2:3]
	s_cbranch_execz .LBB159_13
; %bb.12:                               ;   in Loop: Header=BB159_5 Depth=1
	v_add_u32_e32 v19, v40, v3
	v_ashrrev_i32_e32 v20, 31, v19
	v_lshlrev_b64 v[19:20], 3, v[19:20]
	v_mov_b32_e32 v4, s17
	v_add_co_u32_e32 v19, vcc, s16, v19
	v_addc_co_u32_e32 v20, vcc, v4, v20, vcc
	global_load_dwordx2 v[19:20], v[19:20], off
.LBB159_13:                             ;   in Loop: Header=BB159_5 Depth=1
	s_or_b64 exec, exec, s[4:5]
	s_waitcnt vmcnt(0)
	v_cmp_gt_f64_e32 vcc, 0, v[7:8]
	v_xor_b32_e32 v4, 0x80000000, v8
	v_mov_b32_e32 v21, v7
	v_mov_b32_e32 v23, v19
	;; [unrolled: 1-line block ×3, first 2 shown]
	v_cmp_gt_f64_e64 s[4:5], 0, v[17:18]
	v_cndmask_b32_e32 v22, v8, v4, vcc
	v_cmp_gt_f64_e32 vcc, 0, v[19:20]
	v_xor_b32_e32 v4, 0x80000000, v20
	v_cndmask_b32_e32 v24, v20, v4, vcc
	v_cmp_lt_f64_e32 vcc, v[21:22], v[23:24]
	v_xor_b32_e32 v4, 0x80000000, v10
	v_mov_b32_e32 v23, v9
	v_cndmask_b32_e32 v22, v22, v24, vcc
	v_cndmask_b32_e32 v21, v7, v19, vcc
	v_cmp_gt_f64_e32 vcc, 0, v[9:10]
	v_cndmask_b32_e32 v24, v10, v4, vcc
	v_cmp_lt_f64_e32 vcc, v[23:24], v[21:22]
	v_xor_b32_e32 v4, 0x80000000, v16
	v_cndmask_b32_e32 v24, v24, v22, vcc
	v_cndmask_b32_e32 v23, v9, v21, vcc
	v_cmp_gt_f64_e32 vcc, 0, v[15:16]
	v_mul_f64 v[21:22], v[15:16], v[7:8]
	v_cndmask_b32_e32 v26, v16, v4, vcc
	v_cmp_lt_f64_e32 vcc, v[25:26], v[23:24]
	v_xor_b32_e32 v4, 0x80000000, v18
	v_cndmask_b32_e64 v25, v18, v4, s[4:5]
	v_cmp_gt_f64_e64 s[4:5], 0, v[5:6]
	v_xor_b32_e32 v4, 0x80000000, v6
	v_cndmask_b32_e32 v27, v26, v24, vcc
	v_cndmask_b32_e32 v26, v15, v23, vcc
	v_mov_b32_e32 v24, v17
	v_cmp_lt_f64_e32 vcc, v[24:25], v[26:27]
	v_mov_b32_e32 v23, v5
	v_cndmask_b32_e64 v24, v6, v4, s[4:5]
	v_xor_b32_e32 v4, 0x80000000, v22
	v_cmp_ne_u32_e64 s[4:5], s28, v3
	v_cndmask_b32_e32 v27, v25, v27, vcc
	v_cndmask_b32_e32 v26, v17, v26, vcc
	v_cmp_gt_f64_e32 vcc, 0, v[21:22]
	v_mul_f64 v[23:24], v[23:24], v[26:27]
	v_mov_b32_e32 v25, v21
	v_cndmask_b32_e32 v26, v22, v4, vcc
	v_mul_f64 v[25:26], v[25:26], s[22:23]
	v_cmp_nge_f64_e32 vcc, v[23:24], v[25:26]
	s_and_b64 s[4:5], s[4:5], vcc
	s_and_saveexec_b64 s[24:25], s[4:5]
	s_xor_b64 s[4:5], exec, s[24:25]
	s_cbranch_execz .LBB159_19
; %bb.14:                               ;   in Loop: Header=BB159_5 Depth=1
	v_fma_f64 v[27:28], v[5:6], v[9:10], -v[21:22]
	v_add_u32_e32 v21, v39, v3
	v_ashrrev_i32_e32 v22, 31, v21
	v_lshlrev_b64 v[29:30], 3, v[21:22]
	v_mov_b32_e32 v23, s11
	v_add_co_u32_e32 v31, vcc, s10, v29
	v_addc_co_u32_e32 v32, vcc, v23, v30, vcc
	v_div_scale_f64 v[44:45], s[24:25], v[27:28], v[27:28], 1.0
	v_mov_b32_e32 v24, s13
	v_add_co_u32_e32 v33, vcc, s12, v29
	v_addc_co_u32_e32 v34, vcc, v24, v30, vcc
	global_load_dwordx2 v[23:24], v[31:32], off
	global_load_dwordx2 v[35:36], v[33:34], off
	v_ashrrev_i32_e32 v4, 31, v3
	v_lshlrev_b64 v[25:26], 3, v[3:4]
	v_mov_b32_e32 v37, s13
	v_add_co_u32_e32 v48, vcc, v1, v25
	v_addc_co_u32_e32 v49, vcc, v2, v26, vcc
	v_add_co_u32_e32 v50, vcc, s12, v11
	v_rcp_f64_e32 v[46:47], v[44:45]
	global_load_dwordx2 v[25:26], v[48:49], off
	v_addc_co_u32_e32 v51, vcc, v37, v12, vcc
	global_load_dwordx2 v[37:38], v[50:51], off
	v_mov_b32_e32 v4, s15
	v_lshlrev_b64 v[13:14], 2, v[13:14]
	v_fma_f64 v[52:53], -v[44:45], v[46:47], 1.0
	v_fma_f64 v[46:47], v[46:47], v[52:53], v[46:47]
	v_div_scale_f64 v[52:53], vcc, 1.0, v[27:28], 1.0
	v_fma_f64 v[54:55], -v[44:45], v[46:47], 1.0
	v_fma_f64 v[46:47], v[46:47], v[54:55], v[46:47]
	v_mul_f64 v[54:55], v[52:53], v[46:47]
	v_fma_f64 v[44:45], -v[44:45], v[54:55], v[52:53]
	v_div_fmas_f64 v[44:45], v[44:45], v[46:47], v[54:55]
	v_add_co_u32_e32 v11, vcc, s14, v11
	v_addc_co_u32_e32 v12, vcc, v4, v12, vcc
	s_waitcnt vmcnt(3)
	v_mul_f64 v[46:47], v[15:16], v[23:24]
	s_waitcnt vmcnt(2)
	v_mul_f64 v[52:53], v[15:16], v[35:36]
	v_mul_f64 v[15:16], v[17:18], -v[15:16]
	v_add_co_u32_e32 v13, vcc, s6, v13
	v_div_fixup_f64 v[27:28], v[44:45], v[27:28], 1.0
	s_waitcnt vmcnt(1)
	v_fma_f64 v[46:47], v[9:10], v[25:26], -v[46:47]
	s_waitcnt vmcnt(0)
	v_fma_f64 v[9:10], v[9:10], v[37:38], -v[52:53]
	v_mov_b32_e32 v52, s7
	v_addc_co_u32_e32 v14, vcc, v52, v14, vcc
	v_mul_f64 v[15:16], v[27:28], v[15:16]
	v_mul_f64 v[44:45], v[27:28], v[46:47]
	;; [unrolled: 1-line block ×3, first 2 shown]
	global_store_dwordx2 v[48:49], v[44:45], off
	global_store_dwordx2 v[50:51], v[9:10], off
	;; [unrolled: 1-line block ×3, first 2 shown]
	global_store_dword v[13:14], v41, off
	s_and_saveexec_b64 s[24:25], s[0:1]
	s_cbranch_execz .LBB159_16
; %bb.15:                               ;   in Loop: Header=BB159_5 Depth=1
	v_mul_f64 v[9:10], v[7:8], v[25:26]
	v_mul_f64 v[11:12], v[7:8], v[37:38]
	;; [unrolled: 1-line block ×3, first 2 shown]
	v_mov_b32_e32 v4, s15
	v_lshlrev_b64 v[15:16], 2, v[21:22]
	v_add_co_u32_e32 v21, vcc, s14, v29
	v_addc_co_u32_e32 v22, vcc, v4, v30, vcc
	v_fma_f64 v[9:10], v[5:6], v[23:24], -v[9:10]
	v_fma_f64 v[11:12], v[5:6], v[35:36], -v[11:12]
	v_mul_f64 v[13:14], v[27:28], v[13:14]
	v_mov_b32_e32 v35, s7
	v_add_co_u32_e32 v15, vcc, s6, v15
	v_addc_co_u32_e32 v16, vcc, v35, v16, vcc
	v_mul_f64 v[9:10], v[27:28], v[9:10]
	v_mul_f64 v[11:12], v[27:28], v[11:12]
	global_store_dwordx2 v[21:22], v[13:14], off
	global_store_dwordx2 v[31:32], v[9:10], off
	;; [unrolled: 1-line block ×3, first 2 shown]
	global_store_dword v[15:16], v41, off
.LBB159_16:                             ;   in Loop: Header=BB159_5 Depth=1
	s_or_b64 exec, exec, s[24:25]
	v_mov_b32_e32 v9, 0
	v_mov_b32_e32 v10, 0
	s_and_saveexec_b64 s[24:25], s[2:3]
	s_cbranch_execz .LBB159_18
; %bb.17:                               ;   in Loop: Header=BB159_5 Depth=1
	v_add_u32_e32 v9, v40, v3
	v_ashrrev_i32_e32 v10, 31, v9
	v_lshlrev_b64 v[9:10], 3, v[9:10]
	v_mov_b32_e32 v4, s11
	v_add_co_u32_e32 v11, vcc, s10, v9
	v_addc_co_u32_e32 v12, vcc, v4, v10, vcc
	v_mov_b32_e32 v4, s19
	v_add_co_u32_e32 v9, vcc, s18, v9
	v_addc_co_u32_e32 v10, vcc, v4, v10, vcc
	global_load_dwordx2 v[13:14], v[11:12], off
	v_mul_f64 v[4:5], v[5:6], v[19:20]
	global_load_dwordx2 v[9:10], v[9:10], off
	v_mul_f64 v[6:7], v[19:20], v[7:8]
	v_mul_f64 v[15:16], v[27:28], v[4:5]
	;; [unrolled: 1-line block ×5, first 2 shown]
	v_fma_f64 v[6:7], v[6:7], v[25:26], -v[15:16]
	s_waitcnt vmcnt(1)
	v_add_f64 v[6:7], v[6:7], v[13:14]
	s_waitcnt vmcnt(0)
	v_fma_f64 v[9:10], -v[27:28], v[4:5], v[9:10]
	global_store_dwordx2 v[11:12], v[6:7], off
.LBB159_18:                             ;   in Loop: Header=BB159_5 Depth=1
	s_or_b64 exec, exec, s[24:25]
	v_mov_b32_e32 v5, v9
	v_mov_b32_e32 v6, v10
                                        ; implicit-def: $vgpr21_vgpr22
                                        ; implicit-def: $vgpr9_vgpr10
                                        ; implicit-def: $vgpr15_vgpr16
                                        ; implicit-def: $vgpr11_vgpr12
                                        ; implicit-def: $vgpr13_vgpr14
                                        ; implicit-def: $vgpr7_vgpr8
.LBB159_19:                             ;   in Loop: Header=BB159_5 Depth=1
	s_or_saveexec_b64 s[2:3], s[4:5]
	v_mov_b32_e32 v4, s30
	s_xor_b64 exec, exec, s[2:3]
	s_cbranch_execz .LBB159_4
; %bb.20:                               ;   in Loop: Header=BB159_5 Depth=1
	v_div_scale_f64 v[19:20], s[4:5], v[5:6], v[5:6], 1.0
	v_ashrrev_i32_e32 v4, 31, v3
	v_mov_b32_e32 v26, s13
	v_lshlrev_b64 v[17:18], 3, v[3:4]
	v_add_co_u32_e32 v25, vcc, s12, v11
	v_addc_co_u32_e32 v26, vcc, v26, v12, vcc
	v_add_co_u32_e32 v27, vcc, v1, v17
	v_addc_co_u32_e32 v28, vcc, v2, v18, vcc
	global_load_dwordx2 v[17:18], v[27:28], off
	global_load_dwordx2 v[29:30], v[25:26], off
	v_lshlrev_b64 v[13:14], 2, v[13:14]
	v_rcp_f64_e32 v[23:24], v[19:20]
	v_fma_f64 v[31:32], -v[19:20], v[23:24], 1.0
	v_fma_f64 v[23:24], v[23:24], v[31:32], v[23:24]
	v_div_scale_f64 v[31:32], vcc, 1.0, v[5:6], 1.0
	v_fma_f64 v[33:34], -v[19:20], v[23:24], 1.0
	v_fma_f64 v[23:24], v[23:24], v[33:34], v[23:24]
	v_mul_f64 v[33:34], v[31:32], v[23:24]
	v_fma_f64 v[19:20], -v[19:20], v[33:34], v[31:32]
	v_mov_b32_e32 v31, s7
	v_div_fmas_f64 v[19:20], v[19:20], v[23:24], v[33:34]
	v_add_co_u32_e32 v11, vcc, s14, v11
	v_div_fixup_f64 v[4:5], v[19:20], v[5:6], 1.0
	v_mov_b32_e32 v6, s15
	v_addc_co_u32_e32 v12, vcc, v6, v12, vcc
	v_add_co_u32_e32 v13, vcc, s6, v13
	v_addc_co_u32_e32 v14, vcc, v31, v14, vcc
	s_waitcnt vmcnt(1)
	v_mul_f64 v[19:20], v[4:5], v[17:18]
	s_waitcnt vmcnt(0)
	v_mul_f64 v[23:24], v[4:5], v[29:30]
	v_mul_f64 v[15:16], v[4:5], v[15:16]
	global_store_dwordx2 v[27:28], v[19:20], off
	global_store_dwordx2 v[25:26], v[23:24], off
	;; [unrolled: 1-line block ×3, first 2 shown]
	global_store_dword v[13:14], v42, off
	s_and_saveexec_b64 s[4:5], s[0:1]
	s_cbranch_execz .LBB159_3
; %bb.21:                               ;   in Loop: Header=BB159_5 Depth=1
	v_add_u32_e32 v11, v39, v3
	v_ashrrev_i32_e32 v12, 31, v11
	v_lshlrev_b64 v[11:12], 3, v[11:12]
	v_mov_b32_e32 v6, s11
	v_add_co_u32_e32 v11, vcc, s10, v11
	v_addc_co_u32_e32 v12, vcc, v6, v12, vcc
	global_load_dwordx2 v[13:14], v[11:12], off
	v_mul_f64 v[6:7], v[7:8], v[4:5]
	s_waitcnt vmcnt(0)
	v_fma_f64 v[6:7], -v[6:7], v[17:18], v[13:14]
	global_store_dwordx2 v[11:12], v[6:7], off
	s_branch .LBB159_3
.LBB159_22:
	s_or_b64 exec, exec, s[20:21]
.LBB159_23:
	v_subrev_u32_e32 v5, s26, v3
	v_add_u32_e32 v3, v5, v0
	v_ashrrev_i32_e32 v4, 31, v3
	v_lshlrev_b64 v[3:4], 2, v[3:4]
	s_waitcnt lgkmcnt(0)
	v_mov_b32_e32 v6, s7
	v_add_co_u32_e32 v3, vcc, s6, v3
	v_addc_co_u32_e32 v4, vcc, v6, v4, vcc
	s_waitcnt vmcnt(0)
	buffer_wbinvl1_vol
	global_load_dword v3, v[3:4], off
	s_waitcnt vmcnt(0)
	v_mul_lo_u32 v3, v3, s26
	v_sub_u32_e32 v3, v5, v3
	v_cmp_lt_i32_e32 vcc, -1, v3
	s_and_b64 exec, exec, vcc
	s_cbranch_execz .LBB159_30
; %bb.24:
	v_subrev_u32_e32 v9, s26, v0
	s_lshl_b32 s4, s26, 1
	s_mov_b64 s[0:1], 0
	v_mov_b32_e32 v10, s7
	v_mov_b32_e32 v11, s15
	s_branch .LBB159_26
.LBB159_25:                             ;   in Loop: Header=BB159_26 Depth=1
	s_or_b64 exec, exec, s[2:3]
	v_sub_u32_e32 v3, v3, v4
	v_cmp_gt_i32_e32 vcc, 0, v3
	s_or_b64 s[0:1], vcc, s[0:1]
	s_andn2_b64 exec, exec, s[0:1]
	s_cbranch_execz .LBB159_30
.LBB159_26:                             ; =>This Inner Loop Header: Depth=1
	v_add_u32_e32 v4, v3, v0
	s_waitcnt vmcnt(0)
	v_ashrrev_i32_e32 v5, 31, v4
	v_lshlrev_b64 v[6:7], 2, v[4:5]
	v_add_co_u32_e32 v6, vcc, s6, v6
	v_addc_co_u32_e32 v7, vcc, v10, v7, vcc
	global_load_dword v12, v[6:7], off
	v_lshlrev_b64 v[7:8], 3, v[4:5]
	v_add_co_u32_e32 v4, vcc, s14, v7
	v_addc_co_u32_e32 v5, vcc, v11, v8, vcc
	global_load_dwordx2 v[5:6], v[4:5], off
	s_waitcnt vmcnt(1)
	v_cmp_ne_u32_e32 vcc, 1, v12
	s_and_saveexec_b64 s[2:3], vcc
	s_xor_b64 s[2:3], exec, s[2:3]
	s_cbranch_execz .LBB159_28
; %bb.27:                               ;   in Loop: Header=BB159_26 Depth=1
	v_add_u32_e32 v12, v39, v3
	v_ashrrev_i32_e32 v13, 31, v12
	v_lshlrev_b64 v[12:13], 3, v[12:13]
	v_mov_b32_e32 v4, s11
	v_add_co_u32_e32 v14, vcc, s10, v12
	v_addc_co_u32_e32 v15, vcc, v4, v13, vcc
	v_ashrrev_i32_e32 v4, 31, v3
	v_lshlrev_b64 v[16:17], 3, v[3:4]
	v_mov_b32_e32 v4, s13
	v_add_co_u32_e32 v16, vcc, v1, v16
	v_addc_co_u32_e32 v17, vcc, v2, v17, vcc
	v_add_co_u32_e32 v12, vcc, s12, v12
	v_addc_co_u32_e32 v13, vcc, v4, v13, vcc
	global_load_dwordx2 v[18:19], v[14:15], off
	global_load_dwordx2 v[20:21], v[16:17], off
	v_add_co_u32_e32 v7, vcc, s12, v7
	v_addc_co_u32_e32 v8, vcc, v4, v8, vcc
	global_load_dwordx2 v[22:23], v[12:13], off
	global_load_dwordx2 v[24:25], v[7:8], off
	v_add_u32_e32 v26, v9, v3
	v_ashrrev_i32_e32 v27, 31, v26
	v_lshlrev_b64 v[26:27], 3, v[26:27]
	v_mov_b32_e32 v4, s15
	v_add_co_u32_e32 v28, vcc, s14, v26
	v_addc_co_u32_e32 v29, vcc, v4, v27, vcc
	v_mov_b32_e32 v30, s11
	v_mov_b32_e32 v31, s13
	s_waitcnt vmcnt(2)
	v_fma_f64 v[18:19], -v[5:6], v[18:19], v[20:21]
	v_add_co_u32_e32 v20, vcc, s10, v26
	v_addc_co_u32_e32 v21, vcc, v30, v27, vcc
	s_waitcnt vmcnt(0)
	v_fma_f64 v[4:5], -v[5:6], v[22:23], v[24:25]
	v_add_co_u32_e32 v22, vcc, s12, v26
	global_load_dwordx2 v[24:25], v[28:29], off
	s_nop 0
	global_store_dwordx2 v[16:17], v[18:19], off
	global_store_dwordx2 v[7:8], v[4:5], off
	v_addc_co_u32_e32 v23, vcc, v31, v27, vcc
	global_load_dwordx2 v[4:5], v[14:15], off
	global_load_dwordx2 v[6:7], v[20:21], off
	;; [unrolled: 1-line block ×4, first 2 shown]
	s_waitcnt vmcnt(2)
	v_fma_f64 v[4:5], -v[24:25], v[4:5], v[6:7]
	s_waitcnt vmcnt(0)
	v_fma_f64 v[6:7], -v[24:25], v[16:17], v[18:19]
	global_store_dwordx2 v[20:21], v[4:5], off
	global_store_dwordx2 v[22:23], v[6:7], off
                                        ; implicit-def: $vgpr5_vgpr6
                                        ; implicit-def: $vgpr7_vgpr8
.LBB159_28:                             ;   in Loop: Header=BB159_26 Depth=1
	s_or_saveexec_b64 s[2:3], s[2:3]
	v_mov_b32_e32 v4, s4
	s_xor_b64 exec, exec, s[2:3]
	s_cbranch_execz .LBB159_25
; %bb.29:                               ;   in Loop: Header=BB159_26 Depth=1
	v_add_u32_e32 v12, v39, v3
	v_ashrrev_i32_e32 v13, 31, v12
	v_lshlrev_b64 v[12:13], 3, v[12:13]
	v_mov_b32_e32 v4, s11
	v_add_co_u32_e32 v14, vcc, s10, v12
	v_addc_co_u32_e32 v15, vcc, v4, v13, vcc
	v_ashrrev_i32_e32 v4, 31, v3
	v_lshlrev_b64 v[16:17], 3, v[3:4]
	v_mov_b32_e32 v4, s13
	v_add_co_u32_e32 v16, vcc, v1, v16
	v_addc_co_u32_e32 v17, vcc, v2, v17, vcc
	v_add_co_u32_e32 v12, vcc, s12, v12
	v_addc_co_u32_e32 v13, vcc, v4, v13, vcc
	global_load_dwordx2 v[18:19], v[14:15], off
	global_load_dwordx2 v[20:21], v[16:17], off
	v_add_co_u32_e32 v7, vcc, s12, v7
	v_addc_co_u32_e32 v8, vcc, v4, v8, vcc
	global_load_dwordx2 v[14:15], v[12:13], off
	global_load_dwordx2 v[22:23], v[7:8], off
	s_waitcnt vmcnt(2)
	v_fma_f64 v[12:13], -v[5:6], v[18:19], v[20:21]
	s_waitcnt vmcnt(0)
	v_fma_f64 v[4:5], -v[5:6], v[14:15], v[22:23]
	global_store_dwordx2 v[16:17], v[12:13], off
	global_store_dwordx2 v[7:8], v[4:5], off
	v_mov_b32_e32 v4, s26
	s_branch .LBB159_25
.LBB159_30:
	s_endpgm
	.section	.rodata,"a",@progbits
	.p2align	6, 0x0
	.amdhsa_kernel _ZN9rocsparseL18gtsv_LBM_wv_kernelILj256ELj128EdEEviiiPKT1_S3_S3_PS1_S4_S4_Pi
		.amdhsa_group_segment_fixed_size 0
		.amdhsa_private_segment_fixed_size 0
		.amdhsa_kernarg_size 72
		.amdhsa_user_sgpr_count 6
		.amdhsa_user_sgpr_private_segment_buffer 1
		.amdhsa_user_sgpr_dispatch_ptr 0
		.amdhsa_user_sgpr_queue_ptr 0
		.amdhsa_user_sgpr_kernarg_segment_ptr 1
		.amdhsa_user_sgpr_dispatch_id 0
		.amdhsa_user_sgpr_flat_scratch_init 0
		.amdhsa_user_sgpr_private_segment_size 0
		.amdhsa_uses_dynamic_stack 0
		.amdhsa_system_sgpr_private_segment_wavefront_offset 0
		.amdhsa_system_sgpr_workgroup_id_x 1
		.amdhsa_system_sgpr_workgroup_id_y 0
		.amdhsa_system_sgpr_workgroup_id_z 0
		.amdhsa_system_sgpr_workgroup_info 0
		.amdhsa_system_vgpr_workitem_id 0
		.amdhsa_next_free_vgpr 56
		.amdhsa_next_free_sgpr 31
		.amdhsa_reserve_vcc 1
		.amdhsa_reserve_flat_scratch 0
		.amdhsa_float_round_mode_32 0
		.amdhsa_float_round_mode_16_64 0
		.amdhsa_float_denorm_mode_32 3
		.amdhsa_float_denorm_mode_16_64 3
		.amdhsa_dx10_clamp 1
		.amdhsa_ieee_mode 1
		.amdhsa_fp16_overflow 0
		.amdhsa_exception_fp_ieee_invalid_op 0
		.amdhsa_exception_fp_denorm_src 0
		.amdhsa_exception_fp_ieee_div_zero 0
		.amdhsa_exception_fp_ieee_overflow 0
		.amdhsa_exception_fp_ieee_underflow 0
		.amdhsa_exception_fp_ieee_inexact 0
		.amdhsa_exception_int_div_zero 0
	.end_amdhsa_kernel
	.section	.text._ZN9rocsparseL18gtsv_LBM_wv_kernelILj256ELj128EdEEviiiPKT1_S3_S3_PS1_S4_S4_Pi,"axG",@progbits,_ZN9rocsparseL18gtsv_LBM_wv_kernelILj256ELj128EdEEviiiPKT1_S3_S3_PS1_S4_S4_Pi,comdat
.Lfunc_end159:
	.size	_ZN9rocsparseL18gtsv_LBM_wv_kernelILj256ELj128EdEEviiiPKT1_S3_S3_PS1_S4_S4_Pi, .Lfunc_end159-_ZN9rocsparseL18gtsv_LBM_wv_kernelILj256ELj128EdEEviiiPKT1_S3_S3_PS1_S4_S4_Pi
                                        ; -- End function
	.set _ZN9rocsparseL18gtsv_LBM_wv_kernelILj256ELj128EdEEviiiPKT1_S3_S3_PS1_S4_S4_Pi.num_vgpr, 56
	.set _ZN9rocsparseL18gtsv_LBM_wv_kernelILj256ELj128EdEEviiiPKT1_S3_S3_PS1_S4_S4_Pi.num_agpr, 0
	.set _ZN9rocsparseL18gtsv_LBM_wv_kernelILj256ELj128EdEEviiiPKT1_S3_S3_PS1_S4_S4_Pi.numbered_sgpr, 31
	.set _ZN9rocsparseL18gtsv_LBM_wv_kernelILj256ELj128EdEEviiiPKT1_S3_S3_PS1_S4_S4_Pi.num_named_barrier, 0
	.set _ZN9rocsparseL18gtsv_LBM_wv_kernelILj256ELj128EdEEviiiPKT1_S3_S3_PS1_S4_S4_Pi.private_seg_size, 0
	.set _ZN9rocsparseL18gtsv_LBM_wv_kernelILj256ELj128EdEEviiiPKT1_S3_S3_PS1_S4_S4_Pi.uses_vcc, 1
	.set _ZN9rocsparseL18gtsv_LBM_wv_kernelILj256ELj128EdEEviiiPKT1_S3_S3_PS1_S4_S4_Pi.uses_flat_scratch, 0
	.set _ZN9rocsparseL18gtsv_LBM_wv_kernelILj256ELj128EdEEviiiPKT1_S3_S3_PS1_S4_S4_Pi.has_dyn_sized_stack, 0
	.set _ZN9rocsparseL18gtsv_LBM_wv_kernelILj256ELj128EdEEviiiPKT1_S3_S3_PS1_S4_S4_Pi.has_recursion, 0
	.set _ZN9rocsparseL18gtsv_LBM_wv_kernelILj256ELj128EdEEviiiPKT1_S3_S3_PS1_S4_S4_Pi.has_indirect_call, 0
	.section	.AMDGPU.csdata,"",@progbits
; Kernel info:
; codeLenInByte = 2492
; TotalNumSgprs: 35
; NumVgprs: 56
; ScratchSize: 0
; MemoryBound: 1
; FloatMode: 240
; IeeeMode: 1
; LDSByteSize: 0 bytes/workgroup (compile time only)
; SGPRBlocks: 4
; VGPRBlocks: 13
; NumSGPRsForWavesPerEU: 35
; NumVGPRsForWavesPerEU: 56
; Occupancy: 4
; WaveLimiterHint : 0
; COMPUTE_PGM_RSRC2:SCRATCH_EN: 0
; COMPUTE_PGM_RSRC2:USER_SGPR: 6
; COMPUTE_PGM_RSRC2:TRAP_HANDLER: 0
; COMPUTE_PGM_RSRC2:TGID_X_EN: 1
; COMPUTE_PGM_RSRC2:TGID_Y_EN: 0
; COMPUTE_PGM_RSRC2:TGID_Z_EN: 0
; COMPUTE_PGM_RSRC2:TIDIG_COMP_CNT: 0
	.section	.text._ZN9rocsparseL19gtsv_LBM_rhs_kernelILj256ELj128ELj8EdEEviiiPKT2_S3_S3_PS1_S3_PKi,"axG",@progbits,_ZN9rocsparseL19gtsv_LBM_rhs_kernelILj256ELj128ELj8EdEEviiiPKT2_S3_S3_PS1_S3_PKi,comdat
	.globl	_ZN9rocsparseL19gtsv_LBM_rhs_kernelILj256ELj128ELj8EdEEviiiPKT2_S3_S3_PS1_S3_PKi ; -- Begin function _ZN9rocsparseL19gtsv_LBM_rhs_kernelILj256ELj128ELj8EdEEviiiPKT2_S3_S3_PS1_S3_PKi
	.p2align	8
	.type	_ZN9rocsparseL19gtsv_LBM_rhs_kernelILj256ELj128ELj8EdEEviiiPKT2_S3_S3_PS1_S3_PKi,@function
_ZN9rocsparseL19gtsv_LBM_rhs_kernelILj256ELj128ELj8EdEEviiiPKT2_S3_S3_PS1_S3_PKi: ; @_ZN9rocsparseL19gtsv_LBM_rhs_kernelILj256ELj128ELj8EdEEviiiPKT2_S3_S3_PS1_S3_PKi
; %bb.0:
	s_load_dword s23, s[4:5], 0x0
	v_lshl_or_b32 v0, s6, 8, v0
	s_waitcnt lgkmcnt(0)
	s_lshr_b32 s22, s23, 7
	v_cmp_gt_i32_e32 vcc, s22, v0
	s_and_saveexec_b64 s[0:1], vcc
	s_cbranch_execz .LBB160_29
; %bb.1:
	s_load_dwordx4 s[8:11], s[4:5], 0x28
	s_load_dwordx2 s[16:17], s[4:5], 0x38
	s_cmp_lt_i32 s23, 1
	v_add_u32_e32 v71, s22, v0
	s_mul_i32 s24, s7, s23
	s_cbranch_scc1 .LBB160_21
; %bb.2:
	s_load_dwordx4 s[12:15], s[4:5], 0x10
	s_load_dwordx2 s[6:7], s[4:5], 0x20
	v_ashrrev_i32_e32 v1, 31, v0
	v_lshlrev_b64 v[1:2], 3, v[0:1]
	s_lshl_b32 s28, s24, 3
	s_waitcnt lgkmcnt(0)
	v_mov_b32_e32 v3, s15
	v_add_co_u32_e32 v1, vcc, s14, v1
	v_addc_co_u32_e32 v2, vcc, v3, v2, vcc
	global_load_dwordx2 v[7:8], v[1:2], off
	s_add_i32 s29, s28, s23
	s_add_i32 s30, s29, s23
	;; [unrolled: 1-line block ×6, first 2 shown]
	s_mul_i32 s25, s22, 0x7f
	s_mul_i32 s26, s22, 0x7e
	s_lshl_b32 s27, s22, 1
	v_add_u32_e32 v72, s22, v71
	s_add_i32 s36, s35, s23
	v_mov_b32_e32 v2, 0
	s_mov_b64 s[18:19], 0
	v_mov_b32_e32 v74, s7
	v_mov_b32_e32 v73, 0
	s_branch .LBB160_5
.LBB160_3:                              ;   in Loop: Header=BB160_5 Depth=1
	s_or_b64 exec, exec, s[4:5]
	v_fma_f64 v[7:8], -v[7:8], v[47:48], v[5:6]
	v_mov_b32_e32 v1, s22
.LBB160_4:                              ;   in Loop: Header=BB160_5 Depth=1
	s_or_b64 exec, exec, s[2:3]
	v_add_u32_e32 v73, v1, v73
	v_cmp_le_i32_e32 vcc, s23, v73
	s_or_b64 s[18:19], vcc, s[18:19]
	s_andn2_b64 exec, exec, s[18:19]
	s_cbranch_execz .LBB160_20
.LBB160_5:                              ; =>This Inner Loop Header: Depth=1
	v_add_u32_e32 v29, v73, v0
	v_ashrrev_i32_e32 v30, 31, v29
	v_lshlrev_b64 v[3:4], 3, v[29:30]
	v_mov_b32_e32 v5, 0
	v_add_co_u32_e32 v3, vcc, s6, v3
	v_addc_co_u32_e32 v4, vcc, v74, v4, vcc
	global_load_dwordx2 v[13:14], v[3:4], off
	v_mov_b32_e32 v3, 0
	v_mov_b32_e32 v6, 0
	;; [unrolled: 1-line block ×3, first 2 shown]
	v_cmp_gt_u32_e64 s[0:1], s25, v73
	s_and_saveexec_b64 s[2:3], s[0:1]
	s_cbranch_execz .LBB160_7
; %bb.6:                                ;   in Loop: Header=BB160_5 Depth=1
	v_add_u32_e32 v3, v71, v73
	v_ashrrev_i32_e32 v4, 31, v3
	v_lshlrev_b64 v[3:4], 3, v[3:4]
	v_mov_b32_e32 v1, s13
	v_add_co_u32_e32 v3, vcc, s12, v3
	v_addc_co_u32_e32 v4, vcc, v1, v4, vcc
	global_load_dwordx2 v[3:4], v[3:4], off
.LBB160_7:                              ;   in Loop: Header=BB160_5 Depth=1
	s_or_b64 exec, exec, s[2:3]
	s_and_saveexec_b64 s[2:3], s[0:1]
	s_cbranch_execz .LBB160_9
; %bb.8:                                ;   in Loop: Header=BB160_5 Depth=1
	v_add_u32_e32 v5, v71, v73
	v_ashrrev_i32_e32 v6, 31, v5
	v_lshlrev_b64 v[5:6], 3, v[5:6]
	v_mov_b32_e32 v1, s15
	v_add_co_u32_e32 v5, vcc, s14, v5
	v_addc_co_u32_e32 v6, vcc, v1, v6, vcc
	global_load_dwordx2 v[5:6], v[5:6], off
.LBB160_9:                              ;   in Loop: Header=BB160_5 Depth=1
	s_or_b64 exec, exec, s[2:3]
	v_mov_b32_e32 v11, 0
	v_mov_b32_e32 v9, 0
	;; [unrolled: 1-line block ×4, first 2 shown]
	s_and_saveexec_b64 s[2:3], s[0:1]
	s_cbranch_execz .LBB160_11
; %bb.10:                               ;   in Loop: Header=BB160_5 Depth=1
	v_add_u32_e32 v9, v71, v73
	v_ashrrev_i32_e32 v10, 31, v9
	v_lshlrev_b64 v[9:10], 3, v[9:10]
	v_mov_b32_e32 v1, s7
	v_add_co_u32_e32 v9, vcc, s6, v9
	v_addc_co_u32_e32 v10, vcc, v1, v10, vcc
	global_load_dwordx2 v[9:10], v[9:10], off
.LBB160_11:                             ;   in Loop: Header=BB160_5 Depth=1
	s_or_b64 exec, exec, s[2:3]
	v_cmp_gt_u32_e64 s[2:3], s26, v73
	s_and_saveexec_b64 s[4:5], s[2:3]
	s_cbranch_execz .LBB160_13
; %bb.12:                               ;   in Loop: Header=BB160_5 Depth=1
	v_add_u32_e32 v11, v72, v73
	v_ashrrev_i32_e32 v12, 31, v11
	v_lshlrev_b64 v[11:12], 3, v[11:12]
	v_mov_b32_e32 v1, s13
	v_add_co_u32_e32 v11, vcc, s12, v11
	v_addc_co_u32_e32 v12, vcc, v1, v12, vcc
	global_load_dwordx2 v[11:12], v[11:12], off
.LBB160_13:                             ;   in Loop: Header=BB160_5 Depth=1
	s_or_b64 exec, exec, s[4:5]
	v_lshlrev_b64 v[15:16], 2, v[29:30]
	v_mov_b32_e32 v1, s17
	v_add_co_u32_e32 v15, vcc, s16, v15
	v_addc_co_u32_e32 v16, vcc, v1, v16, vcc
	v_add_u32_e32 v1, s28, v29
	global_load_dword v49, v[15:16], off
	v_lshlrev_b64 v[15:16], 3, v[1:2]
	v_add_u32_e32 v1, s29, v29
	s_waitcnt vmcnt(4)
	v_mov_b32_e32 v39, s9
	v_add_co_u32_e32 v15, vcc, s8, v15
	v_lshlrev_b64 v[17:18], 3, v[1:2]
	v_addc_co_u32_e32 v16, vcc, v39, v16, vcc
	v_add_u32_e32 v1, s30, v29
	v_add_co_u32_e32 v17, vcc, s8, v17
	v_lshlrev_b64 v[19:20], 3, v[1:2]
	v_addc_co_u32_e32 v18, vcc, v39, v18, vcc
	v_add_u32_e32 v1, s31, v29
	;; [unrolled: 4-line block ×6, first 2 shown]
	v_add_co_u32_e32 v27, vcc, s8, v27
	v_lshlrev_b64 v[29:30], 3, v[1:2]
	v_addc_co_u32_e32 v28, vcc, v39, v28, vcc
	v_add_co_u32_e32 v29, vcc, s8, v29
	global_load_dwordx2 v[31:32], v[15:16], off
	global_load_dwordx2 v[33:34], v[17:18], off
	;; [unrolled: 1-line block ×4, first 2 shown]
	v_addc_co_u32_e32 v30, vcc, v39, v30, vcc
	global_load_dwordx2 v[43:44], v[23:24], off
	global_load_dwordx2 v[39:40], v[25:26], off
	;; [unrolled: 1-line block ×4, first 2 shown]
	s_waitcnt vmcnt(9)
	v_mul_f64 v[47:48], v[13:14], v[3:4]
	v_cmp_ne_u32_e64 s[4:5], s25, v73
	s_waitcnt vmcnt(8)
	v_cmp_ne_u32_e32 vcc, 1, v49
	s_and_b64 s[4:5], s[4:5], vcc
	s_and_saveexec_b64 s[20:21], s[4:5]
	s_xor_b64 s[4:5], exec, s[20:21]
	s_cbranch_execz .LBB160_17
; %bb.14:                               ;   in Loop: Header=BB160_5 Depth=1
	v_fma_f64 v[47:48], v[7:8], v[5:6], -v[47:48]
	v_add_u32_e32 v59, v71, v73
	v_add_u32_e32 v1, s28, v59
	v_lshlrev_b64 v[51:52], 3, v[1:2]
	v_add_u32_e32 v1, s29, v59
	v_mov_b32_e32 v65, s9
	v_lshlrev_b64 v[53:54], 3, v[1:2]
	v_add_co_u32_e32 v75, vcc, s8, v51
	v_div_scale_f64 v[49:50], s[20:21], v[47:48], v[47:48], 1.0
	v_add_u32_e32 v1, s30, v59
	v_addc_co_u32_e32 v76, vcc, v65, v52, vcc
	v_lshlrev_b64 v[51:52], 3, v[1:2]
	v_add_co_u32_e32 v77, vcc, s8, v53
	v_add_u32_e32 v1, s31, v59
	v_addc_co_u32_e32 v78, vcc, v65, v54, vcc
	v_lshlrev_b64 v[53:54], 3, v[1:2]
	v_add_co_u32_e32 v79, vcc, s8, v51
	v_add_u32_e32 v1, s33, v59
	v_addc_co_u32_e32 v80, vcc, v65, v52, vcc
	v_rcp_f64_e32 v[55:56], v[49:50]
	v_lshlrev_b64 v[51:52], 3, v[1:2]
	v_add_co_u32_e32 v81, vcc, s8, v53
	v_add_u32_e32 v1, s34, v59
	v_addc_co_u32_e32 v82, vcc, v65, v54, vcc
	v_lshlrev_b64 v[57:58], 3, v[1:2]
	v_add_co_u32_e32 v83, vcc, s8, v51
	v_add_u32_e32 v1, s35, v59
	v_addc_co_u32_e32 v84, vcc, v65, v52, vcc
	v_lshlrev_b64 v[53:54], 3, v[1:2]
	v_add_co_u32_e32 v89, vcc, s8, v57
	v_add_u32_e32 v1, s36, v59
	global_load_dwordx2 v[61:62], v[75:76], off
	global_load_dwordx2 v[63:64], v[77:78], off
	;; [unrolled: 1-line block ×4, first 2 shown]
	v_addc_co_u32_e32 v90, vcc, v65, v58, vcc
	v_lshlrev_b64 v[51:52], 3, v[1:2]
	v_add_co_u32_e32 v91, vcc, s8, v53
	global_load_dwordx2 v[93:94], v[83:84], off
	v_addc_co_u32_e32 v92, vcc, v65, v54, vcc
	v_add_co_u32_e32 v95, vcc, s8, v51
	v_addc_co_u32_e32 v96, vcc, v65, v52, vcc
	global_load_dwordx2 v[97:98], v[89:90], off
	global_load_dwordx2 v[99:100], v[91:92], off
	;; [unrolled: 1-line block ×3, first 2 shown]
	v_fma_f64 v[59:60], -v[49:50], v[55:56], 1.0
	v_div_scale_f64 v[53:54], vcc, 1.0, v[47:48], 1.0
	v_mov_b32_e32 v69, 0
	v_mov_b32_e32 v70, 0
	v_fma_f64 v[51:52], v[55:56], v[59:60], v[55:56]
	v_fma_f64 v[55:56], -v[49:50], v[51:52], 1.0
	v_fma_f64 v[51:52], v[51:52], v[55:56], v[51:52]
	v_mul_f64 v[55:56], v[53:54], v[51:52]
	v_fma_f64 v[49:50], -v[49:50], v[55:56], v[53:54]
	v_div_fmas_f64 v[49:50], v[49:50], v[51:52], v[55:56]
	v_div_fixup_f64 v[47:48], v[49:50], v[47:48], 1.0
	s_waitcnt vmcnt(7)
	v_mul_f64 v[67:68], v[47:48], v[61:62]
	s_waitcnt vmcnt(6)
	v_mul_f64 v[61:62], v[47:48], v[63:64]
	;; [unrolled: 2-line block ×5, first 2 shown]
	v_mul_f64 v[51:52], v[47:48], v[43:44]
	s_waitcnt vmcnt(2)
	v_mul_f64 v[43:44], v[47:48], v[97:98]
	v_mul_f64 v[57:58], v[47:48], v[35:36]
	s_waitcnt vmcnt(1)
	v_mul_f64 v[35:36], v[47:48], v[99:100]
	;; [unrolled: 3-line block ×3, first 2 shown]
	v_mul_f64 v[59:60], v[47:48], v[33:34]
	v_mul_f64 v[49:50], v[47:48], v[37:38]
	;; [unrolled: 1-line block ×21, first 2 shown]
	v_fma_f64 v[41:42], v[5:6], v[65:66], -v[41:42]
	v_fma_f64 v[45:46], v[5:6], v[59:60], -v[45:46]
	;; [unrolled: 1-line block ×16, first 2 shown]
	global_store_dwordx2 v[15:16], v[41:42], off
	global_store_dwordx2 v[17:18], v[45:46], off
	;; [unrolled: 1-line block ×16, first 2 shown]
	s_and_saveexec_b64 s[20:21], s[2:3]
	s_cbranch_execz .LBB160_16
; %bb.15:                               ;   in Loop: Header=BB160_5 Depth=1
	v_add_u32_e32 v5, v72, v73
	v_add_u32_e32 v1, s28, v5
	v_lshlrev_b64 v[13:14], 3, v[1:2]
	v_mov_b32_e32 v23, s9
	v_add_co_u32_e32 v13, vcc, s8, v13
	v_addc_co_u32_e32 v14, vcc, v23, v14, vcc
	global_load_dwordx2 v[15:16], v[13:14], off
	v_mul_f64 v[7:8], v[7:8], v[11:12]
	v_mul_f64 v[3:4], v[3:4], v[11:12]
	v_add_u32_e32 v1, s29, v5
	v_lshlrev_b64 v[17:18], 3, v[1:2]
	v_add_u32_e32 v1, s30, v5
	v_add_co_u32_e32 v17, vcc, s8, v17
	v_addc_co_u32_e32 v18, vcc, v23, v18, vcc
	v_mul_f64 v[11:12], v[7:8], v[67:68]
	global_load_dwordx2 v[19:20], v[17:18], off
	v_mul_f64 v[21:22], v[7:8], v[63:64]
	v_ashrrev_i32_e32 v6, 31, v5
	v_fma_f64 v[11:12], v[3:4], v[65:66], -v[11:12]
	s_waitcnt vmcnt(1)
	v_add_f64 v[11:12], v[11:12], v[15:16]
	v_lshlrev_b64 v[15:16], 3, v[1:2]
	v_add_u32_e32 v1, s31, v5
	v_add_co_u32_e32 v15, vcc, s8, v15
	v_addc_co_u32_e32 v16, vcc, v23, v16, vcc
	global_store_dwordx2 v[13:14], v[11:12], off
	global_load_dwordx2 v[11:12], v[15:16], off
	v_mul_f64 v[13:14], v[7:8], v[61:62]
	v_fma_f64 v[13:14], v[3:4], v[59:60], -v[13:14]
	s_waitcnt vmcnt(2)
	v_add_f64 v[13:14], v[13:14], v[19:20]
	v_fma_f64 v[19:20], v[3:4], v[57:58], -v[21:22]
	v_lshlrev_b64 v[21:22], 3, v[1:2]
	v_add_u32_e32 v1, s33, v5
	v_add_co_u32_e32 v21, vcc, s8, v21
	v_addc_co_u32_e32 v22, vcc, v23, v22, vcc
	global_store_dwordx2 v[17:18], v[13:14], off
	global_load_dwordx2 v[13:14], v[21:22], off
	v_lshlrev_b64 v[17:18], 3, v[1:2]
	v_add_u32_e32 v1, s34, v5
	v_add_co_u32_e32 v17, vcc, s8, v17
	v_addc_co_u32_e32 v18, vcc, v23, v18, vcc
	s_waitcnt vmcnt(2)
	v_add_f64 v[11:12], v[19:20], v[11:12]
	v_mul_f64 v[19:20], v[7:8], v[55:56]
	global_store_dwordx2 v[15:16], v[11:12], off
	global_load_dwordx2 v[11:12], v[17:18], off
	v_mul_f64 v[15:16], v[7:8], v[53:54]
	v_fma_f64 v[19:20], v[3:4], v[51:52], -v[19:20]
	v_fma_f64 v[15:16], v[3:4], v[49:50], -v[15:16]
	s_waitcnt vmcnt(2)
	v_add_f64 v[13:14], v[15:16], v[13:14]
	v_lshlrev_b64 v[15:16], 3, v[1:2]
	v_add_u32_e32 v1, s35, v5
	v_add_co_u32_e32 v15, vcc, s8, v15
	v_addc_co_u32_e32 v16, vcc, v23, v16, vcc
	s_waitcnt vmcnt(0)
	v_add_f64 v[11:12], v[19:20], v[11:12]
	global_store_dwordx2 v[21:22], v[13:14], off
	global_store_dwordx2 v[17:18], v[11:12], off
	global_load_dwordx2 v[11:12], v[15:16], off
	v_mul_f64 v[13:14], v[7:8], v[43:44]
	v_mov_b32_e32 v17, s15
	v_fma_f64 v[13:14], v[3:4], v[39:40], -v[13:14]
	s_waitcnt vmcnt(0)
	v_add_f64 v[11:12], v[13:14], v[11:12]
	v_lshlrev_b64 v[13:14], 3, v[1:2]
	v_add_u32_e32 v1, s36, v5
	v_add_co_u32_e32 v13, vcc, s8, v13
	v_addc_co_u32_e32 v14, vcc, v23, v14, vcc
	global_store_dwordx2 v[15:16], v[11:12], off
	global_load_dwordx2 v[11:12], v[13:14], off
	v_mul_f64 v[15:16], v[7:8], v[35:36]
	v_fma_f64 v[15:16], v[3:4], v[37:38], -v[15:16]
	s_waitcnt vmcnt(0)
	v_add_f64 v[11:12], v[15:16], v[11:12]
	v_lshlrev_b64 v[15:16], 3, v[5:6]
	v_lshlrev_b64 v[5:6], 3, v[1:2]
	v_add_co_u32_e32 v5, vcc, s8, v5
	v_addc_co_u32_e32 v6, vcc, v23, v6, vcc
	global_store_dwordx2 v[13:14], v[11:12], off
	v_add_co_u32_e32 v13, vcc, s14, v15
	v_addc_co_u32_e32 v14, vcc, v17, v16, vcc
	global_load_dwordx2 v[11:12], v[5:6], off
	v_mul_f64 v[15:16], v[7:8], v[31:32]
	global_load_dwordx2 v[13:14], v[13:14], off
	v_mul_f64 v[7:8], v[9:10], v[7:8]
	v_fma_f64 v[3:4], v[3:4], v[33:34], -v[15:16]
	s_waitcnt vmcnt(1)
	v_add_f64 v[3:4], v[3:4], v[11:12]
	s_waitcnt vmcnt(0)
	v_fma_f64 v[69:70], -v[47:48], v[7:8], v[13:14]
	global_store_dwordx2 v[5:6], v[3:4], off
.LBB160_16:                             ;   in Loop: Header=BB160_5 Depth=1
	s_or_b64 exec, exec, s[20:21]
	v_mov_b32_e32 v7, v69
	v_mov_b32_e32 v8, v70
                                        ; implicit-def: $vgpr3_vgpr4
                                        ; implicit-def: $vgpr5_vgpr6
                                        ; implicit-def: $vgpr47_vgpr48
                                        ; implicit-def: $vgpr15_vgpr16
                                        ; implicit-def: $vgpr31_vgpr32
                                        ; implicit-def: $vgpr17_vgpr18
                                        ; implicit-def: $vgpr33_vgpr34
                                        ; implicit-def: $vgpr19_vgpr20
                                        ; implicit-def: $vgpr35_vgpr36
                                        ; implicit-def: $vgpr21_vgpr22
                                        ; implicit-def: $vgpr37_vgpr38
                                        ; implicit-def: $vgpr23_vgpr24
                                        ; implicit-def: $vgpr43_vgpr44
                                        ; implicit-def: $vgpr25_vgpr26
                                        ; implicit-def: $vgpr39_vgpr40
                                        ; implicit-def: $vgpr27_vgpr28
                                        ; implicit-def: $vgpr41_vgpr42
                                        ; implicit-def: $vgpr29_vgpr30
                                        ; implicit-def: $vgpr45_vgpr46
.LBB160_17:                             ;   in Loop: Header=BB160_5 Depth=1
	s_or_saveexec_b64 s[2:3], s[4:5]
	v_mov_b32_e32 v1, s27
	s_xor_b64 exec, exec, s[2:3]
	s_cbranch_execz .LBB160_4
; %bb.18:                               ;   in Loop: Header=BB160_5 Depth=1
	v_div_scale_f64 v[9:10], s[4:5], v[7:8], v[7:8], 1.0
	v_rcp_f64_e32 v[11:12], v[9:10]
	v_fma_f64 v[13:14], -v[9:10], v[11:12], 1.0
	v_fma_f64 v[11:12], v[11:12], v[13:14], v[11:12]
	v_div_scale_f64 v[13:14], vcc, 1.0, v[7:8], 1.0
	v_fma_f64 v[49:50], -v[9:10], v[11:12], 1.0
	v_fma_f64 v[11:12], v[11:12], v[49:50], v[11:12]
	v_mul_f64 v[49:50], v[13:14], v[11:12]
	v_fma_f64 v[9:10], -v[9:10], v[49:50], v[13:14]
	v_div_fmas_f64 v[9:10], v[9:10], v[11:12], v[49:50]
	v_div_fixup_f64 v[7:8], v[9:10], v[7:8], 1.0
	s_waitcnt vmcnt(7)
	v_mul_f64 v[51:52], v[7:8], v[31:32]
	s_waitcnt vmcnt(6)
	v_mul_f64 v[49:50], v[7:8], v[33:34]
	;; [unrolled: 2-line block ×8, first 2 shown]
	global_store_dwordx2 v[15:16], v[51:52], off
	global_store_dwordx2 v[17:18], v[49:50], off
	;; [unrolled: 1-line block ×8, first 2 shown]
	s_and_saveexec_b64 s[4:5], s[0:1]
	s_cbranch_execz .LBB160_3
; %bb.19:                               ;   in Loop: Header=BB160_5 Depth=1
	v_add_u32_e32 v25, v71, v73
	v_add_u32_e32 v1, s28, v25
	v_lshlrev_b64 v[15:16], 3, v[1:2]
	v_mov_b32_e32 v26, s9
	v_add_co_u32_e32 v15, vcc, s8, v15
	v_addc_co_u32_e32 v16, vcc, v26, v16, vcc
	global_load_dwordx2 v[17:18], v[15:16], off
	v_add_u32_e32 v1, s29, v25
	v_lshlrev_b64 v[19:20], 3, v[1:2]
	v_add_u32_e32 v1, s30, v25
	v_add_co_u32_e32 v19, vcc, s8, v19
	v_addc_co_u32_e32 v20, vcc, v26, v20, vcc
	global_load_dwordx2 v[21:22], v[19:20], off
	v_lshlrev_b64 v[23:24], 3, v[1:2]
	v_add_u32_e32 v1, s31, v25
	v_add_co_u32_e32 v23, vcc, s8, v23
	v_addc_co_u32_e32 v24, vcc, v26, v24, vcc
	s_waitcnt vmcnt(1)
	v_fma_f64 v[17:18], -v[3:4], v[51:52], v[17:18]
	global_store_dwordx2 v[15:16], v[17:18], off
	global_load_dwordx2 v[15:16], v[23:24], off
	s_waitcnt vmcnt(2)
	v_fma_f64 v[17:18], -v[3:4], v[49:50], v[21:22]
	v_lshlrev_b64 v[21:22], 3, v[1:2]
	v_add_u32_e32 v1, s33, v25
	v_add_co_u32_e32 v21, vcc, s8, v21
	v_addc_co_u32_e32 v22, vcc, v26, v22, vcc
	global_store_dwordx2 v[19:20], v[17:18], off
	global_load_dwordx2 v[17:18], v[21:22], off
	v_lshlrev_b64 v[19:20], 3, v[1:2]
	v_add_u32_e32 v1, s34, v25
	v_add_co_u32_e32 v19, vcc, s8, v19
	v_addc_co_u32_e32 v20, vcc, v26, v20, vcc
	s_waitcnt vmcnt(2)
	v_fma_f64 v[15:16], -v[3:4], v[35:36], v[15:16]
	global_store_dwordx2 v[23:24], v[15:16], off
	global_load_dwordx2 v[15:16], v[19:20], off
	s_waitcnt vmcnt(2)
	v_fma_f64 v[17:18], -v[3:4], v[31:32], v[17:18]
	v_lshlrev_b64 v[23:24], 3, v[1:2]
	v_add_u32_e32 v1, s35, v25
	v_add_co_u32_e32 v23, vcc, s8, v23
	v_addc_co_u32_e32 v24, vcc, v26, v24, vcc
	s_waitcnt vmcnt(0)
	v_fma_f64 v[15:16], -v[3:4], v[33:34], v[15:16]
	global_store_dwordx2 v[21:22], v[17:18], off
	global_store_dwordx2 v[19:20], v[15:16], off
	global_load_dwordx2 v[15:16], v[23:24], off
	s_waitcnt vmcnt(0)
	v_fma_f64 v[13:14], -v[3:4], v[13:14], v[15:16]
	v_lshlrev_b64 v[15:16], 3, v[1:2]
	v_add_u32_e32 v1, s36, v25
	v_add_co_u32_e32 v15, vcc, s8, v15
	v_addc_co_u32_e32 v16, vcc, v26, v16, vcc
	global_store_dwordx2 v[23:24], v[13:14], off
	global_load_dwordx2 v[13:14], v[15:16], off
	s_waitcnt vmcnt(0)
	v_fma_f64 v[11:12], -v[3:4], v[11:12], v[13:14]
	v_lshlrev_b64 v[13:14], 3, v[1:2]
	global_store_dwordx2 v[15:16], v[11:12], off
	v_add_co_u32_e32 v11, vcc, s8, v13
	v_addc_co_u32_e32 v12, vcc, v26, v14, vcc
	global_load_dwordx2 v[13:14], v[11:12], off
	s_waitcnt vmcnt(0)
	v_fma_f64 v[3:4], -v[3:4], v[9:10], v[13:14]
	global_store_dwordx2 v[11:12], v[3:4], off
	s_branch .LBB160_3
.LBB160_20:
	s_or_b64 exec, exec, s[18:19]
	s_branch .LBB160_22
.LBB160_21:
	v_mov_b32_e32 v73, 0
.LBB160_22:
	v_subrev_u32_e32 v3, s22, v73
	v_add_u32_e32 v1, v3, v0
	v_ashrrev_i32_e32 v2, 31, v1
	v_lshlrev_b64 v[1:2], 2, v[1:2]
	s_waitcnt lgkmcnt(0)
	v_mov_b32_e32 v4, s17
	v_add_co_u32_e32 v1, vcc, s16, v1
	v_addc_co_u32_e32 v2, vcc, v4, v2, vcc
	s_waitcnt vmcnt(0)
	buffer_wbinvl1_vol
	global_load_dword v1, v[1:2], off
	s_waitcnt vmcnt(0)
	v_mul_lo_u32 v1, v1, s22
	v_sub_u32_e32 v7, v3, v1
	v_cmp_lt_i32_e32 vcc, -1, v7
	s_and_b64 exec, exec, vcc
	s_cbranch_execz .LBB160_29
; %bb.23:
	s_lshl_b32 s4, s24, 3
	s_add_i32 s5, s4, s23
	s_add_i32 s6, s5, s23
	;; [unrolled: 1-line block ×7, first 2 shown]
	s_lshl_b32 s18, s22, 1
	s_mov_b64 s[0:1], 0
	v_mov_b32_e32 v8, s17
	v_mov_b32_e32 v9, s11
	;; [unrolled: 1-line block ×3, first 2 shown]
	s_branch .LBB160_25
.LBB160_24:                             ;   in Loop: Header=BB160_25 Depth=1
	s_or_b64 exec, exec, s[2:3]
	v_sub_u32_e32 v7, v7, v1
	v_cmp_gt_i32_e32 vcc, 0, v7
	s_or_b64 s[0:1], vcc, s[0:1]
	s_andn2_b64 exec, exec, s[0:1]
	s_cbranch_execz .LBB160_29
.LBB160_25:                             ; =>This Inner Loop Header: Depth=1
	v_add_u32_e32 v5, v7, v0
	v_ashrrev_i32_e32 v6, 31, v5
	s_waitcnt vmcnt(0)
	v_lshlrev_b64 v[3:4], 2, v[5:6]
	v_add_co_u32_e32 v3, vcc, s16, v3
	v_addc_co_u32_e32 v4, vcc, v8, v4, vcc
	global_load_dword v1, v[3:4], off
	v_lshlrev_b64 v[3:4], 3, v[5:6]
	v_add_co_u32_e32 v3, vcc, s10, v3
	v_addc_co_u32_e32 v4, vcc, v9, v4, vcc
	global_load_dwordx2 v[3:4], v[3:4], off
	s_waitcnt vmcnt(1)
	v_cmp_ne_u32_e32 vcc, 1, v1
	s_and_saveexec_b64 s[2:3], vcc
	s_xor_b64 s[2:3], exec, s[2:3]
	s_cbranch_execz .LBB160_27
; %bb.26:                               ;   in Loop: Header=BB160_25 Depth=1
	v_add_u32_e32 v6, v71, v7
	v_add_u32_e32 v1, s4, v6
	v_lshlrev_b64 v[10:11], 3, v[1:2]
	v_mov_b32_e32 v1, s9
	v_add_co_u32_e32 v10, vcc, s8, v10
	v_addc_co_u32_e32 v11, vcc, v1, v11, vcc
	v_add_u32_e32 v1, s5, v6
	v_lshlrev_b64 v[12:13], 3, v[1:2]
	v_add_u32_e32 v1, s6, v6
	v_lshlrev_b64 v[14:15], 3, v[1:2]
	v_add_u32_e32 v1, s7, v6
	v_lshlrev_b64 v[16:17], 3, v[1:2]
	v_add_u32_e32 v1, s12, v6
	v_lshlrev_b64 v[18:19], 3, v[1:2]
	v_add_u32_e32 v1, s13, v6
	v_lshlrev_b64 v[20:21], 3, v[1:2]
	v_add_u32_e32 v1, s14, v6
	v_lshlrev_b64 v[22:23], 3, v[1:2]
	v_add_u32_e32 v1, s15, v6
	v_lshlrev_b64 v[24:25], 3, v[1:2]
	v_add_u32_e32 v1, s4, v5
	v_lshlrev_b64 v[26:27], 3, v[1:2]
	v_mov_b32_e32 v1, s9
	v_add_co_u32_e32 v26, vcc, s8, v26
	v_addc_co_u32_e32 v27, vcc, v1, v27, vcc
	global_load_dwordx2 v[10:11], v[10:11], off
	v_add_co_u32_e32 v12, vcc, s8, v12
	global_load_dwordx2 v[28:29], v[26:27], off
	v_addc_co_u32_e32 v13, vcc, v1, v13, vcc
	v_mov_b32_e32 v6, s9
	v_add_co_u32_e32 v14, vcc, s8, v14
	v_addc_co_u32_e32 v15, vcc, v6, v15, vcc
	v_mov_b32_e32 v30, s9
	v_add_co_u32_e32 v16, vcc, s8, v16
	v_addc_co_u32_e32 v17, vcc, v30, v17, vcc
	v_mov_b32_e32 v36, s9
	global_load_dwordx2 v[30:31], v[12:13], off
	global_load_dwordx2 v[32:33], v[14:15], off
	global_load_dwordx2 v[34:35], v[16:17], off
	v_add_co_u32_e32 v12, vcc, s8, v18
	v_addc_co_u32_e32 v13, vcc, v36, v19, vcc
	v_mov_b32_e32 v37, s9
	v_add_co_u32_e32 v14, vcc, s8, v20
	v_addc_co_u32_e32 v15, vcc, v37, v21, vcc
	v_mov_b32_e32 v38, s9
	v_add_co_u32_e32 v16, vcc, s8, v22
	v_addc_co_u32_e32 v17, vcc, v38, v23, vcc
	v_add_u32_e32 v1, s5, v5
	v_mov_b32_e32 v39, s9
	v_add_co_u32_e32 v18, vcc, s8, v24
	v_lshlrev_b64 v[20:21], 3, v[1:2]
	v_addc_co_u32_e32 v19, vcc, v39, v25, vcc
	v_mov_b32_e32 v40, s9
	v_add_u32_e32 v1, s6, v5
	s_waitcnt vmcnt(3)
	v_fma_f64 v[22:23], -v[3:4], v[10:11], v[28:29]
	global_load_dwordx2 v[24:25], v[12:13], off
	global_load_dwordx2 v[28:29], v[14:15], off
	;; [unrolled: 1-line block ×4, first 2 shown]
	v_add_co_u32_e32 v12, vcc, s8, v20
	v_addc_co_u32_e32 v13, vcc, v40, v21, vcc
	v_lshlrev_b64 v[16:17], 3, v[1:2]
	v_add_u32_e32 v1, s7, v5
	global_store_dwordx2 v[26:27], v[22:23], off
	global_load_dwordx2 v[14:15], v[12:13], off
	v_add_co_u32_e32 v16, vcc, s8, v16
	v_addc_co_u32_e32 v17, vcc, v6, v17, vcc
	s_waitcnt vmcnt(0)
	v_fma_f64 v[14:15], -v[3:4], v[30:31], v[14:15]
	global_store_dwordx2 v[12:13], v[14:15], off
	global_load_dwordx2 v[12:13], v[16:17], off
	v_lshlrev_b64 v[14:15], 3, v[1:2]
	v_add_u32_e32 v1, s12, v5
	v_add_co_u32_e32 v14, vcc, s8, v14
	v_addc_co_u32_e32 v15, vcc, v6, v15, vcc
	s_waitcnt vmcnt(0)
	v_fma_f64 v[12:13], -v[3:4], v[32:33], v[12:13]
	global_store_dwordx2 v[16:17], v[12:13], off
	global_load_dwordx2 v[12:13], v[14:15], off
	v_lshlrev_b64 v[16:17], 3, v[1:2]
	v_add_u32_e32 v1, s13, v5
	;; [unrolled: 8-line block ×4, first 2 shown]
	v_add_co_u32_e32 v16, vcc, s8, v16
	v_addc_co_u32_e32 v17, vcc, v6, v17, vcc
	v_lshlrev_b64 v[5:6], 3, v[1:2]
	v_subrev_u32_e32 v1, s22, v7
	v_add_co_u32_e32 v5, vcc, s8, v5
	s_waitcnt vmcnt(0)
	v_fma_f64 v[12:13], -v[3:4], v[28:29], v[12:13]
	global_store_dwordx2 v[14:15], v[12:13], off
	global_load_dwordx2 v[12:13], v[16:17], off
	v_mov_b32_e32 v14, s9
	v_addc_co_u32_e32 v6, vcc, v14, v6, vcc
	v_add_u32_e32 v14, v1, v0
	v_ashrrev_i32_e32 v15, 31, v14
	v_add_u32_e32 v1, s4, v14
	s_waitcnt vmcnt(0)
	v_fma_f64 v[12:13], -v[3:4], v[36:37], v[12:13]
	global_store_dwordx2 v[16:17], v[12:13], off
	global_load_dwordx2 v[12:13], v[5:6], off
	v_lshlrev_b64 v[15:16], 3, v[14:15]
	v_mov_b32_e32 v17, s9
	v_add_co_u32_e32 v15, vcc, s10, v15
	v_addc_co_u32_e32 v16, vcc, v9, v16, vcc
	s_waitcnt vmcnt(0)
	v_fma_f64 v[3:4], -v[3:4], v[38:39], v[12:13]
	global_load_dwordx2 v[12:13], v[15:16], off
	v_lshlrev_b64 v[15:16], 3, v[1:2]
	v_add_u32_e32 v1, s5, v14
	v_add_co_u32_e32 v15, vcc, s8, v15
	v_addc_co_u32_e32 v16, vcc, v17, v16, vcc
	global_store_dwordx2 v[5:6], v[3:4], off
	global_load_dwordx2 v[3:4], v[15:16], off
	v_lshlrev_b64 v[5:6], 3, v[1:2]
	v_add_u32_e32 v1, s6, v14
	v_add_co_u32_e32 v5, vcc, s8, v5
	s_waitcnt vmcnt(0)
	v_fma_f64 v[3:4], -v[12:13], v[10:11], v[3:4]
	v_mov_b32_e32 v10, s9
	v_addc_co_u32_e32 v6, vcc, v10, v6, vcc
	v_lshlrev_b64 v[10:11], 3, v[1:2]
	v_add_u32_e32 v1, s7, v14
	v_add_co_u32_e32 v10, vcc, s8, v10
	global_store_dwordx2 v[15:16], v[3:4], off
	global_load_dwordx2 v[3:4], v[5:6], off
	v_mov_b32_e32 v15, s9
	v_addc_co_u32_e32 v11, vcc, v15, v11, vcc
	s_waitcnt vmcnt(0)
	v_fma_f64 v[3:4], -v[12:13], v[30:31], v[3:4]
	global_store_dwordx2 v[5:6], v[3:4], off
	global_load_dwordx2 v[3:4], v[10:11], off
	v_lshlrev_b64 v[5:6], 3, v[1:2]
	v_add_u32_e32 v1, s12, v14
	v_add_co_u32_e32 v5, vcc, s8, v5
	v_addc_co_u32_e32 v6, vcc, v15, v6, vcc
	s_waitcnt vmcnt(0)
	v_fma_f64 v[3:4], -v[12:13], v[32:33], v[3:4]
	global_store_dwordx2 v[10:11], v[3:4], off
	global_load_dwordx2 v[3:4], v[5:6], off
	v_lshlrev_b64 v[10:11], 3, v[1:2]
	v_add_u32_e32 v1, s13, v14
	v_add_co_u32_e32 v10, vcc, s8, v10
	;; [unrolled: 8-line block ×4, first 2 shown]
	v_addc_co_u32_e32 v11, vcc, v15, v11, vcc
	s_waitcnt vmcnt(0)
	v_fma_f64 v[3:4], -v[12:13], v[28:29], v[3:4]
	global_store_dwordx2 v[5:6], v[3:4], off
	global_load_dwordx2 v[3:4], v[10:11], off
	v_lshlrev_b64 v[5:6], 3, v[1:2]
	s_waitcnt vmcnt(0)
	v_fma_f64 v[3:4], -v[12:13], v[36:37], v[3:4]
	global_store_dwordx2 v[10:11], v[3:4], off
	v_add_co_u32_e32 v3, vcc, s8, v5
	v_addc_co_u32_e32 v4, vcc, v15, v6, vcc
	global_load_dwordx2 v[5:6], v[3:4], off
	s_waitcnt vmcnt(0)
	v_fma_f64 v[5:6], -v[12:13], v[38:39], v[5:6]
	global_store_dwordx2 v[3:4], v[5:6], off
                                        ; implicit-def: $vgpr5
                                        ; implicit-def: $vgpr3_vgpr4
.LBB160_27:                             ;   in Loop: Header=BB160_25 Depth=1
	s_or_saveexec_b64 s[2:3], s[2:3]
	v_mov_b32_e32 v1, s18
	s_xor_b64 exec, exec, s[2:3]
	s_cbranch_execz .LBB160_24
; %bb.28:                               ;   in Loop: Header=BB160_25 Depth=1
	v_add_u32_e32 v6, v71, v7
	v_add_u32_e32 v1, s4, v6
	v_lshlrev_b64 v[10:11], 3, v[1:2]
	v_mov_b32_e32 v1, s9
	v_add_co_u32_e32 v10, vcc, s8, v10
	v_addc_co_u32_e32 v11, vcc, v1, v11, vcc
	v_add_u32_e32 v1, s4, v5
	v_lshlrev_b64 v[12:13], 3, v[1:2]
	v_mov_b32_e32 v1, s9
	v_add_co_u32_e32 v12, vcc, s8, v12
	v_addc_co_u32_e32 v13, vcc, v1, v13, vcc
	global_load_dwordx2 v[14:15], v[10:11], off
	global_load_dwordx2 v[16:17], v[12:13], off
	v_add_u32_e32 v1, s5, v6
	v_lshlrev_b64 v[10:11], 3, v[1:2]
	v_add_u32_e32 v1, s5, v5
	v_mov_b32_e32 v20, s9
	v_lshlrev_b64 v[18:19], 3, v[1:2]
	v_add_co_u32_e32 v10, vcc, s8, v10
	v_addc_co_u32_e32 v11, vcc, v20, v11, vcc
	v_mov_b32_e32 v21, s9
	v_add_u32_e32 v1, s6, v6
	s_waitcnt vmcnt(0)
	v_fma_f64 v[14:15], -v[3:4], v[14:15], v[16:17]
	v_add_co_u32_e32 v16, vcc, s8, v18
	v_addc_co_u32_e32 v17, vcc, v21, v19, vcc
	global_store_dwordx2 v[12:13], v[14:15], off
	global_load_dwordx2 v[12:13], v[10:11], off
	s_nop 0
	global_load_dwordx2 v[14:15], v[16:17], off
	v_lshlrev_b64 v[10:11], 3, v[1:2]
	v_add_u32_e32 v1, s6, v5
	v_lshlrev_b64 v[18:19], 3, v[1:2]
	v_add_co_u32_e32 v10, vcc, s8, v10
	v_addc_co_u32_e32 v11, vcc, v20, v11, vcc
	v_add_u32_e32 v1, s7, v6
	s_waitcnt vmcnt(0)
	v_fma_f64 v[12:13], -v[3:4], v[12:13], v[14:15]
	v_add_co_u32_e32 v14, vcc, s8, v18
	v_addc_co_u32_e32 v15, vcc, v21, v19, vcc
	global_store_dwordx2 v[16:17], v[12:13], off
	global_load_dwordx2 v[12:13], v[10:11], off
	s_nop 0
	global_load_dwordx2 v[16:17], v[14:15], off
	v_lshlrev_b64 v[10:11], 3, v[1:2]
	v_add_u32_e32 v1, s7, v5
	v_lshlrev_b64 v[18:19], 3, v[1:2]
	v_add_co_u32_e32 v10, vcc, s8, v10
	v_addc_co_u32_e32 v11, vcc, v20, v11, vcc
	v_add_u32_e32 v1, s12, v6
	s_waitcnt vmcnt(0)
	v_fma_f64 v[12:13], -v[3:4], v[12:13], v[16:17]
	v_add_co_u32_e32 v16, vcc, s8, v18
	v_addc_co_u32_e32 v17, vcc, v21, v19, vcc
	global_store_dwordx2 v[14:15], v[12:13], off
	global_load_dwordx2 v[12:13], v[10:11], off
	s_nop 0
	global_load_dwordx2 v[14:15], v[16:17], off
	v_lshlrev_b64 v[10:11], 3, v[1:2]
	v_add_u32_e32 v1, s12, v5
	v_lshlrev_b64 v[18:19], 3, v[1:2]
	v_add_co_u32_e32 v10, vcc, s8, v10
	v_addc_co_u32_e32 v11, vcc, v20, v11, vcc
	v_add_u32_e32 v1, s13, v6
	s_waitcnt vmcnt(0)
	v_fma_f64 v[12:13], -v[3:4], v[12:13], v[14:15]
	v_add_co_u32_e32 v14, vcc, s8, v18
	v_addc_co_u32_e32 v15, vcc, v21, v19, vcc
	global_store_dwordx2 v[16:17], v[12:13], off
	global_load_dwordx2 v[12:13], v[10:11], off
	s_nop 0
	global_load_dwordx2 v[16:17], v[14:15], off
	v_lshlrev_b64 v[10:11], 3, v[1:2]
	v_add_u32_e32 v1, s13, v5
	v_lshlrev_b64 v[18:19], 3, v[1:2]
	v_add_co_u32_e32 v10, vcc, s8, v10
	v_addc_co_u32_e32 v11, vcc, v20, v11, vcc
	v_add_u32_e32 v1, s14, v6
	s_waitcnt vmcnt(0)
	v_fma_f64 v[12:13], -v[3:4], v[12:13], v[16:17]
	v_add_co_u32_e32 v16, vcc, s8, v18
	v_addc_co_u32_e32 v17, vcc, v21, v19, vcc
	global_store_dwordx2 v[14:15], v[12:13], off
	global_load_dwordx2 v[12:13], v[10:11], off
	s_nop 0
	global_load_dwordx2 v[14:15], v[16:17], off
	v_lshlrev_b64 v[10:11], 3, v[1:2]
	v_add_u32_e32 v1, s14, v5
	v_lshlrev_b64 v[18:19], 3, v[1:2]
	v_add_co_u32_e32 v10, vcc, s8, v10
	v_addc_co_u32_e32 v11, vcc, v20, v11, vcc
	v_add_u32_e32 v1, s15, v6
	s_waitcnt vmcnt(0)
	v_fma_f64 v[12:13], -v[3:4], v[12:13], v[14:15]
	v_add_co_u32_e32 v14, vcc, s8, v18
	v_addc_co_u32_e32 v15, vcc, v21, v19, vcc
	v_mov_b32_e32 v18, s9
	v_mov_b32_e32 v19, s9
	global_store_dwordx2 v[16:17], v[12:13], off
	global_load_dwordx2 v[12:13], v[10:11], off
	s_nop 0
	global_load_dwordx2 v[16:17], v[14:15], off
	v_lshlrev_b64 v[10:11], 3, v[1:2]
	v_add_u32_e32 v1, s15, v5
	v_lshlrev_b64 v[5:6], 3, v[1:2]
	v_add_co_u32_e32 v10, vcc, s8, v10
	v_addc_co_u32_e32 v11, vcc, v18, v11, vcc
	v_add_co_u32_e32 v5, vcc, s8, v5
	v_addc_co_u32_e32 v6, vcc, v19, v6, vcc
	v_mov_b32_e32 v1, s22
	s_waitcnt vmcnt(0)
	v_fma_f64 v[12:13], -v[3:4], v[12:13], v[16:17]
	global_store_dwordx2 v[14:15], v[12:13], off
	global_load_dwordx2 v[12:13], v[10:11], off
	s_nop 0
	global_load_dwordx2 v[14:15], v[5:6], off
	s_waitcnt vmcnt(0)
	v_fma_f64 v[3:4], -v[3:4], v[12:13], v[14:15]
	global_store_dwordx2 v[5:6], v[3:4], off
	s_branch .LBB160_24
.LBB160_29:
	s_endpgm
	.section	.rodata,"a",@progbits
	.p2align	6, 0x0
	.amdhsa_kernel _ZN9rocsparseL19gtsv_LBM_rhs_kernelILj256ELj128ELj8EdEEviiiPKT2_S3_S3_PS1_S3_PKi
		.amdhsa_group_segment_fixed_size 0
		.amdhsa_private_segment_fixed_size 0
		.amdhsa_kernarg_size 64
		.amdhsa_user_sgpr_count 6
		.amdhsa_user_sgpr_private_segment_buffer 1
		.amdhsa_user_sgpr_dispatch_ptr 0
		.amdhsa_user_sgpr_queue_ptr 0
		.amdhsa_user_sgpr_kernarg_segment_ptr 1
		.amdhsa_user_sgpr_dispatch_id 0
		.amdhsa_user_sgpr_flat_scratch_init 0
		.amdhsa_user_sgpr_private_segment_size 0
		.amdhsa_uses_dynamic_stack 0
		.amdhsa_system_sgpr_private_segment_wavefront_offset 0
		.amdhsa_system_sgpr_workgroup_id_x 1
		.amdhsa_system_sgpr_workgroup_id_y 1
		.amdhsa_system_sgpr_workgroup_id_z 0
		.amdhsa_system_sgpr_workgroup_info 0
		.amdhsa_system_vgpr_workitem_id 0
		.amdhsa_next_free_vgpr 117
		.amdhsa_next_free_sgpr 37
		.amdhsa_reserve_vcc 1
		.amdhsa_reserve_flat_scratch 0
		.amdhsa_float_round_mode_32 0
		.amdhsa_float_round_mode_16_64 0
		.amdhsa_float_denorm_mode_32 3
		.amdhsa_float_denorm_mode_16_64 3
		.amdhsa_dx10_clamp 1
		.amdhsa_ieee_mode 1
		.amdhsa_fp16_overflow 0
		.amdhsa_exception_fp_ieee_invalid_op 0
		.amdhsa_exception_fp_denorm_src 0
		.amdhsa_exception_fp_ieee_div_zero 0
		.amdhsa_exception_fp_ieee_overflow 0
		.amdhsa_exception_fp_ieee_underflow 0
		.amdhsa_exception_fp_ieee_inexact 0
		.amdhsa_exception_int_div_zero 0
	.end_amdhsa_kernel
	.section	.text._ZN9rocsparseL19gtsv_LBM_rhs_kernelILj256ELj128ELj8EdEEviiiPKT2_S3_S3_PS1_S3_PKi,"axG",@progbits,_ZN9rocsparseL19gtsv_LBM_rhs_kernelILj256ELj128ELj8EdEEviiiPKT2_S3_S3_PS1_S3_PKi,comdat
.Lfunc_end160:
	.size	_ZN9rocsparseL19gtsv_LBM_rhs_kernelILj256ELj128ELj8EdEEviiiPKT2_S3_S3_PS1_S3_PKi, .Lfunc_end160-_ZN9rocsparseL19gtsv_LBM_rhs_kernelILj256ELj128ELj8EdEEviiiPKT2_S3_S3_PS1_S3_PKi
                                        ; -- End function
	.set _ZN9rocsparseL19gtsv_LBM_rhs_kernelILj256ELj128ELj8EdEEviiiPKT2_S3_S3_PS1_S3_PKi.num_vgpr, 117
	.set _ZN9rocsparseL19gtsv_LBM_rhs_kernelILj256ELj128ELj8EdEEviiiPKT2_S3_S3_PS1_S3_PKi.num_agpr, 0
	.set _ZN9rocsparseL19gtsv_LBM_rhs_kernelILj256ELj128ELj8EdEEviiiPKT2_S3_S3_PS1_S3_PKi.numbered_sgpr, 37
	.set _ZN9rocsparseL19gtsv_LBM_rhs_kernelILj256ELj128ELj8EdEEviiiPKT2_S3_S3_PS1_S3_PKi.num_named_barrier, 0
	.set _ZN9rocsparseL19gtsv_LBM_rhs_kernelILj256ELj128ELj8EdEEviiiPKT2_S3_S3_PS1_S3_PKi.private_seg_size, 0
	.set _ZN9rocsparseL19gtsv_LBM_rhs_kernelILj256ELj128ELj8EdEEviiiPKT2_S3_S3_PS1_S3_PKi.uses_vcc, 1
	.set _ZN9rocsparseL19gtsv_LBM_rhs_kernelILj256ELj128ELj8EdEEviiiPKT2_S3_S3_PS1_S3_PKi.uses_flat_scratch, 0
	.set _ZN9rocsparseL19gtsv_LBM_rhs_kernelILj256ELj128ELj8EdEEviiiPKT2_S3_S3_PS1_S3_PKi.has_dyn_sized_stack, 0
	.set _ZN9rocsparseL19gtsv_LBM_rhs_kernelILj256ELj128ELj8EdEEviiiPKT2_S3_S3_PS1_S3_PKi.has_recursion, 0
	.set _ZN9rocsparseL19gtsv_LBM_rhs_kernelILj256ELj128ELj8EdEEviiiPKT2_S3_S3_PS1_S3_PKi.has_indirect_call, 0
	.section	.AMDGPU.csdata,"",@progbits
; Kernel info:
; codeLenInByte = 4992
; TotalNumSgprs: 41
; NumVgprs: 117
; ScratchSize: 0
; MemoryBound: 0
; FloatMode: 240
; IeeeMode: 1
; LDSByteSize: 0 bytes/workgroup (compile time only)
; SGPRBlocks: 5
; VGPRBlocks: 29
; NumSGPRsForWavesPerEU: 41
; NumVGPRsForWavesPerEU: 117
; Occupancy: 2
; WaveLimiterHint : 0
; COMPUTE_PGM_RSRC2:SCRATCH_EN: 0
; COMPUTE_PGM_RSRC2:USER_SGPR: 6
; COMPUTE_PGM_RSRC2:TRAP_HANDLER: 0
; COMPUTE_PGM_RSRC2:TGID_X_EN: 1
; COMPUTE_PGM_RSRC2:TGID_Y_EN: 1
; COMPUTE_PGM_RSRC2:TGID_Z_EN: 0
; COMPUTE_PGM_RSRC2:TIDIG_COMP_CNT: 0
	.section	.text._ZN9rocsparseL19gtsv_LBM_rhs_kernelILj256ELj128ELj4EdEEviiiPKT2_S3_S3_PS1_S3_PKi,"axG",@progbits,_ZN9rocsparseL19gtsv_LBM_rhs_kernelILj256ELj128ELj4EdEEviiiPKT2_S3_S3_PS1_S3_PKi,comdat
	.globl	_ZN9rocsparseL19gtsv_LBM_rhs_kernelILj256ELj128ELj4EdEEviiiPKT2_S3_S3_PS1_S3_PKi ; -- Begin function _ZN9rocsparseL19gtsv_LBM_rhs_kernelILj256ELj128ELj4EdEEviiiPKT2_S3_S3_PS1_S3_PKi
	.p2align	8
	.type	_ZN9rocsparseL19gtsv_LBM_rhs_kernelILj256ELj128ELj4EdEEviiiPKT2_S3_S3_PS1_S3_PKi,@function
_ZN9rocsparseL19gtsv_LBM_rhs_kernelILj256ELj128ELj4EdEEviiiPKT2_S3_S3_PS1_S3_PKi: ; @_ZN9rocsparseL19gtsv_LBM_rhs_kernelILj256ELj128ELj4EdEEviiiPKT2_S3_S3_PS1_S3_PKi
; %bb.0:
	s_load_dword s23, s[4:5], 0x0
	v_lshl_or_b32 v0, s6, 8, v0
	s_waitcnt lgkmcnt(0)
	s_lshr_b32 s22, s23, 7
	v_cmp_gt_i32_e32 vcc, s22, v0
	s_and_saveexec_b64 s[0:1], vcc
	s_cbranch_execz .LBB161_29
; %bb.1:
	s_load_dwordx4 s[8:11], s[4:5], 0x28
	s_load_dwordx2 s[16:17], s[4:5], 0x38
	s_cmp_lt_i32 s23, 1
	v_add_u32_e32 v39, s22, v0
	s_mul_i32 s24, s7, s23
	s_cbranch_scc1 .LBB161_21
; %bb.2:
	s_load_dwordx4 s[12:15], s[4:5], 0x10
	s_load_dwordx2 s[6:7], s[4:5], 0x20
	v_ashrrev_i32_e32 v1, 31, v0
	v_lshlrev_b64 v[1:2], 3, v[0:1]
	s_lshl_b32 s28, s24, 2
	s_waitcnt lgkmcnt(0)
	v_mov_b32_e32 v3, s15
	v_add_co_u32_e32 v1, vcc, s14, v1
	v_addc_co_u32_e32 v2, vcc, v3, v2, vcc
	global_load_dwordx2 v[5:6], v[1:2], off
	s_add_i32 s29, s28, s23
	s_add_i32 s30, s29, s23
	s_mul_i32 s25, s22, 0x7f
	s_mul_i32 s26, s22, 0x7e
	s_lshl_b32 s27, s22, 1
	v_add_u32_e32 v41, s22, v39
	s_add_i32 s31, s30, s23
	v_mov_b32_e32 v2, 0
	s_mov_b64 s[18:19], 0
	v_mov_b32_e32 v42, s7
	v_mov_b32_e32 v40, 0
	s_branch .LBB161_5
.LBB161_3:                              ;   in Loop: Header=BB161_5 Depth=1
	s_or_b64 exec, exec, s[4:5]
	v_fma_f64 v[5:6], -v[5:6], v[29:30], v[7:8]
	v_mov_b32_e32 v1, s22
.LBB161_4:                              ;   in Loop: Header=BB161_5 Depth=1
	s_or_b64 exec, exec, s[2:3]
	v_add_u32_e32 v40, v1, v40
	v_cmp_le_i32_e32 vcc, s23, v40
	s_or_b64 s[18:19], vcc, s[18:19]
	s_andn2_b64 exec, exec, s[18:19]
	s_cbranch_execz .LBB161_20
.LBB161_5:                              ; =>This Inner Loop Header: Depth=1
	v_add_u32_e32 v15, v40, v0
	v_ashrrev_i32_e32 v16, 31, v15
	v_lshlrev_b64 v[3:4], 3, v[15:16]
	v_mov_b32_e32 v7, 0
	v_add_co_u32_e32 v3, vcc, s6, v3
	v_addc_co_u32_e32 v4, vcc, v42, v4, vcc
	global_load_dwordx2 v[13:14], v[3:4], off
	v_mov_b32_e32 v3, 0
	v_mov_b32_e32 v8, 0
	;; [unrolled: 1-line block ×3, first 2 shown]
	v_cmp_gt_u32_e64 s[0:1], s25, v40
	s_and_saveexec_b64 s[2:3], s[0:1]
	s_cbranch_execz .LBB161_7
; %bb.6:                                ;   in Loop: Header=BB161_5 Depth=1
	v_add_u32_e32 v3, v39, v40
	v_ashrrev_i32_e32 v4, 31, v3
	v_lshlrev_b64 v[3:4], 3, v[3:4]
	v_mov_b32_e32 v1, s13
	v_add_co_u32_e32 v3, vcc, s12, v3
	v_addc_co_u32_e32 v4, vcc, v1, v4, vcc
	global_load_dwordx2 v[3:4], v[3:4], off
.LBB161_7:                              ;   in Loop: Header=BB161_5 Depth=1
	s_or_b64 exec, exec, s[2:3]
	s_and_saveexec_b64 s[2:3], s[0:1]
	s_cbranch_execz .LBB161_9
; %bb.8:                                ;   in Loop: Header=BB161_5 Depth=1
	v_add_u32_e32 v7, v39, v40
	v_ashrrev_i32_e32 v8, 31, v7
	v_lshlrev_b64 v[7:8], 3, v[7:8]
	v_mov_b32_e32 v1, s15
	v_add_co_u32_e32 v7, vcc, s14, v7
	v_addc_co_u32_e32 v8, vcc, v1, v8, vcc
	global_load_dwordx2 v[7:8], v[7:8], off
.LBB161_9:                              ;   in Loop: Header=BB161_5 Depth=1
	s_or_b64 exec, exec, s[2:3]
	v_mov_b32_e32 v11, 0
	v_mov_b32_e32 v9, 0
	;; [unrolled: 1-line block ×4, first 2 shown]
	s_and_saveexec_b64 s[2:3], s[0:1]
	s_cbranch_execz .LBB161_11
; %bb.10:                               ;   in Loop: Header=BB161_5 Depth=1
	v_add_u32_e32 v9, v39, v40
	v_ashrrev_i32_e32 v10, 31, v9
	v_lshlrev_b64 v[9:10], 3, v[9:10]
	v_mov_b32_e32 v1, s7
	v_add_co_u32_e32 v9, vcc, s6, v9
	v_addc_co_u32_e32 v10, vcc, v1, v10, vcc
	global_load_dwordx2 v[9:10], v[9:10], off
.LBB161_11:                             ;   in Loop: Header=BB161_5 Depth=1
	s_or_b64 exec, exec, s[2:3]
	v_cmp_gt_u32_e64 s[2:3], s26, v40
	s_and_saveexec_b64 s[4:5], s[2:3]
	s_cbranch_execz .LBB161_13
; %bb.12:                               ;   in Loop: Header=BB161_5 Depth=1
	v_add_u32_e32 v11, v41, v40
	v_ashrrev_i32_e32 v12, 31, v11
	v_lshlrev_b64 v[11:12], 3, v[11:12]
	v_mov_b32_e32 v1, s13
	v_add_co_u32_e32 v11, vcc, s12, v11
	v_addc_co_u32_e32 v12, vcc, v1, v12, vcc
	global_load_dwordx2 v[11:12], v[11:12], off
.LBB161_13:                             ;   in Loop: Header=BB161_5 Depth=1
	s_or_b64 exec, exec, s[4:5]
	v_lshlrev_b64 v[16:17], 2, v[15:16]
	v_mov_b32_e32 v1, s17
	v_add_co_u32_e32 v16, vcc, s16, v16
	v_addc_co_u32_e32 v17, vcc, v1, v17, vcc
	global_load_dword v1, v[16:17], off
	v_cmp_ne_u32_e64 s[4:5], s25, v40
	s_waitcnt vmcnt(2)
	v_mov_b32_e32 v27, s9
	s_waitcnt vmcnt(1)
	v_mul_f64 v[29:30], v[13:14], v[3:4]
	s_waitcnt vmcnt(0)
	v_cmp_ne_u32_e32 vcc, 1, v1
	v_add_u32_e32 v1, s28, v15
	v_lshlrev_b64 v[16:17], 3, v[1:2]
	s_and_b64 s[4:5], s[4:5], vcc
	v_add_co_u32_e32 v21, vcc, s8, v16
	v_add_u32_e32 v1, s29, v15
	v_addc_co_u32_e32 v22, vcc, v27, v17, vcc
	v_lshlrev_b64 v[17:18], 3, v[1:2]
	v_add_u32_e32 v1, s30, v15
	v_add_co_u32_e32 v17, vcc, s8, v17
	v_lshlrev_b64 v[19:20], 3, v[1:2]
	v_addc_co_u32_e32 v18, vcc, v27, v18, vcc
	v_add_u32_e32 v1, s31, v15
	v_add_co_u32_e32 v19, vcc, s8, v19
	v_lshlrev_b64 v[15:16], 3, v[1:2]
	v_addc_co_u32_e32 v20, vcc, v27, v20, vcc
	v_add_co_u32_e32 v15, vcc, s8, v15
	v_addc_co_u32_e32 v16, vcc, v27, v16, vcc
	global_load_dwordx2 v[31:32], v[21:22], off
	global_load_dwordx2 v[23:24], v[17:18], off
	global_load_dwordx2 v[25:26], v[19:20], off
	global_load_dwordx2 v[27:28], v[15:16], off
	s_and_saveexec_b64 s[20:21], s[4:5]
	s_xor_b64 s[4:5], exec, s[20:21]
	s_cbranch_execz .LBB161_17
; %bb.14:                               ;   in Loop: Header=BB161_5 Depth=1
	v_fma_f64 v[29:30], v[5:6], v[7:8], -v[29:30]
	v_div_scale_f64 v[33:34], s[20:21], v[29:30], v[29:30], 1.0
	v_rcp_f64_e32 v[35:36], v[33:34]
	v_fma_f64 v[37:38], -v[33:34], v[35:36], 1.0
	v_fma_f64 v[35:36], v[35:36], v[37:38], v[35:36]
	v_fma_f64 v[37:38], -v[33:34], v[35:36], 1.0
	v_fma_f64 v[35:36], v[35:36], v[37:38], v[35:36]
	v_div_scale_f64 v[37:38], vcc, 1.0, v[29:30], 1.0
	v_mul_f64 v[43:44], v[37:38], v[35:36]
	v_fma_f64 v[33:34], -v[33:34], v[43:44], v[37:38]
	v_add_u32_e32 v37, v39, v40
	v_add_u32_e32 v1, s28, v37
	v_mov_b32_e32 v38, s9
	v_div_fmas_f64 v[33:34], v[33:34], v[35:36], v[43:44]
	v_lshlrev_b64 v[35:36], 3, v[1:2]
	v_add_u32_e32 v1, s29, v37
	v_add_co_u32_e32 v43, vcc, s8, v35
	v_addc_co_u32_e32 v44, vcc, v38, v36, vcc
	v_lshlrev_b64 v[35:36], 3, v[1:2]
	v_add_u32_e32 v1, s30, v37
	v_add_co_u32_e32 v45, vcc, s8, v35
	v_addc_co_u32_e32 v46, vcc, v38, v36, vcc
	v_lshlrev_b64 v[35:36], 3, v[1:2]
	v_add_u32_e32 v1, s31, v37
	v_add_co_u32_e32 v47, vcc, s8, v35
	v_div_fixup_f64 v[29:30], v[33:34], v[29:30], 1.0
	global_load_dwordx2 v[33:34], v[43:44], off
	v_addc_co_u32_e32 v48, vcc, v38, v36, vcc
	v_lshlrev_b64 v[35:36], 3, v[1:2]
	v_add_co_u32_e32 v49, vcc, s8, v35
	v_addc_co_u32_e32 v50, vcc, v38, v36, vcc
	global_load_dwordx2 v[37:38], v[45:46], off
	global_load_dwordx2 v[51:52], v[47:48], off
	;; [unrolled: 1-line block ×3, first 2 shown]
	s_waitcnt vmcnt(7)
	v_mul_f64 v[31:32], v[29:30], v[31:32]
	s_waitcnt vmcnt(3)
	v_mul_f64 v[35:36], v[29:30], v[33:34]
	;; [unrolled: 2-line block ×3, first 2 shown]
	v_mul_f64 v[33:34], v[13:14], v[35:36]
	v_fma_f64 v[33:34], v[7:8], v[31:32], -v[33:34]
	global_store_dwordx2 v[21:22], v[33:34], off
	v_mul_f64 v[33:34], v[29:30], v[23:24]
	v_mul_f64 v[21:22], v[13:14], v[37:38]
	v_fma_f64 v[21:22], v[7:8], v[33:34], -v[21:22]
	global_store_dwordx2 v[17:18], v[21:22], off
	s_waitcnt vmcnt(3)
	v_mul_f64 v[21:22], v[29:30], v[51:52]
	v_mul_f64 v[17:18], v[29:30], v[25:26]
	;; [unrolled: 1-line block ×3, first 2 shown]
	v_fma_f64 v[23:24], v[7:8], v[17:18], -v[23:24]
	global_store_dwordx2 v[19:20], v[23:24], off
	s_waitcnt vmcnt(3)
	v_mul_f64 v[19:20], v[29:30], v[53:54]
	v_mul_f64 v[23:24], v[29:30], v[27:28]
	;; [unrolled: 1-line block ×3, first 2 shown]
	v_fma_f64 v[7:8], v[7:8], v[23:24], -v[13:14]
	v_mul_f64 v[13:14], v[3:4], v[17:18]
	global_store_dwordx2 v[15:16], v[7:8], off
	v_mul_f64 v[7:8], v[3:4], v[31:32]
	v_fma_f64 v[13:14], v[5:6], v[21:22], -v[13:14]
	v_fma_f64 v[7:8], v[5:6], v[35:36], -v[7:8]
	global_store_dwordx2 v[43:44], v[7:8], off
	v_mul_f64 v[7:8], v[3:4], v[33:34]
	v_fma_f64 v[7:8], v[5:6], v[37:38], -v[7:8]
	global_store_dwordx2 v[45:46], v[7:8], off
	v_mul_f64 v[7:8], v[3:4], v[23:24]
	v_fma_f64 v[15:16], v[5:6], v[19:20], -v[7:8]
	v_mov_b32_e32 v7, 0
	v_mov_b32_e32 v8, 0
	global_store_dwordx2 v[47:48], v[13:14], off
	global_store_dwordx2 v[49:50], v[15:16], off
	s_and_saveexec_b64 s[20:21], s[2:3]
	s_cbranch_execz .LBB161_16
; %bb.15:                               ;   in Loop: Header=BB161_5 Depth=1
	v_add_u32_e32 v7, v41, v40
	v_add_u32_e32 v1, s28, v7
	v_lshlrev_b64 v[13:14], 3, v[1:2]
	v_add_u32_e32 v1, s29, v7
	v_mov_b32_e32 v43, s9
	v_add_co_u32_e32 v13, vcc, s8, v13
	v_lshlrev_b64 v[15:16], 3, v[1:2]
	v_addc_co_u32_e32 v14, vcc, v43, v14, vcc
	v_add_co_u32_e32 v15, vcc, s8, v15
	v_addc_co_u32_e32 v16, vcc, v43, v16, vcc
	global_load_dwordx2 v[25:26], v[13:14], off
	global_load_dwordx2 v[27:28], v[15:16], off
	v_mul_f64 v[5:6], v[5:6], v[11:12]
	v_mul_f64 v[3:4], v[3:4], v[11:12]
	v_add_u32_e32 v1, s30, v7
	v_ashrrev_i32_e32 v8, 31, v7
	v_mul_f64 v[11:12], v[5:6], v[35:36]
	v_mul_f64 v[35:36], v[5:6], v[37:38]
	v_mov_b32_e32 v37, s15
	v_mul_f64 v[19:20], v[5:6], v[19:20]
	v_fma_f64 v[11:12], v[3:4], v[31:32], -v[11:12]
	v_fma_f64 v[31:32], v[3:4], v[33:34], -v[35:36]
	v_lshlrev_b64 v[35:36], 3, v[1:2]
	v_add_u32_e32 v1, s31, v7
	v_lshlrev_b64 v[33:34], 3, v[7:8]
	v_lshlrev_b64 v[7:8], 3, v[1:2]
	s_waitcnt vmcnt(1)
	v_add_f64 v[11:12], v[11:12], v[25:26]
	s_waitcnt vmcnt(0)
	v_add_f64 v[25:26], v[31:32], v[27:28]
	v_add_co_u32_e32 v27, vcc, s8, v35
	v_addc_co_u32_e32 v28, vcc, v43, v36, vcc
	v_add_co_u32_e32 v31, vcc, s8, v7
	v_addc_co_u32_e32 v32, vcc, v43, v8, vcc
	global_store_dwordx2 v[13:14], v[11:12], off
	global_store_dwordx2 v[15:16], v[25:26], off
	v_add_co_u32_e32 v13, vcc, s14, v33
	v_addc_co_u32_e32 v14, vcc, v37, v34, vcc
	global_load_dwordx2 v[7:8], v[27:28], off
	global_load_dwordx2 v[11:12], v[31:32], off
	v_mul_f64 v[15:16], v[5:6], v[21:22]
	global_load_dwordx2 v[13:14], v[13:14], off
	v_mul_f64 v[5:6], v[9:10], v[5:6]
	v_fma_f64 v[15:16], v[3:4], v[17:18], -v[15:16]
	v_fma_f64 v[3:4], v[3:4], v[23:24], -v[19:20]
	s_waitcnt vmcnt(2)
	v_add_f64 v[9:10], v[15:16], v[7:8]
	s_waitcnt vmcnt(1)
	v_add_f64 v[3:4], v[3:4], v[11:12]
	global_store_dwordx2 v[27:28], v[9:10], off
	global_store_dwordx2 v[31:32], v[3:4], off
	s_waitcnt vmcnt(2)
	v_fma_f64 v[7:8], -v[29:30], v[5:6], v[13:14]
.LBB161_16:                             ;   in Loop: Header=BB161_5 Depth=1
	s_or_b64 exec, exec, s[20:21]
	v_mov_b32_e32 v5, v7
	v_mov_b32_e32 v6, v8
                                        ; implicit-def: $vgpr3_vgpr4
                                        ; implicit-def: $vgpr7_vgpr8
                                        ; implicit-def: $vgpr29_vgpr30
                                        ; implicit-def: $vgpr21_vgpr22
                                        ; implicit-def: $vgpr31_vgpr32
                                        ; implicit-def: $vgpr17_vgpr18
                                        ; implicit-def: $vgpr23_vgpr24
                                        ; implicit-def: $vgpr19_vgpr20
                                        ; implicit-def: $vgpr25_vgpr26
                                        ; implicit-def: $vgpr15_vgpr16
                                        ; implicit-def: $vgpr27_vgpr28
.LBB161_17:                             ;   in Loop: Header=BB161_5 Depth=1
	s_or_saveexec_b64 s[2:3], s[4:5]
	v_mov_b32_e32 v1, s27
	s_xor_b64 exec, exec, s[2:3]
	s_cbranch_execz .LBB161_4
; %bb.18:                               ;   in Loop: Header=BB161_5 Depth=1
	v_div_scale_f64 v[9:10], s[4:5], v[5:6], v[5:6], 1.0
	v_rcp_f64_e32 v[11:12], v[9:10]
	v_fma_f64 v[13:14], -v[9:10], v[11:12], 1.0
	v_fma_f64 v[11:12], v[11:12], v[13:14], v[11:12]
	v_div_scale_f64 v[13:14], vcc, 1.0, v[5:6], 1.0
	v_fma_f64 v[33:34], -v[9:10], v[11:12], 1.0
	v_fma_f64 v[11:12], v[11:12], v[33:34], v[11:12]
	v_mul_f64 v[33:34], v[13:14], v[11:12]
	v_fma_f64 v[9:10], -v[9:10], v[33:34], v[13:14]
	v_div_fmas_f64 v[9:10], v[9:10], v[11:12], v[33:34]
	v_div_fixup_f64 v[5:6], v[9:10], v[5:6], 1.0
	s_waitcnt vmcnt(3)
	v_mul_f64 v[13:14], v[5:6], v[31:32]
	s_waitcnt vmcnt(2)
	v_mul_f64 v[23:24], v[5:6], v[23:24]
	;; [unrolled: 2-line block ×4, first 2 shown]
	global_store_dwordx2 v[21:22], v[13:14], off
	global_store_dwordx2 v[17:18], v[23:24], off
	;; [unrolled: 1-line block ×4, first 2 shown]
	s_and_saveexec_b64 s[4:5], s[0:1]
	s_cbranch_execz .LBB161_3
; %bb.19:                               ;   in Loop: Header=BB161_5 Depth=1
	v_add_u32_e32 v27, v39, v40
	v_add_u32_e32 v1, s28, v27
	v_lshlrev_b64 v[15:16], 3, v[1:2]
	v_add_u32_e32 v1, s29, v27
	v_mov_b32_e32 v31, s9
	v_add_co_u32_e32 v15, vcc, s8, v15
	v_lshlrev_b64 v[17:18], 3, v[1:2]
	v_addc_co_u32_e32 v16, vcc, v31, v16, vcc
	v_add_co_u32_e32 v17, vcc, s8, v17
	v_addc_co_u32_e32 v18, vcc, v31, v18, vcc
	global_load_dwordx2 v[19:20], v[15:16], off
	global_load_dwordx2 v[21:22], v[17:18], off
	v_add_u32_e32 v1, s30, v27
	v_lshlrev_b64 v[25:26], 3, v[1:2]
	v_add_u32_e32 v1, s31, v27
	v_lshlrev_b64 v[27:28], 3, v[1:2]
	s_waitcnt vmcnt(1)
	v_fma_f64 v[13:14], -v[3:4], v[13:14], v[19:20]
	s_waitcnt vmcnt(0)
	v_fma_f64 v[19:20], -v[3:4], v[23:24], v[21:22]
	v_add_co_u32_e32 v21, vcc, s8, v25
	v_addc_co_u32_e32 v22, vcc, v31, v26, vcc
	v_add_co_u32_e32 v23, vcc, s8, v27
	global_store_dwordx2 v[15:16], v[13:14], off
	global_store_dwordx2 v[17:18], v[19:20], off
	v_addc_co_u32_e32 v24, vcc, v31, v28, vcc
	global_load_dwordx2 v[13:14], v[21:22], off
	global_load_dwordx2 v[15:16], v[23:24], off
	s_waitcnt vmcnt(1)
	v_fma_f64 v[9:10], -v[3:4], v[9:10], v[13:14]
	s_waitcnt vmcnt(0)
	v_fma_f64 v[3:4], -v[3:4], v[11:12], v[15:16]
	global_store_dwordx2 v[21:22], v[9:10], off
	global_store_dwordx2 v[23:24], v[3:4], off
	s_branch .LBB161_3
.LBB161_20:
	s_or_b64 exec, exec, s[18:19]
	s_branch .LBB161_22
.LBB161_21:
	v_mov_b32_e32 v40, 0
.LBB161_22:
	v_subrev_u32_e32 v3, s22, v40
	v_add_u32_e32 v1, v3, v0
	v_ashrrev_i32_e32 v2, 31, v1
	v_lshlrev_b64 v[1:2], 2, v[1:2]
	s_waitcnt lgkmcnt(0)
	v_mov_b32_e32 v4, s17
	v_add_co_u32_e32 v1, vcc, s16, v1
	v_addc_co_u32_e32 v2, vcc, v4, v2, vcc
	s_waitcnt vmcnt(0)
	buffer_wbinvl1_vol
	global_load_dword v1, v[1:2], off
	s_waitcnt vmcnt(0)
	v_mul_lo_u32 v1, v1, s22
	v_sub_u32_e32 v7, v3, v1
	v_cmp_lt_i32_e32 vcc, -1, v7
	s_and_b64 exec, exec, vcc
	s_cbranch_execz .LBB161_29
; %bb.23:
	s_lshl_b32 s4, s24, 2
	s_add_i32 s5, s4, s23
	s_add_i32 s6, s5, s23
	s_add_i32 s7, s6, s23
	s_lshl_b32 s12, s22, 1
	s_mov_b64 s[0:1], 0
	v_mov_b32_e32 v8, s17
	v_mov_b32_e32 v9, s11
	;; [unrolled: 1-line block ×3, first 2 shown]
	s_branch .LBB161_25
.LBB161_24:                             ;   in Loop: Header=BB161_25 Depth=1
	s_or_b64 exec, exec, s[2:3]
	v_sub_u32_e32 v7, v7, v1
	v_cmp_gt_i32_e32 vcc, 0, v7
	s_or_b64 s[0:1], vcc, s[0:1]
	s_andn2_b64 exec, exec, s[0:1]
	s_cbranch_execz .LBB161_29
.LBB161_25:                             ; =>This Inner Loop Header: Depth=1
	v_add_u32_e32 v5, v7, v0
	v_ashrrev_i32_e32 v6, 31, v5
	s_waitcnt vmcnt(0)
	v_lshlrev_b64 v[3:4], 2, v[5:6]
	v_add_co_u32_e32 v3, vcc, s16, v3
	v_addc_co_u32_e32 v4, vcc, v8, v4, vcc
	global_load_dword v1, v[3:4], off
	v_lshlrev_b64 v[3:4], 3, v[5:6]
	v_add_co_u32_e32 v3, vcc, s10, v3
	v_addc_co_u32_e32 v4, vcc, v9, v4, vcc
	global_load_dwordx2 v[3:4], v[3:4], off
	s_waitcnt vmcnt(1)
	v_cmp_ne_u32_e32 vcc, 1, v1
	s_and_saveexec_b64 s[2:3], vcc
	s_xor_b64 s[2:3], exec, s[2:3]
	s_cbranch_execz .LBB161_27
; %bb.26:                               ;   in Loop: Header=BB161_25 Depth=1
	v_add_u32_e32 v6, v39, v7
	v_add_u32_e32 v1, s4, v6
	v_lshlrev_b64 v[10:11], 3, v[1:2]
	v_mov_b32_e32 v1, s9
	v_add_co_u32_e32 v10, vcc, s8, v10
	v_addc_co_u32_e32 v11, vcc, v1, v11, vcc
	v_add_u32_e32 v1, s5, v6
	v_lshlrev_b64 v[12:13], 3, v[1:2]
	v_add_u32_e32 v1, s6, v6
	v_lshlrev_b64 v[14:15], 3, v[1:2]
	;; [unrolled: 2-line block ×4, first 2 shown]
	v_mov_b32_e32 v1, s9
	v_add_co_u32_e32 v18, vcc, s8, v18
	v_addc_co_u32_e32 v19, vcc, v1, v19, vcc
	global_load_dwordx2 v[10:11], v[10:11], off
	v_add_co_u32_e32 v12, vcc, s8, v12
	global_load_dwordx2 v[20:21], v[18:19], off
	v_addc_co_u32_e32 v13, vcc, v1, v13, vcc
	v_mov_b32_e32 v6, s9
	v_add_co_u32_e32 v14, vcc, s8, v14
	v_addc_co_u32_e32 v15, vcc, v6, v15, vcc
	v_mov_b32_e32 v22, s9
	v_add_co_u32_e32 v16, vcc, s8, v16
	v_addc_co_u32_e32 v17, vcc, v22, v17, vcc
	global_load_dwordx2 v[22:23], v[12:13], off
	global_load_dwordx2 v[24:25], v[14:15], off
	;; [unrolled: 1-line block ×3, first 2 shown]
	v_add_u32_e32 v1, s5, v5
	v_lshlrev_b64 v[14:15], 3, v[1:2]
	v_add_u32_e32 v1, s6, v5
	v_add_co_u32_e32 v14, vcc, s8, v14
	v_addc_co_u32_e32 v15, vcc, v6, v15, vcc
	v_lshlrev_b64 v[16:17], 3, v[1:2]
	v_add_u32_e32 v1, s7, v5
	v_add_co_u32_e32 v16, vcc, s8, v16
	v_addc_co_u32_e32 v17, vcc, v6, v17, vcc
	v_lshlrev_b64 v[5:6], 3, v[1:2]
	v_subrev_u32_e32 v1, s22, v7
	v_add_co_u32_e32 v5, vcc, s8, v5
	s_waitcnt vmcnt(3)
	v_fma_f64 v[12:13], -v[3:4], v[10:11], v[20:21]
	global_store_dwordx2 v[18:19], v[12:13], off
	global_load_dwordx2 v[12:13], v[14:15], off
	s_waitcnt vmcnt(0)
	v_fma_f64 v[12:13], -v[3:4], v[22:23], v[12:13]
	global_store_dwordx2 v[14:15], v[12:13], off
	global_load_dwordx2 v[12:13], v[16:17], off
	v_mov_b32_e32 v14, s9
	v_addc_co_u32_e32 v6, vcc, v14, v6, vcc
	v_add_u32_e32 v14, v1, v0
	v_ashrrev_i32_e32 v15, 31, v14
	v_add_u32_e32 v1, s4, v14
	s_waitcnt vmcnt(0)
	v_fma_f64 v[12:13], -v[3:4], v[24:25], v[12:13]
	global_store_dwordx2 v[16:17], v[12:13], off
	global_load_dwordx2 v[12:13], v[5:6], off
	v_lshlrev_b64 v[15:16], 3, v[14:15]
	v_mov_b32_e32 v17, s9
	v_add_co_u32_e32 v15, vcc, s10, v15
	v_addc_co_u32_e32 v16, vcc, v9, v16, vcc
	s_waitcnt vmcnt(0)
	v_fma_f64 v[3:4], -v[3:4], v[26:27], v[12:13]
	global_load_dwordx2 v[12:13], v[15:16], off
	v_lshlrev_b64 v[15:16], 3, v[1:2]
	v_add_u32_e32 v1, s5, v14
	v_add_co_u32_e32 v15, vcc, s8, v15
	v_addc_co_u32_e32 v16, vcc, v17, v16, vcc
	global_store_dwordx2 v[5:6], v[3:4], off
	global_load_dwordx2 v[3:4], v[15:16], off
	v_lshlrev_b64 v[5:6], 3, v[1:2]
	v_add_u32_e32 v1, s6, v14
	v_add_co_u32_e32 v5, vcc, s8, v5
	s_waitcnt vmcnt(0)
	v_fma_f64 v[3:4], -v[12:13], v[10:11], v[3:4]
	v_mov_b32_e32 v10, s9
	v_addc_co_u32_e32 v6, vcc, v10, v6, vcc
	v_lshlrev_b64 v[10:11], 3, v[1:2]
	v_add_u32_e32 v1, s7, v14
	v_add_co_u32_e32 v10, vcc, s8, v10
	global_store_dwordx2 v[15:16], v[3:4], off
	global_load_dwordx2 v[3:4], v[5:6], off
	v_mov_b32_e32 v15, s9
	v_addc_co_u32_e32 v11, vcc, v15, v11, vcc
	s_waitcnt vmcnt(0)
	v_fma_f64 v[3:4], -v[12:13], v[22:23], v[3:4]
	global_store_dwordx2 v[5:6], v[3:4], off
	global_load_dwordx2 v[3:4], v[10:11], off
	v_lshlrev_b64 v[5:6], 3, v[1:2]
	s_waitcnt vmcnt(0)
	v_fma_f64 v[3:4], -v[12:13], v[24:25], v[3:4]
	global_store_dwordx2 v[10:11], v[3:4], off
	v_add_co_u32_e32 v3, vcc, s8, v5
	v_addc_co_u32_e32 v4, vcc, v15, v6, vcc
	global_load_dwordx2 v[5:6], v[3:4], off
	s_waitcnt vmcnt(0)
	v_fma_f64 v[5:6], -v[12:13], v[26:27], v[5:6]
	global_store_dwordx2 v[3:4], v[5:6], off
                                        ; implicit-def: $vgpr5
                                        ; implicit-def: $vgpr3_vgpr4
.LBB161_27:                             ;   in Loop: Header=BB161_25 Depth=1
	s_or_saveexec_b64 s[2:3], s[2:3]
	v_mov_b32_e32 v1, s12
	s_xor_b64 exec, exec, s[2:3]
	s_cbranch_execz .LBB161_24
; %bb.28:                               ;   in Loop: Header=BB161_25 Depth=1
	v_add_u32_e32 v6, v39, v7
	v_add_u32_e32 v1, s4, v6
	v_lshlrev_b64 v[10:11], 3, v[1:2]
	v_mov_b32_e32 v1, s9
	v_add_co_u32_e32 v10, vcc, s8, v10
	v_addc_co_u32_e32 v11, vcc, v1, v11, vcc
	v_add_u32_e32 v1, s4, v5
	v_lshlrev_b64 v[12:13], 3, v[1:2]
	v_mov_b32_e32 v1, s9
	v_add_co_u32_e32 v12, vcc, s8, v12
	v_addc_co_u32_e32 v13, vcc, v1, v13, vcc
	global_load_dwordx2 v[14:15], v[10:11], off
	global_load_dwordx2 v[16:17], v[12:13], off
	v_add_u32_e32 v1, s5, v6
	v_lshlrev_b64 v[10:11], 3, v[1:2]
	v_add_u32_e32 v1, s5, v5
	v_mov_b32_e32 v20, s9
	v_lshlrev_b64 v[18:19], 3, v[1:2]
	v_add_co_u32_e32 v10, vcc, s8, v10
	v_addc_co_u32_e32 v11, vcc, v20, v11, vcc
	v_mov_b32_e32 v21, s9
	v_add_u32_e32 v1, s6, v6
	s_waitcnt vmcnt(0)
	v_fma_f64 v[14:15], -v[3:4], v[14:15], v[16:17]
	v_add_co_u32_e32 v16, vcc, s8, v18
	v_addc_co_u32_e32 v17, vcc, v21, v19, vcc
	global_store_dwordx2 v[12:13], v[14:15], off
	global_load_dwordx2 v[12:13], v[10:11], off
	s_nop 0
	global_load_dwordx2 v[14:15], v[16:17], off
	v_lshlrev_b64 v[10:11], 3, v[1:2]
	v_add_u32_e32 v1, s6, v5
	v_lshlrev_b64 v[18:19], 3, v[1:2]
	v_add_co_u32_e32 v10, vcc, s8, v10
	v_addc_co_u32_e32 v11, vcc, v20, v11, vcc
	v_add_u32_e32 v1, s7, v6
	s_waitcnt vmcnt(0)
	v_fma_f64 v[12:13], -v[3:4], v[12:13], v[14:15]
	v_add_co_u32_e32 v14, vcc, s8, v18
	v_addc_co_u32_e32 v15, vcc, v21, v19, vcc
	v_mov_b32_e32 v18, s9
	v_mov_b32_e32 v19, s9
	global_store_dwordx2 v[16:17], v[12:13], off
	global_load_dwordx2 v[12:13], v[10:11], off
	s_nop 0
	global_load_dwordx2 v[16:17], v[14:15], off
	v_lshlrev_b64 v[10:11], 3, v[1:2]
	v_add_u32_e32 v1, s7, v5
	v_lshlrev_b64 v[5:6], 3, v[1:2]
	v_add_co_u32_e32 v10, vcc, s8, v10
	v_addc_co_u32_e32 v11, vcc, v18, v11, vcc
	v_add_co_u32_e32 v5, vcc, s8, v5
	v_addc_co_u32_e32 v6, vcc, v19, v6, vcc
	v_mov_b32_e32 v1, s22
	s_waitcnt vmcnt(0)
	v_fma_f64 v[12:13], -v[3:4], v[12:13], v[16:17]
	global_store_dwordx2 v[14:15], v[12:13], off
	global_load_dwordx2 v[12:13], v[10:11], off
	s_nop 0
	global_load_dwordx2 v[14:15], v[5:6], off
	s_waitcnt vmcnt(0)
	v_fma_f64 v[3:4], -v[3:4], v[12:13], v[14:15]
	global_store_dwordx2 v[5:6], v[3:4], off
	s_branch .LBB161_24
.LBB161_29:
	s_endpgm
	.section	.rodata,"a",@progbits
	.p2align	6, 0x0
	.amdhsa_kernel _ZN9rocsparseL19gtsv_LBM_rhs_kernelILj256ELj128ELj4EdEEviiiPKT2_S3_S3_PS1_S3_PKi
		.amdhsa_group_segment_fixed_size 0
		.amdhsa_private_segment_fixed_size 0
		.amdhsa_kernarg_size 64
		.amdhsa_user_sgpr_count 6
		.amdhsa_user_sgpr_private_segment_buffer 1
		.amdhsa_user_sgpr_dispatch_ptr 0
		.amdhsa_user_sgpr_queue_ptr 0
		.amdhsa_user_sgpr_kernarg_segment_ptr 1
		.amdhsa_user_sgpr_dispatch_id 0
		.amdhsa_user_sgpr_flat_scratch_init 0
		.amdhsa_user_sgpr_private_segment_size 0
		.amdhsa_uses_dynamic_stack 0
		.amdhsa_system_sgpr_private_segment_wavefront_offset 0
		.amdhsa_system_sgpr_workgroup_id_x 1
		.amdhsa_system_sgpr_workgroup_id_y 1
		.amdhsa_system_sgpr_workgroup_id_z 0
		.amdhsa_system_sgpr_workgroup_info 0
		.amdhsa_system_vgpr_workitem_id 0
		.amdhsa_next_free_vgpr 55
		.amdhsa_next_free_sgpr 32
		.amdhsa_reserve_vcc 1
		.amdhsa_reserve_flat_scratch 0
		.amdhsa_float_round_mode_32 0
		.amdhsa_float_round_mode_16_64 0
		.amdhsa_float_denorm_mode_32 3
		.amdhsa_float_denorm_mode_16_64 3
		.amdhsa_dx10_clamp 1
		.amdhsa_ieee_mode 1
		.amdhsa_fp16_overflow 0
		.amdhsa_exception_fp_ieee_invalid_op 0
		.amdhsa_exception_fp_denorm_src 0
		.amdhsa_exception_fp_ieee_div_zero 0
		.amdhsa_exception_fp_ieee_overflow 0
		.amdhsa_exception_fp_ieee_underflow 0
		.amdhsa_exception_fp_ieee_inexact 0
		.amdhsa_exception_int_div_zero 0
	.end_amdhsa_kernel
	.section	.text._ZN9rocsparseL19gtsv_LBM_rhs_kernelILj256ELj128ELj4EdEEviiiPKT2_S3_S3_PS1_S3_PKi,"axG",@progbits,_ZN9rocsparseL19gtsv_LBM_rhs_kernelILj256ELj128ELj4EdEEviiiPKT2_S3_S3_PS1_S3_PKi,comdat
.Lfunc_end161:
	.size	_ZN9rocsparseL19gtsv_LBM_rhs_kernelILj256ELj128ELj4EdEEviiiPKT2_S3_S3_PS1_S3_PKi, .Lfunc_end161-_ZN9rocsparseL19gtsv_LBM_rhs_kernelILj256ELj128ELj4EdEEviiiPKT2_S3_S3_PS1_S3_PKi
                                        ; -- End function
	.set _ZN9rocsparseL19gtsv_LBM_rhs_kernelILj256ELj128ELj4EdEEviiiPKT2_S3_S3_PS1_S3_PKi.num_vgpr, 55
	.set _ZN9rocsparseL19gtsv_LBM_rhs_kernelILj256ELj128ELj4EdEEviiiPKT2_S3_S3_PS1_S3_PKi.num_agpr, 0
	.set _ZN9rocsparseL19gtsv_LBM_rhs_kernelILj256ELj128ELj4EdEEviiiPKT2_S3_S3_PS1_S3_PKi.numbered_sgpr, 32
	.set _ZN9rocsparseL19gtsv_LBM_rhs_kernelILj256ELj128ELj4EdEEviiiPKT2_S3_S3_PS1_S3_PKi.num_named_barrier, 0
	.set _ZN9rocsparseL19gtsv_LBM_rhs_kernelILj256ELj128ELj4EdEEviiiPKT2_S3_S3_PS1_S3_PKi.private_seg_size, 0
	.set _ZN9rocsparseL19gtsv_LBM_rhs_kernelILj256ELj128ELj4EdEEviiiPKT2_S3_S3_PS1_S3_PKi.uses_vcc, 1
	.set _ZN9rocsparseL19gtsv_LBM_rhs_kernelILj256ELj128ELj4EdEEviiiPKT2_S3_S3_PS1_S3_PKi.uses_flat_scratch, 0
	.set _ZN9rocsparseL19gtsv_LBM_rhs_kernelILj256ELj128ELj4EdEEviiiPKT2_S3_S3_PS1_S3_PKi.has_dyn_sized_stack, 0
	.set _ZN9rocsparseL19gtsv_LBM_rhs_kernelILj256ELj128ELj4EdEEviiiPKT2_S3_S3_PS1_S3_PKi.has_recursion, 0
	.set _ZN9rocsparseL19gtsv_LBM_rhs_kernelILj256ELj128ELj4EdEEviiiPKT2_S3_S3_PS1_S3_PKi.has_indirect_call, 0
	.section	.AMDGPU.csdata,"",@progbits
; Kernel info:
; codeLenInByte = 3104
; TotalNumSgprs: 36
; NumVgprs: 55
; ScratchSize: 0
; MemoryBound: 0
; FloatMode: 240
; IeeeMode: 1
; LDSByteSize: 0 bytes/workgroup (compile time only)
; SGPRBlocks: 4
; VGPRBlocks: 13
; NumSGPRsForWavesPerEU: 36
; NumVGPRsForWavesPerEU: 55
; Occupancy: 4
; WaveLimiterHint : 0
; COMPUTE_PGM_RSRC2:SCRATCH_EN: 0
; COMPUTE_PGM_RSRC2:USER_SGPR: 6
; COMPUTE_PGM_RSRC2:TRAP_HANDLER: 0
; COMPUTE_PGM_RSRC2:TGID_X_EN: 1
; COMPUTE_PGM_RSRC2:TGID_Y_EN: 1
; COMPUTE_PGM_RSRC2:TGID_Z_EN: 0
; COMPUTE_PGM_RSRC2:TIDIG_COMP_CNT: 0
	.section	.text._ZN9rocsparseL19gtsv_LBM_rhs_kernelILj256ELj128ELj2EdEEviiiPKT2_S3_S3_PS1_S3_PKi,"axG",@progbits,_ZN9rocsparseL19gtsv_LBM_rhs_kernelILj256ELj128ELj2EdEEviiiPKT2_S3_S3_PS1_S3_PKi,comdat
	.globl	_ZN9rocsparseL19gtsv_LBM_rhs_kernelILj256ELj128ELj2EdEEviiiPKT2_S3_S3_PS1_S3_PKi ; -- Begin function _ZN9rocsparseL19gtsv_LBM_rhs_kernelILj256ELj128ELj2EdEEviiiPKT2_S3_S3_PS1_S3_PKi
	.p2align	8
	.type	_ZN9rocsparseL19gtsv_LBM_rhs_kernelILj256ELj128ELj2EdEEviiiPKT2_S3_S3_PS1_S3_PKi,@function
_ZN9rocsparseL19gtsv_LBM_rhs_kernelILj256ELj128ELj2EdEEviiiPKT2_S3_S3_PS1_S3_PKi: ; @_ZN9rocsparseL19gtsv_LBM_rhs_kernelILj256ELj128ELj2EdEEviiiPKT2_S3_S3_PS1_S3_PKi
; %bb.0:
	s_load_dword s23, s[4:5], 0x0
	v_lshl_or_b32 v0, s6, 8, v0
	s_waitcnt lgkmcnt(0)
	s_lshr_b32 s22, s23, 7
	v_cmp_gt_i32_e32 vcc, s22, v0
	s_and_saveexec_b64 s[0:1], vcc
	s_cbranch_execz .LBB162_29
; %bb.1:
	s_load_dwordx4 s[8:11], s[4:5], 0x28
	s_load_dwordx2 s[16:17], s[4:5], 0x38
	s_cmp_lt_i32 s23, 1
	v_add_u32_e32 v29, s22, v0
	s_mul_i32 s24, s7, s23
	s_cbranch_scc1 .LBB162_21
; %bb.2:
	s_load_dwordx4 s[12:15], s[4:5], 0x10
	s_load_dwordx2 s[6:7], s[4:5], 0x20
	v_ashrrev_i32_e32 v1, 31, v0
	v_lshlrev_b64 v[1:2], 3, v[0:1]
	s_lshl_b32 s28, s24, 1
	s_waitcnt lgkmcnt(0)
	v_mov_b32_e32 v3, s15
	v_add_co_u32_e32 v1, vcc, s14, v1
	v_addc_co_u32_e32 v2, vcc, v3, v2, vcc
	global_load_dwordx2 v[3:4], v[1:2], off
	s_mul_i32 s25, s22, 0x7f
	s_mul_i32 s26, s22, 0x7e
	s_lshl_b32 s27, s22, 1
	v_add_u32_e32 v31, s22, v29
	s_add_i32 s29, s28, s23
	v_mov_b32_e32 v2, 0
	s_mov_b64 s[18:19], 0
	v_mov_b32_e32 v32, s7
	v_mov_b32_e32 v30, 0
	s_branch .LBB162_5
.LBB162_3:                              ;   in Loop: Header=BB162_5 Depth=1
	s_or_b64 exec, exec, s[4:5]
	v_fma_f64 v[3:4], -v[3:4], v[21:22], v[7:8]
	v_mov_b32_e32 v1, s22
.LBB162_4:                              ;   in Loop: Header=BB162_5 Depth=1
	s_or_b64 exec, exec, s[2:3]
	v_add_u32_e32 v30, v1, v30
	v_cmp_le_i32_e32 vcc, s23, v30
	s_or_b64 s[18:19], vcc, s[18:19]
	s_andn2_b64 exec, exec, s[18:19]
	s_cbranch_execz .LBB162_20
.LBB162_5:                              ; =>This Inner Loop Header: Depth=1
	v_add_u32_e32 v17, v30, v0
	v_ashrrev_i32_e32 v18, 31, v17
	v_lshlrev_b64 v[5:6], 3, v[17:18]
	v_mov_b32_e32 v7, 0
	v_add_co_u32_e32 v5, vcc, s6, v5
	v_addc_co_u32_e32 v6, vcc, v32, v6, vcc
	global_load_dwordx2 v[13:14], v[5:6], off
	v_mov_b32_e32 v5, 0
	v_mov_b32_e32 v8, 0
	;; [unrolled: 1-line block ×3, first 2 shown]
	v_cmp_gt_u32_e64 s[0:1], s25, v30
	s_and_saveexec_b64 s[2:3], s[0:1]
	s_cbranch_execz .LBB162_7
; %bb.6:                                ;   in Loop: Header=BB162_5 Depth=1
	v_add_u32_e32 v5, v29, v30
	v_ashrrev_i32_e32 v6, 31, v5
	v_lshlrev_b64 v[5:6], 3, v[5:6]
	v_mov_b32_e32 v1, s13
	v_add_co_u32_e32 v5, vcc, s12, v5
	v_addc_co_u32_e32 v6, vcc, v1, v6, vcc
	global_load_dwordx2 v[5:6], v[5:6], off
.LBB162_7:                              ;   in Loop: Header=BB162_5 Depth=1
	s_or_b64 exec, exec, s[2:3]
	s_and_saveexec_b64 s[2:3], s[0:1]
	s_cbranch_execz .LBB162_9
; %bb.8:                                ;   in Loop: Header=BB162_5 Depth=1
	v_add_u32_e32 v7, v29, v30
	v_ashrrev_i32_e32 v8, 31, v7
	v_lshlrev_b64 v[7:8], 3, v[7:8]
	v_mov_b32_e32 v1, s15
	v_add_co_u32_e32 v7, vcc, s14, v7
	v_addc_co_u32_e32 v8, vcc, v1, v8, vcc
	global_load_dwordx2 v[7:8], v[7:8], off
.LBB162_9:                              ;   in Loop: Header=BB162_5 Depth=1
	s_or_b64 exec, exec, s[2:3]
	v_mov_b32_e32 v11, 0
	v_mov_b32_e32 v9, 0
	;; [unrolled: 1-line block ×4, first 2 shown]
	s_and_saveexec_b64 s[2:3], s[0:1]
	s_cbranch_execz .LBB162_11
; %bb.10:                               ;   in Loop: Header=BB162_5 Depth=1
	v_add_u32_e32 v9, v29, v30
	v_ashrrev_i32_e32 v10, 31, v9
	v_lshlrev_b64 v[9:10], 3, v[9:10]
	v_mov_b32_e32 v1, s7
	v_add_co_u32_e32 v9, vcc, s6, v9
	v_addc_co_u32_e32 v10, vcc, v1, v10, vcc
	global_load_dwordx2 v[9:10], v[9:10], off
.LBB162_11:                             ;   in Loop: Header=BB162_5 Depth=1
	s_or_b64 exec, exec, s[2:3]
	v_cmp_gt_u32_e64 s[2:3], s26, v30
	s_and_saveexec_b64 s[4:5], s[2:3]
	s_cbranch_execz .LBB162_13
; %bb.12:                               ;   in Loop: Header=BB162_5 Depth=1
	v_add_u32_e32 v11, v31, v30
	v_ashrrev_i32_e32 v12, 31, v11
	v_lshlrev_b64 v[11:12], 3, v[11:12]
	v_mov_b32_e32 v1, s13
	v_add_co_u32_e32 v11, vcc, s12, v11
	v_addc_co_u32_e32 v12, vcc, v1, v12, vcc
	global_load_dwordx2 v[11:12], v[11:12], off
.LBB162_13:                             ;   in Loop: Header=BB162_5 Depth=1
	s_or_b64 exec, exec, s[4:5]
	v_lshlrev_b64 v[15:16], 2, v[17:18]
	v_mov_b32_e32 v1, s17
	v_add_co_u32_e32 v15, vcc, s16, v15
	v_addc_co_u32_e32 v16, vcc, v1, v16, vcc
	global_load_dword v1, v[15:16], off
	v_cmp_ne_u32_e64 s[4:5], s25, v30
	s_waitcnt vmcnt(2)
	v_mov_b32_e32 v19, s9
	s_waitcnt vmcnt(1)
	v_mul_f64 v[21:22], v[13:14], v[5:6]
	s_waitcnt vmcnt(0)
	v_cmp_ne_u32_e32 vcc, 1, v1
	v_add_u32_e32 v1, s28, v17
	v_lshlrev_b64 v[15:16], 3, v[1:2]
	v_add_u32_e32 v1, s29, v17
	s_and_b64 s[4:5], s[4:5], vcc
	v_add_co_u32_e32 v15, vcc, s8, v15
	v_lshlrev_b64 v[17:18], 3, v[1:2]
	v_addc_co_u32_e32 v16, vcc, v19, v16, vcc
	v_add_co_u32_e32 v17, vcc, s8, v17
	v_addc_co_u32_e32 v18, vcc, v19, v18, vcc
	global_load_dwordx2 v[23:24], v[15:16], off
	global_load_dwordx2 v[19:20], v[17:18], off
	s_and_saveexec_b64 s[20:21], s[4:5]
	s_xor_b64 s[4:5], exec, s[20:21]
	s_cbranch_execz .LBB162_17
; %bb.14:                               ;   in Loop: Header=BB162_5 Depth=1
	v_fma_f64 v[21:22], v[3:4], v[7:8], -v[21:22]
	v_div_scale_f64 v[25:26], s[20:21], v[21:22], v[21:22], 1.0
	v_rcp_f64_e32 v[27:28], v[25:26]
	v_fma_f64 v[33:34], -v[25:26], v[27:28], 1.0
	v_fma_f64 v[27:28], v[27:28], v[33:34], v[27:28]
	v_fma_f64 v[33:34], -v[25:26], v[27:28], 1.0
	v_fma_f64 v[27:28], v[27:28], v[33:34], v[27:28]
	v_div_scale_f64 v[33:34], vcc, 1.0, v[21:22], 1.0
	v_mul_f64 v[35:36], v[33:34], v[27:28]
	v_fma_f64 v[25:26], -v[25:26], v[35:36], v[33:34]
	s_nop 1
	v_div_fmas_f64 v[25:26], v[25:26], v[27:28], v[35:36]
	v_add_u32_e32 v35, v29, v30
	v_add_u32_e32 v1, s28, v35
	v_lshlrev_b64 v[27:28], 3, v[1:2]
	v_mov_b32_e32 v36, s9
	v_add_co_u32_e32 v33, vcc, s8, v27
	v_addc_co_u32_e32 v34, vcc, v36, v28, vcc
	v_add_u32_e32 v1, s29, v35
	v_lshlrev_b64 v[27:28], 3, v[1:2]
	v_add_co_u32_e32 v35, vcc, s8, v27
	v_addc_co_u32_e32 v36, vcc, v36, v28, vcc
	v_div_fixup_f64 v[21:22], v[25:26], v[21:22], 1.0
	global_load_dwordx2 v[25:26], v[33:34], off
	global_load_dwordx2 v[37:38], v[35:36], off
	s_waitcnt vmcnt(3)
	v_mul_f64 v[23:24], v[21:22], v[23:24]
	s_waitcnt vmcnt(1)
	v_mul_f64 v[25:26], v[21:22], v[25:26]
	v_mul_f64 v[27:28], v[13:14], v[25:26]
	v_fma_f64 v[27:28], v[7:8], v[23:24], -v[27:28]
	global_store_dwordx2 v[15:16], v[27:28], off
	s_waitcnt vmcnt(1)
	v_mul_f64 v[27:28], v[21:22], v[37:38]
	v_mul_f64 v[15:16], v[21:22], v[19:20]
	;; [unrolled: 1-line block ×3, first 2 shown]
	v_fma_f64 v[7:8], v[7:8], v[15:16], -v[13:14]
	global_store_dwordx2 v[17:18], v[7:8], off
	v_mul_f64 v[7:8], v[5:6], v[23:24]
	v_fma_f64 v[7:8], v[3:4], v[25:26], -v[7:8]
	global_store_dwordx2 v[33:34], v[7:8], off
	v_mul_f64 v[7:8], v[5:6], v[15:16]
	v_fma_f64 v[13:14], v[3:4], v[27:28], -v[7:8]
	v_mov_b32_e32 v7, 0
	v_mov_b32_e32 v8, 0
	global_store_dwordx2 v[35:36], v[13:14], off
	s_and_saveexec_b64 s[20:21], s[2:3]
	s_cbranch_execz .LBB162_16
; %bb.15:                               ;   in Loop: Header=BB162_5 Depth=1
	v_add_u32_e32 v7, v31, v30
	v_add_u32_e32 v1, s28, v7
	v_lshlrev_b64 v[13:14], 3, v[1:2]
	v_add_u32_e32 v1, s29, v7
	v_mov_b32_e32 v8, s9
	v_add_co_u32_e32 v13, vcc, s8, v13
	v_lshlrev_b64 v[17:18], 3, v[1:2]
	v_addc_co_u32_e32 v14, vcc, v8, v14, vcc
	v_add_co_u32_e32 v17, vcc, s8, v17
	v_addc_co_u32_e32 v18, vcc, v8, v18, vcc
	v_ashrrev_i32_e32 v8, 31, v7
	v_lshlrev_b64 v[7:8], 3, v[7:8]
	v_mov_b32_e32 v1, s15
	v_add_co_u32_e32 v7, vcc, s14, v7
	v_addc_co_u32_e32 v8, vcc, v1, v8, vcc
	global_load_dwordx2 v[19:20], v[13:14], off
	global_load_dwordx2 v[33:34], v[17:18], off
	v_mul_f64 v[3:4], v[3:4], v[11:12]
	global_load_dwordx2 v[7:8], v[7:8], off
	v_mul_f64 v[5:6], v[5:6], v[11:12]
	v_mul_f64 v[11:12], v[3:4], v[25:26]
	;; [unrolled: 1-line block ×4, first 2 shown]
	v_fma_f64 v[11:12], v[5:6], v[23:24], -v[11:12]
	v_fma_f64 v[5:6], v[5:6], v[15:16], -v[25:26]
	s_waitcnt vmcnt(2)
	v_add_f64 v[9:10], v[11:12], v[19:20]
	s_waitcnt vmcnt(1)
	v_add_f64 v[5:6], v[5:6], v[33:34]
	global_store_dwordx2 v[13:14], v[9:10], off
	global_store_dwordx2 v[17:18], v[5:6], off
	s_waitcnt vmcnt(2)
	v_fma_f64 v[7:8], -v[21:22], v[3:4], v[7:8]
.LBB162_16:                             ;   in Loop: Header=BB162_5 Depth=1
	s_or_b64 exec, exec, s[20:21]
	v_mov_b32_e32 v3, v7
	v_mov_b32_e32 v4, v8
                                        ; implicit-def: $vgpr21_vgpr22
                                        ; implicit-def: $vgpr7_vgpr8
                                        ; implicit-def: $vgpr23_vgpr24
                                        ; implicit-def: $vgpr19_vgpr20
                                        ; implicit-def: $vgpr15_vgpr16
                                        ; implicit-def: $vgpr17_vgpr18
                                        ; implicit-def: $vgpr5_vgpr6
.LBB162_17:                             ;   in Loop: Header=BB162_5 Depth=1
	s_or_saveexec_b64 s[2:3], s[4:5]
	v_mov_b32_e32 v1, s27
	s_xor_b64 exec, exec, s[2:3]
	s_cbranch_execz .LBB162_4
; %bb.18:                               ;   in Loop: Header=BB162_5 Depth=1
	v_div_scale_f64 v[9:10], s[4:5], v[3:4], v[3:4], 1.0
	v_rcp_f64_e32 v[11:12], v[9:10]
	v_fma_f64 v[13:14], -v[9:10], v[11:12], 1.0
	v_fma_f64 v[11:12], v[11:12], v[13:14], v[11:12]
	v_div_scale_f64 v[13:14], vcc, 1.0, v[3:4], 1.0
	v_fma_f64 v[25:26], -v[9:10], v[11:12], 1.0
	v_fma_f64 v[11:12], v[11:12], v[25:26], v[11:12]
	v_mul_f64 v[25:26], v[13:14], v[11:12]
	v_fma_f64 v[9:10], -v[9:10], v[25:26], v[13:14]
	v_div_fmas_f64 v[9:10], v[9:10], v[11:12], v[25:26]
	v_div_fixup_f64 v[3:4], v[9:10], v[3:4], 1.0
	s_waitcnt vmcnt(1)
	v_mul_f64 v[9:10], v[3:4], v[23:24]
	s_waitcnt vmcnt(0)
	v_mul_f64 v[11:12], v[3:4], v[19:20]
	global_store_dwordx2 v[15:16], v[9:10], off
	global_store_dwordx2 v[17:18], v[11:12], off
	s_and_saveexec_b64 s[4:5], s[0:1]
	s_cbranch_execz .LBB162_3
; %bb.19:                               ;   in Loop: Header=BB162_5 Depth=1
	v_add_u32_e32 v15, v29, v30
	v_add_u32_e32 v1, s28, v15
	v_lshlrev_b64 v[13:14], 3, v[1:2]
	v_add_u32_e32 v1, s29, v15
	v_mov_b32_e32 v17, s9
	v_add_co_u32_e32 v13, vcc, s8, v13
	v_lshlrev_b64 v[15:16], 3, v[1:2]
	v_addc_co_u32_e32 v14, vcc, v17, v14, vcc
	v_add_co_u32_e32 v15, vcc, s8, v15
	v_addc_co_u32_e32 v16, vcc, v17, v16, vcc
	global_load_dwordx2 v[17:18], v[13:14], off
	global_load_dwordx2 v[19:20], v[15:16], off
	s_waitcnt vmcnt(1)
	v_fma_f64 v[9:10], -v[5:6], v[9:10], v[17:18]
	s_waitcnt vmcnt(0)
	v_fma_f64 v[5:6], -v[5:6], v[11:12], v[19:20]
	global_store_dwordx2 v[13:14], v[9:10], off
	global_store_dwordx2 v[15:16], v[5:6], off
	s_branch .LBB162_3
.LBB162_20:
	s_or_b64 exec, exec, s[18:19]
	s_branch .LBB162_22
.LBB162_21:
	v_mov_b32_e32 v30, 0
.LBB162_22:
	v_subrev_u32_e32 v3, s22, v30
	v_add_u32_e32 v1, v3, v0
	v_ashrrev_i32_e32 v2, 31, v1
	v_lshlrev_b64 v[1:2], 2, v[1:2]
	s_waitcnt lgkmcnt(0)
	v_mov_b32_e32 v4, s17
	v_add_co_u32_e32 v1, vcc, s16, v1
	v_addc_co_u32_e32 v2, vcc, v4, v2, vcc
	s_waitcnt vmcnt(0)
	buffer_wbinvl1_vol
	global_load_dword v1, v[1:2], off
	s_waitcnt vmcnt(0)
	v_mul_lo_u32 v1, v1, s22
	v_sub_u32_e32 v7, v3, v1
	v_cmp_lt_i32_e32 vcc, -1, v7
	s_and_b64 exec, exec, vcc
	s_cbranch_execz .LBB162_29
; %bb.23:
	s_lshl_b32 s4, s24, 1
	s_add_i32 s5, s4, s23
	s_lshl_b32 s6, s22, 1
	s_mov_b64 s[0:1], 0
	v_mov_b32_e32 v8, s17
	v_mov_b32_e32 v9, s11
	;; [unrolled: 1-line block ×3, first 2 shown]
	s_branch .LBB162_25
.LBB162_24:                             ;   in Loop: Header=BB162_25 Depth=1
	s_or_b64 exec, exec, s[2:3]
	v_sub_u32_e32 v7, v7, v1
	v_cmp_gt_i32_e32 vcc, 0, v7
	s_or_b64 s[0:1], vcc, s[0:1]
	s_andn2_b64 exec, exec, s[0:1]
	s_cbranch_execz .LBB162_29
.LBB162_25:                             ; =>This Inner Loop Header: Depth=1
	v_add_u32_e32 v5, v7, v0
	v_ashrrev_i32_e32 v6, 31, v5
	s_waitcnt vmcnt(0)
	v_lshlrev_b64 v[3:4], 2, v[5:6]
	v_add_co_u32_e32 v3, vcc, s16, v3
	v_addc_co_u32_e32 v4, vcc, v8, v4, vcc
	global_load_dword v1, v[3:4], off
	v_lshlrev_b64 v[3:4], 3, v[5:6]
	v_add_co_u32_e32 v3, vcc, s10, v3
	v_addc_co_u32_e32 v4, vcc, v9, v4, vcc
	global_load_dwordx2 v[3:4], v[3:4], off
	s_waitcnt vmcnt(1)
	v_cmp_ne_u32_e32 vcc, 1, v1
	s_and_saveexec_b64 s[2:3], vcc
	s_xor_b64 s[2:3], exec, s[2:3]
	s_cbranch_execz .LBB162_27
; %bb.26:                               ;   in Loop: Header=BB162_25 Depth=1
	v_add_u32_e32 v6, v29, v7
	v_add_u32_e32 v1, s4, v6
	v_lshlrev_b64 v[10:11], 3, v[1:2]
	v_mov_b32_e32 v1, s9
	v_add_co_u32_e32 v10, vcc, s8, v10
	v_addc_co_u32_e32 v11, vcc, v1, v11, vcc
	v_add_u32_e32 v1, s5, v6
	v_lshlrev_b64 v[12:13], 3, v[1:2]
	v_add_u32_e32 v1, s4, v5
	v_lshlrev_b64 v[14:15], 3, v[1:2]
	v_mov_b32_e32 v1, s9
	v_add_co_u32_e32 v14, vcc, s8, v14
	v_addc_co_u32_e32 v15, vcc, v1, v15, vcc
	global_load_dwordx2 v[16:17], v[10:11], off
	global_load_dwordx2 v[18:19], v[14:15], off
	v_add_co_u32_e32 v10, vcc, s8, v12
	v_addc_co_u32_e32 v11, vcc, v1, v13, vcc
	v_add_u32_e32 v1, s5, v5
	v_lshlrev_b64 v[5:6], 3, v[1:2]
	global_load_dwordx2 v[10:11], v[10:11], off
	v_add_co_u32_e32 v5, vcc, s8, v5
	v_subrev_u32_e32 v1, s22, v7
	v_mov_b32_e32 v20, s9
	s_waitcnt vmcnt(1)
	v_fma_f64 v[12:13], -v[3:4], v[16:17], v[18:19]
	v_mov_b32_e32 v18, s9
	v_addc_co_u32_e32 v6, vcc, v18, v6, vcc
	global_store_dwordx2 v[14:15], v[12:13], off
	global_load_dwordx2 v[12:13], v[5:6], off
	v_add_u32_e32 v14, v1, v0
	v_ashrrev_i32_e32 v15, 31, v14
	v_lshlrev_b64 v[18:19], 3, v[14:15]
	v_add_u32_e32 v1, s4, v14
	v_add_co_u32_e32 v18, vcc, s10, v18
	v_addc_co_u32_e32 v19, vcc, v9, v19, vcc
	v_mov_b32_e32 v15, s9
	s_waitcnt vmcnt(0)
	v_fma_f64 v[3:4], -v[3:4], v[10:11], v[12:13]
	global_load_dwordx2 v[12:13], v[18:19], off
	v_lshlrev_b64 v[18:19], 3, v[1:2]
	v_add_u32_e32 v1, s5, v14
	v_add_co_u32_e32 v18, vcc, s8, v18
	v_addc_co_u32_e32 v19, vcc, v20, v19, vcc
	global_store_dwordx2 v[5:6], v[3:4], off
	global_load_dwordx2 v[3:4], v[18:19], off
	v_lshlrev_b64 v[5:6], 3, v[1:2]
	s_waitcnt vmcnt(0)
	v_fma_f64 v[3:4], -v[12:13], v[16:17], v[3:4]
	global_store_dwordx2 v[18:19], v[3:4], off
	v_add_co_u32_e32 v3, vcc, s8, v5
	v_addc_co_u32_e32 v4, vcc, v15, v6, vcc
	global_load_dwordx2 v[5:6], v[3:4], off
	s_waitcnt vmcnt(0)
	v_fma_f64 v[5:6], -v[12:13], v[10:11], v[5:6]
	global_store_dwordx2 v[3:4], v[5:6], off
                                        ; implicit-def: $vgpr5
                                        ; implicit-def: $vgpr3_vgpr4
.LBB162_27:                             ;   in Loop: Header=BB162_25 Depth=1
	s_or_saveexec_b64 s[2:3], s[2:3]
	v_mov_b32_e32 v1, s6
	s_xor_b64 exec, exec, s[2:3]
	s_cbranch_execz .LBB162_24
; %bb.28:                               ;   in Loop: Header=BB162_25 Depth=1
	v_add_u32_e32 v6, v29, v7
	v_add_u32_e32 v1, s4, v6
	v_lshlrev_b64 v[10:11], 3, v[1:2]
	v_mov_b32_e32 v1, s9
	v_add_co_u32_e32 v10, vcc, s8, v10
	v_addc_co_u32_e32 v11, vcc, v1, v11, vcc
	v_add_u32_e32 v1, s4, v5
	v_lshlrev_b64 v[12:13], 3, v[1:2]
	v_mov_b32_e32 v1, s9
	v_add_co_u32_e32 v12, vcc, s8, v12
	v_addc_co_u32_e32 v13, vcc, v1, v13, vcc
	global_load_dwordx2 v[14:15], v[10:11], off
	global_load_dwordx2 v[16:17], v[12:13], off
	v_add_u32_e32 v1, s5, v6
	v_lshlrev_b64 v[10:11], 3, v[1:2]
	v_add_u32_e32 v1, s5, v5
	v_mov_b32_e32 v18, s9
	v_lshlrev_b64 v[5:6], 3, v[1:2]
	v_add_co_u32_e32 v10, vcc, s8, v10
	v_addc_co_u32_e32 v11, vcc, v18, v11, vcc
	v_mov_b32_e32 v19, s9
	v_add_co_u32_e32 v5, vcc, s8, v5
	v_addc_co_u32_e32 v6, vcc, v19, v6, vcc
	v_mov_b32_e32 v1, s22
	s_waitcnt vmcnt(0)
	v_fma_f64 v[14:15], -v[3:4], v[14:15], v[16:17]
	global_store_dwordx2 v[12:13], v[14:15], off
	global_load_dwordx2 v[12:13], v[10:11], off
	s_nop 0
	global_load_dwordx2 v[14:15], v[5:6], off
	s_waitcnt vmcnt(0)
	v_fma_f64 v[3:4], -v[3:4], v[12:13], v[14:15]
	global_store_dwordx2 v[5:6], v[3:4], off
	s_branch .LBB162_24
.LBB162_29:
	s_endpgm
	.section	.rodata,"a",@progbits
	.p2align	6, 0x0
	.amdhsa_kernel _ZN9rocsparseL19gtsv_LBM_rhs_kernelILj256ELj128ELj2EdEEviiiPKT2_S3_S3_PS1_S3_PKi
		.amdhsa_group_segment_fixed_size 0
		.amdhsa_private_segment_fixed_size 0
		.amdhsa_kernarg_size 64
		.amdhsa_user_sgpr_count 6
		.amdhsa_user_sgpr_private_segment_buffer 1
		.amdhsa_user_sgpr_dispatch_ptr 0
		.amdhsa_user_sgpr_queue_ptr 0
		.amdhsa_user_sgpr_kernarg_segment_ptr 1
		.amdhsa_user_sgpr_dispatch_id 0
		.amdhsa_user_sgpr_flat_scratch_init 0
		.amdhsa_user_sgpr_private_segment_size 0
		.amdhsa_uses_dynamic_stack 0
		.amdhsa_system_sgpr_private_segment_wavefront_offset 0
		.amdhsa_system_sgpr_workgroup_id_x 1
		.amdhsa_system_sgpr_workgroup_id_y 1
		.amdhsa_system_sgpr_workgroup_id_z 0
		.amdhsa_system_sgpr_workgroup_info 0
		.amdhsa_system_vgpr_workitem_id 0
		.amdhsa_next_free_vgpr 39
		.amdhsa_next_free_sgpr 30
		.amdhsa_reserve_vcc 1
		.amdhsa_reserve_flat_scratch 0
		.amdhsa_float_round_mode_32 0
		.amdhsa_float_round_mode_16_64 0
		.amdhsa_float_denorm_mode_32 3
		.amdhsa_float_denorm_mode_16_64 3
		.amdhsa_dx10_clamp 1
		.amdhsa_ieee_mode 1
		.amdhsa_fp16_overflow 0
		.amdhsa_exception_fp_ieee_invalid_op 0
		.amdhsa_exception_fp_denorm_src 0
		.amdhsa_exception_fp_ieee_div_zero 0
		.amdhsa_exception_fp_ieee_overflow 0
		.amdhsa_exception_fp_ieee_underflow 0
		.amdhsa_exception_fp_ieee_inexact 0
		.amdhsa_exception_int_div_zero 0
	.end_amdhsa_kernel
	.section	.text._ZN9rocsparseL19gtsv_LBM_rhs_kernelILj256ELj128ELj2EdEEviiiPKT2_S3_S3_PS1_S3_PKi,"axG",@progbits,_ZN9rocsparseL19gtsv_LBM_rhs_kernelILj256ELj128ELj2EdEEviiiPKT2_S3_S3_PS1_S3_PKi,comdat
.Lfunc_end162:
	.size	_ZN9rocsparseL19gtsv_LBM_rhs_kernelILj256ELj128ELj2EdEEviiiPKT2_S3_S3_PS1_S3_PKi, .Lfunc_end162-_ZN9rocsparseL19gtsv_LBM_rhs_kernelILj256ELj128ELj2EdEEviiiPKT2_S3_S3_PS1_S3_PKi
                                        ; -- End function
	.set _ZN9rocsparseL19gtsv_LBM_rhs_kernelILj256ELj128ELj2EdEEviiiPKT2_S3_S3_PS1_S3_PKi.num_vgpr, 39
	.set _ZN9rocsparseL19gtsv_LBM_rhs_kernelILj256ELj128ELj2EdEEviiiPKT2_S3_S3_PS1_S3_PKi.num_agpr, 0
	.set _ZN9rocsparseL19gtsv_LBM_rhs_kernelILj256ELj128ELj2EdEEviiiPKT2_S3_S3_PS1_S3_PKi.numbered_sgpr, 30
	.set _ZN9rocsparseL19gtsv_LBM_rhs_kernelILj256ELj128ELj2EdEEviiiPKT2_S3_S3_PS1_S3_PKi.num_named_barrier, 0
	.set _ZN9rocsparseL19gtsv_LBM_rhs_kernelILj256ELj128ELj2EdEEviiiPKT2_S3_S3_PS1_S3_PKi.private_seg_size, 0
	.set _ZN9rocsparseL19gtsv_LBM_rhs_kernelILj256ELj128ELj2EdEEviiiPKT2_S3_S3_PS1_S3_PKi.uses_vcc, 1
	.set _ZN9rocsparseL19gtsv_LBM_rhs_kernelILj256ELj128ELj2EdEEviiiPKT2_S3_S3_PS1_S3_PKi.uses_flat_scratch, 0
	.set _ZN9rocsparseL19gtsv_LBM_rhs_kernelILj256ELj128ELj2EdEEviiiPKT2_S3_S3_PS1_S3_PKi.has_dyn_sized_stack, 0
	.set _ZN9rocsparseL19gtsv_LBM_rhs_kernelILj256ELj128ELj2EdEEviiiPKT2_S3_S3_PS1_S3_PKi.has_recursion, 0
	.set _ZN9rocsparseL19gtsv_LBM_rhs_kernelILj256ELj128ELj2EdEEviiiPKT2_S3_S3_PS1_S3_PKi.has_indirect_call, 0
	.section	.AMDGPU.csdata,"",@progbits
; Kernel info:
; codeLenInByte = 2152
; TotalNumSgprs: 34
; NumVgprs: 39
; ScratchSize: 0
; MemoryBound: 0
; FloatMode: 240
; IeeeMode: 1
; LDSByteSize: 0 bytes/workgroup (compile time only)
; SGPRBlocks: 4
; VGPRBlocks: 9
; NumSGPRsForWavesPerEU: 34
; NumVGPRsForWavesPerEU: 39
; Occupancy: 6
; WaveLimiterHint : 0
; COMPUTE_PGM_RSRC2:SCRATCH_EN: 0
; COMPUTE_PGM_RSRC2:USER_SGPR: 6
; COMPUTE_PGM_RSRC2:TRAP_HANDLER: 0
; COMPUTE_PGM_RSRC2:TGID_X_EN: 1
; COMPUTE_PGM_RSRC2:TGID_Y_EN: 1
; COMPUTE_PGM_RSRC2:TGID_Z_EN: 0
; COMPUTE_PGM_RSRC2:TIDIG_COMP_CNT: 0
	.section	.text._ZN9rocsparseL19gtsv_LBM_rhs_kernelILj256ELj128ELj1EdEEviiiPKT2_S3_S3_PS1_S3_PKi,"axG",@progbits,_ZN9rocsparseL19gtsv_LBM_rhs_kernelILj256ELj128ELj1EdEEviiiPKT2_S3_S3_PS1_S3_PKi,comdat
	.globl	_ZN9rocsparseL19gtsv_LBM_rhs_kernelILj256ELj128ELj1EdEEviiiPKT2_S3_S3_PS1_S3_PKi ; -- Begin function _ZN9rocsparseL19gtsv_LBM_rhs_kernelILj256ELj128ELj1EdEEviiiPKT2_S3_S3_PS1_S3_PKi
	.p2align	8
	.type	_ZN9rocsparseL19gtsv_LBM_rhs_kernelILj256ELj128ELj1EdEEviiiPKT2_S3_S3_PS1_S3_PKi,@function
_ZN9rocsparseL19gtsv_LBM_rhs_kernelILj256ELj128ELj1EdEEviiiPKT2_S3_S3_PS1_S3_PKi: ; @_ZN9rocsparseL19gtsv_LBM_rhs_kernelILj256ELj128ELj1EdEEviiiPKT2_S3_S3_PS1_S3_PKi
; %bb.0:
	s_load_dword s24, s[4:5], 0x0
	v_lshl_or_b32 v0, s6, 8, v0
	s_waitcnt lgkmcnt(0)
	s_lshr_b32 s22, s24, 7
	v_cmp_gt_i32_e32 vcc, s22, v0
	s_and_saveexec_b64 s[0:1], vcc
	s_cbranch_execz .LBB163_29
; %bb.1:
	s_load_dwordx4 s[8:11], s[4:5], 0x28
	s_load_dwordx2 s[16:17], s[4:5], 0x38
	s_cmp_lt_i32 s24, 1
	s_mul_i32 s23, s24, s7
	s_cbranch_scc1 .LBB163_21
; %bb.2:
	s_load_dwordx4 s[12:15], s[4:5], 0x10
	s_load_dwordx2 s[6:7], s[4:5], 0x20
	v_ashrrev_i32_e32 v1, 31, v0
	v_lshlrev_b64 v[1:2], 3, v[0:1]
	v_add_u32_e32 v24, s22, v0
	s_waitcnt lgkmcnt(0)
	v_mov_b32_e32 v3, s15
	v_add_co_u32_e32 v1, vcc, s14, v1
	v_addc_co_u32_e32 v2, vcc, v3, v2, vcc
	global_load_dwordx2 v[3:4], v[1:2], off
	s_mul_i32 s25, s22, 0x7f
	s_mul_i32 s26, s22, 0x7e
	s_lshl_b32 s27, s22, 1
	v_add_u32_e32 v25, s22, v24
	v_add_u32_e32 v26, s23, v24
	v_mov_b32_e32 v2, 0
	s_mov_b64 s[18:19], 0
	v_mov_b32_e32 v27, s7
	v_mov_b32_e32 v23, 0
	s_branch .LBB163_5
.LBB163_3:                              ;   in Loop: Header=BB163_5 Depth=1
	s_or_b64 exec, exec, s[4:5]
	v_fma_f64 v[3:4], -v[3:4], v[19:20], v[7:8]
	v_mov_b32_e32 v1, s22
.LBB163_4:                              ;   in Loop: Header=BB163_5 Depth=1
	s_or_b64 exec, exec, s[2:3]
	v_add_u32_e32 v23, v1, v23
	v_cmp_le_i32_e32 vcc, s24, v23
	s_or_b64 s[18:19], vcc, s[18:19]
	s_andn2_b64 exec, exec, s[18:19]
	s_cbranch_execz .LBB163_20
.LBB163_5:                              ; =>This Inner Loop Header: Depth=1
	v_add_u32_e32 v15, v23, v0
	v_ashrrev_i32_e32 v16, 31, v15
	v_lshlrev_b64 v[5:6], 3, v[15:16]
	v_mov_b32_e32 v7, 0
	v_add_co_u32_e32 v5, vcc, s6, v5
	v_addc_co_u32_e32 v6, vcc, v27, v6, vcc
	global_load_dwordx2 v[9:10], v[5:6], off
	v_mov_b32_e32 v5, 0
	v_cmp_gt_u32_e64 s[0:1], s25, v23
	v_mov_b32_e32 v8, 0
	v_mov_b32_e32 v6, 0
	s_waitcnt vmcnt(1)
	v_add_u32_e32 v17, v24, v23
	s_and_saveexec_b64 s[2:3], s[0:1]
	s_cbranch_execz .LBB163_7
; %bb.6:                                ;   in Loop: Header=BB163_5 Depth=1
	v_ashrrev_i32_e32 v18, 31, v17
	v_lshlrev_b64 v[5:6], 3, v[17:18]
	v_mov_b32_e32 v1, s13
	v_add_co_u32_e32 v5, vcc, s12, v5
	v_addc_co_u32_e32 v6, vcc, v1, v6, vcc
	global_load_dwordx2 v[5:6], v[5:6], off
.LBB163_7:                              ;   in Loop: Header=BB163_5 Depth=1
	s_or_b64 exec, exec, s[2:3]
	s_and_saveexec_b64 s[2:3], s[0:1]
	s_cbranch_execz .LBB163_9
; %bb.8:                                ;   in Loop: Header=BB163_5 Depth=1
	v_ashrrev_i32_e32 v18, 31, v17
	v_lshlrev_b64 v[7:8], 3, v[17:18]
	v_mov_b32_e32 v1, s15
	v_add_co_u32_e32 v7, vcc, s14, v7
	v_addc_co_u32_e32 v8, vcc, v1, v8, vcc
	global_load_dwordx2 v[7:8], v[7:8], off
.LBB163_9:                              ;   in Loop: Header=BB163_5 Depth=1
	s_or_b64 exec, exec, s[2:3]
	v_mov_b32_e32 v13, 0
	v_mov_b32_e32 v11, 0
	v_mov_b32_e32 v14, 0
	v_mov_b32_e32 v12, 0
	s_and_saveexec_b64 s[2:3], s[0:1]
	s_cbranch_execz .LBB163_11
; %bb.10:                               ;   in Loop: Header=BB163_5 Depth=1
	v_ashrrev_i32_e32 v18, 31, v17
	v_lshlrev_b64 v[11:12], 3, v[17:18]
	v_mov_b32_e32 v1, s7
	v_add_co_u32_e32 v11, vcc, s6, v11
	v_addc_co_u32_e32 v12, vcc, v1, v12, vcc
	global_load_dwordx2 v[11:12], v[11:12], off
.LBB163_11:                             ;   in Loop: Header=BB163_5 Depth=1
	s_or_b64 exec, exec, s[2:3]
	v_cmp_gt_u32_e64 s[2:3], s26, v23
	s_and_saveexec_b64 s[4:5], s[2:3]
	s_cbranch_execz .LBB163_13
; %bb.12:                               ;   in Loop: Header=BB163_5 Depth=1
	v_add_u32_e32 v13, v25, v23
	v_ashrrev_i32_e32 v14, 31, v13
	v_lshlrev_b64 v[13:14], 3, v[13:14]
	v_mov_b32_e32 v1, s13
	v_add_co_u32_e32 v13, vcc, s12, v13
	v_addc_co_u32_e32 v14, vcc, v1, v14, vcc
	global_load_dwordx2 v[13:14], v[13:14], off
.LBB163_13:                             ;   in Loop: Header=BB163_5 Depth=1
	s_or_b64 exec, exec, s[4:5]
	v_lshlrev_b64 v[16:17], 2, v[15:16]
	v_mov_b32_e32 v1, s17
	v_add_co_u32_e32 v16, vcc, s16, v16
	v_addc_co_u32_e32 v17, vcc, v1, v17, vcc
	v_add_u32_e32 v1, s23, v15
	global_load_dword v21, v[16:17], off
	v_lshlrev_b64 v[15:16], 3, v[1:2]
	v_mov_b32_e32 v1, s9
	v_add_co_u32_e32 v15, vcc, s8, v15
	v_addc_co_u32_e32 v16, vcc, v1, v16, vcc
	global_load_dwordx2 v[17:18], v[15:16], off
	s_waitcnt vmcnt(2)
	v_mul_f64 v[19:20], v[9:10], v[5:6]
	v_cmp_ne_u32_e64 s[4:5], s25, v23
	s_waitcnt vmcnt(1)
	v_cmp_ne_u32_e32 vcc, 1, v21
	s_and_b64 s[4:5], s[4:5], vcc
	s_and_saveexec_b64 s[20:21], s[4:5]
	s_xor_b64 s[4:5], exec, s[20:21]
	s_cbranch_execz .LBB163_17
; %bb.14:                               ;   in Loop: Header=BB163_5 Depth=1
	v_fma_f64 v[19:20], v[3:4], v[7:8], -v[19:20]
	v_add_u32_e32 v1, v26, v23
	v_div_scale_f64 v[21:22], s[20:21], v[19:20], v[19:20], 1.0
	v_rcp_f64_e32 v[28:29], v[21:22]
	v_fma_f64 v[30:31], -v[21:22], v[28:29], 1.0
	v_fma_f64 v[28:29], v[28:29], v[30:31], v[28:29]
	v_fma_f64 v[30:31], -v[21:22], v[28:29], 1.0
	v_fma_f64 v[28:29], v[28:29], v[30:31], v[28:29]
	v_div_scale_f64 v[30:31], vcc, 1.0, v[19:20], 1.0
	v_mul_f64 v[32:33], v[30:31], v[28:29]
	v_fma_f64 v[21:22], -v[21:22], v[32:33], v[30:31]
	v_mov_b32_e32 v30, s9
	s_nop 0
	v_div_fmas_f64 v[21:22], v[21:22], v[28:29], v[32:33]
	v_lshlrev_b64 v[28:29], 3, v[1:2]
	v_add_co_u32_e32 v28, vcc, s8, v28
	v_addc_co_u32_e32 v29, vcc, v30, v29, vcc
	v_div_fixup_f64 v[19:20], v[21:22], v[19:20], 1.0
	global_load_dwordx2 v[21:22], v[28:29], off
	s_waitcnt vmcnt(1)
	v_mul_f64 v[17:18], v[19:20], v[17:18]
	s_waitcnt vmcnt(0)
	v_mul_f64 v[21:22], v[19:20], v[21:22]
	v_mul_f64 v[9:10], v[9:10], v[21:22]
	v_fma_f64 v[7:8], v[7:8], v[17:18], -v[9:10]
	global_store_dwordx2 v[15:16], v[7:8], off
	v_mul_f64 v[7:8], v[5:6], v[17:18]
	v_fma_f64 v[9:10], v[3:4], v[21:22], -v[7:8]
	v_mov_b32_e32 v7, 0
	v_mov_b32_e32 v8, 0
	global_store_dwordx2 v[28:29], v[9:10], off
	s_and_saveexec_b64 s[20:21], s[2:3]
	s_cbranch_execz .LBB163_16
; %bb.15:                               ;   in Loop: Header=BB163_5 Depth=1
	v_add_u32_e32 v7, v25, v23
	v_add_u32_e32 v1, s23, v7
	v_lshlrev_b64 v[8:9], 3, v[1:2]
	v_mov_b32_e32 v1, s9
	v_add_co_u32_e32 v15, vcc, s8, v8
	v_ashrrev_i32_e32 v8, 31, v7
	v_lshlrev_b64 v[7:8], 3, v[7:8]
	v_addc_co_u32_e32 v16, vcc, v1, v9, vcc
	v_mov_b32_e32 v1, s15
	v_add_co_u32_e32 v7, vcc, s14, v7
	v_addc_co_u32_e32 v8, vcc, v1, v8, vcc
	global_load_dwordx2 v[9:10], v[15:16], off
	v_mul_f64 v[3:4], v[3:4], v[13:14]
	global_load_dwordx2 v[7:8], v[7:8], off
	v_mul_f64 v[5:6], v[5:6], v[13:14]
	v_mul_f64 v[13:14], v[3:4], v[21:22]
	;; [unrolled: 1-line block ×3, first 2 shown]
	v_fma_f64 v[5:6], v[5:6], v[17:18], -v[13:14]
	s_waitcnt vmcnt(1)
	v_add_f64 v[5:6], v[5:6], v[9:10]
	s_waitcnt vmcnt(0)
	v_fma_f64 v[7:8], -v[19:20], v[3:4], v[7:8]
	global_store_dwordx2 v[15:16], v[5:6], off
.LBB163_16:                             ;   in Loop: Header=BB163_5 Depth=1
	s_or_b64 exec, exec, s[20:21]
	v_mov_b32_e32 v3, v7
	v_mov_b32_e32 v4, v8
                                        ; implicit-def: $vgpr19_vgpr20
                                        ; implicit-def: $vgpr7_vgpr8
                                        ; implicit-def: $vgpr17_vgpr18
                                        ; implicit-def: $vgpr15_vgpr16
                                        ; implicit-def: $vgpr5_vgpr6
.LBB163_17:                             ;   in Loop: Header=BB163_5 Depth=1
	s_or_saveexec_b64 s[2:3], s[4:5]
	v_mov_b32_e32 v1, s27
	s_xor_b64 exec, exec, s[2:3]
	s_cbranch_execz .LBB163_4
; %bb.18:                               ;   in Loop: Header=BB163_5 Depth=1
	v_div_scale_f64 v[9:10], s[4:5], v[3:4], v[3:4], 1.0
	v_div_scale_f64 v[21:22], vcc, 1.0, v[3:4], 1.0
	v_rcp_f64_e32 v[11:12], v[9:10]
	v_fma_f64 v[13:14], -v[9:10], v[11:12], 1.0
	v_fma_f64 v[11:12], v[11:12], v[13:14], v[11:12]
	v_fma_f64 v[13:14], -v[9:10], v[11:12], 1.0
	v_fma_f64 v[11:12], v[11:12], v[13:14], v[11:12]
	v_mul_f64 v[13:14], v[21:22], v[11:12]
	v_fma_f64 v[9:10], -v[9:10], v[13:14], v[21:22]
	v_div_fmas_f64 v[9:10], v[9:10], v[11:12], v[13:14]
	v_div_fixup_f64 v[3:4], v[9:10], v[3:4], 1.0
	s_waitcnt vmcnt(0)
	v_mul_f64 v[9:10], v[3:4], v[17:18]
	global_store_dwordx2 v[15:16], v[9:10], off
	s_and_saveexec_b64 s[4:5], s[0:1]
	s_cbranch_execz .LBB163_3
; %bb.19:                               ;   in Loop: Header=BB163_5 Depth=1
	v_add_u32_e32 v1, v26, v23
	v_lshlrev_b64 v[11:12], 3, v[1:2]
	v_mov_b32_e32 v1, s9
	v_add_co_u32_e32 v11, vcc, s8, v11
	v_addc_co_u32_e32 v12, vcc, v1, v12, vcc
	global_load_dwordx2 v[13:14], v[11:12], off
	s_waitcnt vmcnt(0)
	v_fma_f64 v[5:6], -v[5:6], v[9:10], v[13:14]
	global_store_dwordx2 v[11:12], v[5:6], off
	s_branch .LBB163_3
.LBB163_20:
	s_or_b64 exec, exec, s[18:19]
	s_branch .LBB163_22
.LBB163_21:
	v_mov_b32_e32 v23, 0
.LBB163_22:
	v_subrev_u32_e32 v3, s22, v23
	v_add_u32_e32 v1, v3, v0
	v_ashrrev_i32_e32 v2, 31, v1
	v_lshlrev_b64 v[1:2], 2, v[1:2]
	s_waitcnt lgkmcnt(0)
	v_mov_b32_e32 v4, s17
	v_add_co_u32_e32 v1, vcc, s16, v1
	v_addc_co_u32_e32 v2, vcc, v4, v2, vcc
	s_waitcnt vmcnt(0)
	buffer_wbinvl1_vol
	global_load_dword v1, v[1:2], off
	s_waitcnt vmcnt(0)
	v_mul_lo_u32 v1, v1, s22
	v_sub_u32_e32 v7, v3, v1
	v_cmp_lt_i32_e32 vcc, -1, v7
	s_and_b64 exec, exec, vcc
	s_cbranch_execz .LBB163_29
; %bb.23:
	s_add_i32 s0, s23, s22
	v_add_u32_e32 v8, s0, v0
	s_lshl_b32 s4, s22, 1
	s_mov_b64 s[0:1], 0
	v_mov_b32_e32 v9, s17
	v_mov_b32_e32 v10, s11
	;; [unrolled: 1-line block ×3, first 2 shown]
	s_branch .LBB163_25
.LBB163_24:                             ;   in Loop: Header=BB163_25 Depth=1
	s_or_b64 exec, exec, s[2:3]
	v_sub_u32_e32 v7, v7, v1
	v_cmp_gt_i32_e32 vcc, 0, v7
	s_or_b64 s[0:1], vcc, s[0:1]
	s_andn2_b64 exec, exec, s[0:1]
	s_cbranch_execz .LBB163_29
.LBB163_25:                             ; =>This Inner Loop Header: Depth=1
	v_add_u32_e32 v5, v7, v0
	v_ashrrev_i32_e32 v6, 31, v5
	s_waitcnt vmcnt(0)
	v_lshlrev_b64 v[3:4], 2, v[5:6]
	v_add_co_u32_e32 v3, vcc, s16, v3
	v_addc_co_u32_e32 v4, vcc, v9, v4, vcc
	global_load_dword v1, v[3:4], off
	v_lshlrev_b64 v[3:4], 3, v[5:6]
	v_add_co_u32_e32 v3, vcc, s10, v3
	v_addc_co_u32_e32 v4, vcc, v10, v4, vcc
	global_load_dwordx2 v[3:4], v[3:4], off
	s_waitcnt vmcnt(1)
	v_cmp_ne_u32_e32 vcc, 1, v1
	s_and_saveexec_b64 s[2:3], vcc
	s_xor_b64 s[2:3], exec, s[2:3]
	s_cbranch_execz .LBB163_27
; %bb.26:                               ;   in Loop: Header=BB163_25 Depth=1
	v_add_u32_e32 v1, v8, v7
	v_lshlrev_b64 v[11:12], 3, v[1:2]
	v_mov_b32_e32 v1, s9
	v_add_co_u32_e32 v11, vcc, s8, v11
	v_addc_co_u32_e32 v12, vcc, v1, v12, vcc
	v_add_u32_e32 v1, s23, v5
	v_lshlrev_b64 v[5:6], 3, v[1:2]
	v_mov_b32_e32 v1, s9
	v_add_co_u32_e32 v5, vcc, s8, v5
	v_addc_co_u32_e32 v6, vcc, v1, v6, vcc
	global_load_dwordx2 v[13:14], v[11:12], off
	global_load_dwordx2 v[15:16], v[5:6], off
	v_subrev_u32_e32 v1, s22, v7
	v_add_u32_e32 v11, v1, v0
	v_ashrrev_i32_e32 v12, 31, v11
	v_add_u32_e32 v1, s23, v11
	v_lshlrev_b64 v[11:12], 3, v[11:12]
	v_mov_b32_e32 v17, s9
	v_add_co_u32_e32 v11, vcc, s10, v11
	v_addc_co_u32_e32 v12, vcc, v10, v12, vcc
	global_load_dwordx2 v[11:12], v[11:12], off
	s_waitcnt vmcnt(1)
	v_fma_f64 v[3:4], -v[3:4], v[13:14], v[15:16]
	v_lshlrev_b64 v[15:16], 3, v[1:2]
	global_store_dwordx2 v[5:6], v[3:4], off
	v_add_co_u32_e32 v3, vcc, s8, v15
	v_addc_co_u32_e32 v4, vcc, v17, v16, vcc
	global_load_dwordx2 v[5:6], v[3:4], off
	s_waitcnt vmcnt(0)
	v_fma_f64 v[5:6], -v[11:12], v[13:14], v[5:6]
	global_store_dwordx2 v[3:4], v[5:6], off
                                        ; implicit-def: $vgpr5
                                        ; implicit-def: $vgpr3_vgpr4
.LBB163_27:                             ;   in Loop: Header=BB163_25 Depth=1
	s_or_saveexec_b64 s[2:3], s[2:3]
	v_mov_b32_e32 v1, s4
	s_xor_b64 exec, exec, s[2:3]
	s_cbranch_execz .LBB163_24
; %bb.28:                               ;   in Loop: Header=BB163_25 Depth=1
	v_add_u32_e32 v1, v8, v7
	v_lshlrev_b64 v[11:12], 3, v[1:2]
	v_mov_b32_e32 v1, s9
	v_add_co_u32_e32 v11, vcc, s8, v11
	v_addc_co_u32_e32 v12, vcc, v1, v12, vcc
	v_add_u32_e32 v1, s23, v5
	v_lshlrev_b64 v[5:6], 3, v[1:2]
	v_mov_b32_e32 v1, s9
	v_add_co_u32_e32 v5, vcc, s8, v5
	v_addc_co_u32_e32 v6, vcc, v1, v6, vcc
	global_load_dwordx2 v[13:14], v[11:12], off
	global_load_dwordx2 v[15:16], v[5:6], off
	v_mov_b32_e32 v1, s22
	s_waitcnt vmcnt(0)
	v_fma_f64 v[3:4], -v[3:4], v[13:14], v[15:16]
	global_store_dwordx2 v[5:6], v[3:4], off
	s_branch .LBB163_24
.LBB163_29:
	s_endpgm
	.section	.rodata,"a",@progbits
	.p2align	6, 0x0
	.amdhsa_kernel _ZN9rocsparseL19gtsv_LBM_rhs_kernelILj256ELj128ELj1EdEEviiiPKT2_S3_S3_PS1_S3_PKi
		.amdhsa_group_segment_fixed_size 0
		.amdhsa_private_segment_fixed_size 0
		.amdhsa_kernarg_size 64
		.amdhsa_user_sgpr_count 6
		.amdhsa_user_sgpr_private_segment_buffer 1
		.amdhsa_user_sgpr_dispatch_ptr 0
		.amdhsa_user_sgpr_queue_ptr 0
		.amdhsa_user_sgpr_kernarg_segment_ptr 1
		.amdhsa_user_sgpr_dispatch_id 0
		.amdhsa_user_sgpr_flat_scratch_init 0
		.amdhsa_user_sgpr_private_segment_size 0
		.amdhsa_uses_dynamic_stack 0
		.amdhsa_system_sgpr_private_segment_wavefront_offset 0
		.amdhsa_system_sgpr_workgroup_id_x 1
		.amdhsa_system_sgpr_workgroup_id_y 1
		.amdhsa_system_sgpr_workgroup_id_z 0
		.amdhsa_system_sgpr_workgroup_info 0
		.amdhsa_system_vgpr_workitem_id 0
		.amdhsa_next_free_vgpr 34
		.amdhsa_next_free_sgpr 28
		.amdhsa_reserve_vcc 1
		.amdhsa_reserve_flat_scratch 0
		.amdhsa_float_round_mode_32 0
		.amdhsa_float_round_mode_16_64 0
		.amdhsa_float_denorm_mode_32 3
		.amdhsa_float_denorm_mode_16_64 3
		.amdhsa_dx10_clamp 1
		.amdhsa_ieee_mode 1
		.amdhsa_fp16_overflow 0
		.amdhsa_exception_fp_ieee_invalid_op 0
		.amdhsa_exception_fp_denorm_src 0
		.amdhsa_exception_fp_ieee_div_zero 0
		.amdhsa_exception_fp_ieee_overflow 0
		.amdhsa_exception_fp_ieee_underflow 0
		.amdhsa_exception_fp_ieee_inexact 0
		.amdhsa_exception_int_div_zero 0
	.end_amdhsa_kernel
	.section	.text._ZN9rocsparseL19gtsv_LBM_rhs_kernelILj256ELj128ELj1EdEEviiiPKT2_S3_S3_PS1_S3_PKi,"axG",@progbits,_ZN9rocsparseL19gtsv_LBM_rhs_kernelILj256ELj128ELj1EdEEviiiPKT2_S3_S3_PS1_S3_PKi,comdat
.Lfunc_end163:
	.size	_ZN9rocsparseL19gtsv_LBM_rhs_kernelILj256ELj128ELj1EdEEviiiPKT2_S3_S3_PS1_S3_PKi, .Lfunc_end163-_ZN9rocsparseL19gtsv_LBM_rhs_kernelILj256ELj128ELj1EdEEviiiPKT2_S3_S3_PS1_S3_PKi
                                        ; -- End function
	.set _ZN9rocsparseL19gtsv_LBM_rhs_kernelILj256ELj128ELj1EdEEviiiPKT2_S3_S3_PS1_S3_PKi.num_vgpr, 34
	.set _ZN9rocsparseL19gtsv_LBM_rhs_kernelILj256ELj128ELj1EdEEviiiPKT2_S3_S3_PS1_S3_PKi.num_agpr, 0
	.set _ZN9rocsparseL19gtsv_LBM_rhs_kernelILj256ELj128ELj1EdEEviiiPKT2_S3_S3_PS1_S3_PKi.numbered_sgpr, 28
	.set _ZN9rocsparseL19gtsv_LBM_rhs_kernelILj256ELj128ELj1EdEEviiiPKT2_S3_S3_PS1_S3_PKi.num_named_barrier, 0
	.set _ZN9rocsparseL19gtsv_LBM_rhs_kernelILj256ELj128ELj1EdEEviiiPKT2_S3_S3_PS1_S3_PKi.private_seg_size, 0
	.set _ZN9rocsparseL19gtsv_LBM_rhs_kernelILj256ELj128ELj1EdEEviiiPKT2_S3_S3_PS1_S3_PKi.uses_vcc, 1
	.set _ZN9rocsparseL19gtsv_LBM_rhs_kernelILj256ELj128ELj1EdEEviiiPKT2_S3_S3_PS1_S3_PKi.uses_flat_scratch, 0
	.set _ZN9rocsparseL19gtsv_LBM_rhs_kernelILj256ELj128ELj1EdEEviiiPKT2_S3_S3_PS1_S3_PKi.has_dyn_sized_stack, 0
	.set _ZN9rocsparseL19gtsv_LBM_rhs_kernelILj256ELj128ELj1EdEEviiiPKT2_S3_S3_PS1_S3_PKi.has_recursion, 0
	.set _ZN9rocsparseL19gtsv_LBM_rhs_kernelILj256ELj128ELj1EdEEviiiPKT2_S3_S3_PS1_S3_PKi.has_indirect_call, 0
	.section	.AMDGPU.csdata,"",@progbits
; Kernel info:
; codeLenInByte = 1648
; TotalNumSgprs: 32
; NumVgprs: 34
; ScratchSize: 0
; MemoryBound: 0
; FloatMode: 240
; IeeeMode: 1
; LDSByteSize: 0 bytes/workgroup (compile time only)
; SGPRBlocks: 3
; VGPRBlocks: 8
; NumSGPRsForWavesPerEU: 32
; NumVGPRsForWavesPerEU: 34
; Occupancy: 7
; WaveLimiterHint : 0
; COMPUTE_PGM_RSRC2:SCRATCH_EN: 0
; COMPUTE_PGM_RSRC2:USER_SGPR: 6
; COMPUTE_PGM_RSRC2:TRAP_HANDLER: 0
; COMPUTE_PGM_RSRC2:TGID_X_EN: 1
; COMPUTE_PGM_RSRC2:TGID_Y_EN: 1
; COMPUTE_PGM_RSRC2:TGID_Z_EN: 0
; COMPUTE_PGM_RSRC2:TIDIG_COMP_CNT: 0
	.section	.text._ZN9rocsparseL29gtsv_spike_block_level_kernelILj256ELj128EdEEviiiPT1_PKS1_S4_S2_S2_S2_S2_S2_,"axG",@progbits,_ZN9rocsparseL29gtsv_spike_block_level_kernelILj256ELj128EdEEviiiPT1_PKS1_S4_S2_S2_S2_S2_S2_,comdat
	.globl	_ZN9rocsparseL29gtsv_spike_block_level_kernelILj256ELj128EdEEviiiPT1_PKS1_S4_S2_S2_S2_S2_S2_ ; -- Begin function _ZN9rocsparseL29gtsv_spike_block_level_kernelILj256ELj128EdEEviiiPT1_PKS1_S4_S2_S2_S2_S2_S2_
	.p2align	8
	.type	_ZN9rocsparseL29gtsv_spike_block_level_kernelILj256ELj128EdEEviiiPT1_PKS1_S4_S2_S2_S2_S2_S2_,@function
_ZN9rocsparseL29gtsv_spike_block_level_kernelILj256ELj128EdEEviiiPT1_PKS1_S4_S2_S2_S2_S2_S2_: ; @_ZN9rocsparseL29gtsv_spike_block_level_kernelILj256ELj128EdEEviiiPT1_PKS1_S4_S2_S2_S2_S2_S2_
; %bb.0:
	s_load_dword s14, s[4:5], 0x0
	s_load_dwordx2 s[8:9], s[4:5], 0x18
	v_lshl_or_b32 v1, s6, 8, v0
	v_mov_b32_e32 v3, 0
	v_mov_b32_e32 v5, 0
	s_waitcnt lgkmcnt(0)
	s_lshr_b32 s19, s14, 7
	v_mov_b32_e32 v4, 0
	v_mov_b32_e32 v6, 0
	v_cmp_gt_i32_e64 s[0:1], s19, v1
	s_and_saveexec_b64 s[2:3], s[0:1]
	s_cbranch_execz .LBB164_2
; %bb.1:
	v_ashrrev_i32_e32 v2, 31, v1
	v_lshlrev_b64 v[5:6], 3, v[1:2]
	v_mov_b32_e32 v2, s9
	v_add_co_u32_e32 v5, vcc, s8, v5
	v_addc_co_u32_e32 v6, vcc, v2, v6, vcc
	global_load_dwordx2 v[5:6], v[5:6], off
.LBB164_2:
	s_or_b64 exec, exec, s[2:3]
	s_load_dwordx2 s[2:3], s[4:5], 0x20
	v_lshlrev_b32_e32 v9, 3, v0
	v_or_b32_e32 v10, 0x1000, v9
	s_mul_i32 s18, s19, 0x7f
	s_waitcnt vmcnt(0)
	ds_write_b64 v9, v[5:6] offset:4096
	s_and_saveexec_b64 s[10:11], s[0:1]
	s_cbranch_execz .LBB164_4
; %bb.3:
	s_mul_i32 s12, s19, 0x7f
	v_add_u32_e32 v2, s12, v1
	v_mov_b32_e32 v3, 0
	v_lshlrev_b64 v[2:3], 3, v[2:3]
	v_mov_b32_e32 v4, s9
	v_add_co_u32_e32 v2, vcc, s8, v2
	v_addc_co_u32_e32 v3, vcc, v4, v3, vcc
	global_load_dwordx2 v[3:4], v[2:3], off
.LBB164_4:
	s_or_b64 exec, exec, s[10:11]
	v_mov_b32_e32 v5, 0
	v_mov_b32_e32 v7, 0
	;; [unrolled: 1-line block ×4, first 2 shown]
	s_waitcnt vmcnt(0)
	ds_write_b64 v10, v[3:4] offset:2048
	s_and_saveexec_b64 s[8:9], s[0:1]
	s_cbranch_execz .LBB164_6
; %bb.5:
	v_ashrrev_i32_e32 v2, 31, v1
	v_lshlrev_b64 v[2:3], 3, v[1:2]
	s_waitcnt lgkmcnt(0)
	v_mov_b32_e32 v4, s3
	v_add_co_u32_e32 v2, vcc, s2, v2
	v_addc_co_u32_e32 v3, vcc, v4, v3, vcc
	global_load_dwordx2 v[7:8], v[2:3], off
.LBB164_6:
	s_or_b64 exec, exec, s[8:9]
	s_load_dwordx2 s[12:13], s[4:5], 0x10
	s_waitcnt vmcnt(0)
	ds_write_b64 v9, v[7:8]
	s_and_saveexec_b64 s[8:9], s[0:1]
	s_cbranch_execz .LBB164_8
; %bb.7:
	s_mul_i32 s10, s19, 0x7f
	v_add_u32_e32 v2, s10, v1
	v_mov_b32_e32 v3, 0
	v_lshlrev_b64 v[2:3], 3, v[2:3]
	s_waitcnt lgkmcnt(0)
	v_mov_b32_e32 v4, s3
	v_add_co_u32_e32 v2, vcc, s2, v2
	v_addc_co_u32_e32 v3, vcc, v4, v3, vcc
	global_load_dwordx2 v[5:6], v[2:3], off
.LBB164_8:
	s_or_b64 exec, exec, s[8:9]
	s_waitcnt vmcnt(0)
	ds_write_b64 v9, v[5:6] offset:2048
	v_mov_b32_e32 v5, 0
	s_mul_i32 s14, s14, s7
	v_mov_b32_e32 v7, 0
	v_mov_b32_e32 v6, 0
	;; [unrolled: 1-line block ×3, first 2 shown]
	v_add_u32_e32 v3, s14, v1
	s_waitcnt lgkmcnt(0)
	s_and_saveexec_b64 s[2:3], s[0:1]
	s_cbranch_execz .LBB164_10
; %bb.9:
	v_ashrrev_i32_e32 v4, 31, v3
	v_lshlrev_b64 v[7:8], 3, v[3:4]
	v_mov_b32_e32 v2, s13
	v_add_co_u32_e32 v7, vcc, s12, v7
	v_addc_co_u32_e32 v8, vcc, v2, v8, vcc
	global_load_dwordx2 v[7:8], v[7:8], off
.LBB164_10:
	s_or_b64 exec, exec, s[2:3]
	v_or_b32_e32 v4, 0x2000, v9
	s_waitcnt vmcnt(0)
	ds_write_b64 v9, v[7:8] offset:8192
	s_and_saveexec_b64 s[2:3], s[0:1]
	s_cbranch_execz .LBB164_12
; %bb.11:
	s_mul_i32 s8, s19, 0x7f
	s_add_i32 s8, s8, s14
	v_add_u32_e32 v5, s8, v1
	v_mov_b32_e32 v6, 0
	v_lshlrev_b64 v[5:6], 3, v[5:6]
	v_mov_b32_e32 v2, s13
	v_add_co_u32_e32 v5, vcc, s12, v5
	v_addc_co_u32_e32 v6, vcc, v2, v6, vcc
	global_load_dwordx2 v[5:6], v[5:6], off
.LBB164_12:
	s_or_b64 exec, exec, s[2:3]
	s_movk_i32 s2, 0x80
	v_cmp_gt_u32_e32 vcc, s2, v0
	s_waitcnt vmcnt(0)
	ds_write_b64 v4, v[5:6] offset:2048
	s_waitcnt lgkmcnt(0)
	s_barrier
	s_and_saveexec_b64 s[2:3], vcc
	s_cbranch_execz .LBB164_14
; %bb.13:
	v_add_u32_e32 v2, v10, v9
	ds_read_b128 v[5:8], v2
	v_add_u32_e32 v37, v9, v9
	ds_read_b128 v[11:14], v37 offset:2048
	ds_read_b128 v[15:18], v37
	ds_read_b128 v[19:22], v2 offset:2048
	v_add_u32_e32 v38, v4, v9
	s_waitcnt lgkmcnt(2)
	v_fma_f64 v[31:32], -v[7:8], v[11:12], 1.0
	v_div_scale_f64 v[23:24], s[8:9], v[31:32], v[31:32], 1.0
	v_rcp_f64_e32 v[25:26], v[23:24]
	v_fma_f64 v[27:28], -v[23:24], v[25:26], 1.0
	v_fma_f64 v[25:26], v[25:26], v[27:28], v[25:26]
	v_div_scale_f64 v[27:28], vcc, 1.0, v[31:32], 1.0
	v_fma_f64 v[29:30], -v[23:24], v[25:26], 1.0
	v_fma_f64 v[25:26], v[25:26], v[29:30], v[25:26]
	v_mul_f64 v[29:30], v[27:28], v[25:26]
	v_fma_f64 v[23:24], -v[23:24], v[29:30], v[27:28]
	v_div_fmas_f64 v[33:34], v[23:24], v[25:26], v[29:30]
	ds_read_b128 v[23:26], v38 offset:2048
	ds_read_b128 v[27:30], v38
	s_waitcnt lgkmcnt(0)
	v_fma_f64 v[35:36], -v[7:8], v[23:24], v[29:30]
	v_fma_f64 v[23:24], -v[11:12], v[29:30], v[23:24]
	v_mul_f64 v[7:8], v[7:8], v[19:20]
	v_mul_f64 v[11:12], v[11:12], v[17:18]
	v_div_fixup_f64 v[31:32], v[33:34], v[31:32], 1.0
	v_mul_f64 v[29:30], v[35:36], v[31:32]
	v_mul_f64 v[23:24], v[31:32], v[23:24]
	v_mul_f64 v[7:8], v[7:8], -v[31:32]
	v_mul_f64 v[17:18], v[31:32], v[17:18]
	v_mul_f64 v[11:12], v[11:12], -v[31:32]
	v_mul_f64 v[19:20], v[31:32], v[19:20]
	v_fma_f64 v[27:28], -v[29:30], v[15:16], v[27:28]
	v_fma_f64 v[25:26], -v[21:22], v[23:24], v[25:26]
	;; [unrolled: 1-line block ×3, first 2 shown]
	v_mul_f64 v[15:16], v[17:18], -v[15:16]
	v_fma_f64 v[13:14], -v[11:12], v[21:22], v[13:14]
	v_mul_f64 v[21:22], v[19:20], -v[21:22]
	ds_write_b128 v38, v[27:30]
	ds_write_b128 v38, v[23:26] offset:2048
	ds_write_b128 v2, v[5:8]
	ds_write_b128 v37, v[15:18]
	ds_write_b128 v37, v[11:14] offset:2048
	ds_write_b128 v2, v[19:22] offset:2048
.LBB164_14:
	s_or_b64 exec, exec, s[2:3]
	v_cmp_gt_u32_e32 vcc, 64, v0
	s_waitcnt lgkmcnt(0)
	s_barrier
	s_and_saveexec_b64 s[2:3], vcc
	s_cbranch_execz .LBB164_16
; %bb.15:
	v_lshlrev_b32_e32 v2, 5, v0
	v_add_u32_e32 v37, 0x1000, v2
	v_add_u32_e32 v38, 0x800, v2
	ds_read2_b64 v[5:8], v37 offset1:2
	ds_read2_b64 v[11:14], v38 offset0:1 offset1:3
	v_mad_u32_u24 v39, v0, 24, v4
	v_add_u32_e32 v40, 0x800, v39
	v_add_u32_e32 v41, 0x1800, v2
	s_waitcnt lgkmcnt(0)
	v_fma_f64 v[31:32], -v[7:8], v[11:12], 1.0
	v_div_scale_f64 v[15:16], s[8:9], v[31:32], v[31:32], 1.0
	v_rcp_f64_e32 v[17:18], v[15:16]
	v_fma_f64 v[19:20], -v[15:16], v[17:18], 1.0
	v_fma_f64 v[17:18], v[17:18], v[19:20], v[17:18]
	v_div_scale_f64 v[19:20], vcc, 1.0, v[31:32], 1.0
	v_fma_f64 v[21:22], -v[15:16], v[17:18], 1.0
	v_fma_f64 v[17:18], v[17:18], v[21:22], v[17:18]
	v_mul_f64 v[21:22], v[19:20], v[17:18]
	v_fma_f64 v[15:16], -v[15:16], v[21:22], v[19:20]
	v_div_fmas_f64 v[33:34], v[15:16], v[17:18], v[21:22]
	ds_read2_b64 v[15:18], v39 offset1:2
	ds_read2_b64 v[19:22], v40 offset0:1 offset1:3
	ds_read2_b64 v[23:26], v41 offset0:1 offset1:3
	ds_read2_b64 v[27:30], v2 offset1:2
	s_waitcnt lgkmcnt(2)
	v_fma_f64 v[35:36], -v[7:8], v[19:20], v[17:18]
	v_fma_f64 v[17:18], -v[11:12], v[17:18], v[19:20]
	s_waitcnt lgkmcnt(1)
	v_mul_f64 v[7:8], v[7:8], v[23:24]
	s_waitcnt lgkmcnt(0)
	v_mul_f64 v[11:12], v[11:12], v[29:30]
	v_div_fixup_f64 v[31:32], v[33:34], v[31:32], 1.0
	v_mul_f64 v[19:20], v[35:36], v[31:32]
	v_mul_f64 v[17:18], v[31:32], v[17:18]
	v_mul_f64 v[7:8], v[7:8], -v[31:32]
	v_mul_f64 v[29:30], v[31:32], v[29:30]
	v_mul_f64 v[11:12], v[11:12], -v[31:32]
	v_mul_f64 v[23:24], v[31:32], v[23:24]
	v_fma_f64 v[15:16], -v[19:20], v[27:28], v[15:16]
	v_fma_f64 v[21:22], -v[25:26], v[17:18], v[21:22]
	;; [unrolled: 1-line block ×3, first 2 shown]
	v_mul_f64 v[27:28], v[29:30], -v[27:28]
	v_fma_f64 v[13:14], -v[11:12], v[25:26], v[13:14]
	v_mul_f64 v[25:26], v[23:24], -v[25:26]
	ds_write2_b64 v39, v[15:16], v[19:20] offset1:2
	ds_write2_b64 v40, v[17:18], v[21:22] offset0:1 offset1:3
	ds_write2_b64 v37, v[5:6], v[7:8] offset1:2
	ds_write2_b64 v2, v[27:28], v[29:30] offset1:2
	ds_write2_b64 v38, v[11:12], v[13:14] offset0:1 offset1:3
	ds_write2_b64 v41, v[23:24], v[25:26] offset0:1 offset1:3
.LBB164_16:
	s_or_b64 exec, exec, s[2:3]
	v_cmp_gt_u32_e32 vcc, 32, v0
	s_waitcnt lgkmcnt(0)
	s_barrier
	s_and_saveexec_b64 s[2:3], vcc
	s_cbranch_execz .LBB164_18
; %bb.17:
	v_lshlrev_b32_e32 v2, 6, v0
	v_add_u32_e32 v37, 0x1000, v2
	v_add_u32_e32 v38, 0x800, v2
	ds_read2_b64 v[5:8], v37 offset1:4
	ds_read2_b64 v[11:14], v38 offset0:3 offset1:7
	v_add_u32_e32 v39, 0x2800, v2
	v_add_u32_e32 v40, 0x2000, v2
	v_add_u32_e32 v41, 0x1800, v2
	s_waitcnt lgkmcnt(0)
	v_fma_f64 v[31:32], -v[7:8], v[11:12], 1.0
	v_div_scale_f64 v[15:16], s[8:9], v[31:32], v[31:32], 1.0
	v_rcp_f64_e32 v[17:18], v[15:16]
	v_fma_f64 v[19:20], -v[15:16], v[17:18], 1.0
	v_fma_f64 v[17:18], v[17:18], v[19:20], v[17:18]
	v_div_scale_f64 v[19:20], vcc, 1.0, v[31:32], 1.0
	v_fma_f64 v[21:22], -v[15:16], v[17:18], 1.0
	v_fma_f64 v[17:18], v[17:18], v[21:22], v[17:18]
	v_mul_f64 v[21:22], v[19:20], v[17:18]
	v_fma_f64 v[15:16], -v[15:16], v[21:22], v[19:20]
	v_div_fmas_f64 v[33:34], v[15:16], v[17:18], v[21:22]
	ds_read2_b64 v[15:18], v39 offset0:3 offset1:7
	ds_read2_b64 v[19:22], v40 offset1:4
	ds_read2_b64 v[23:26], v41 offset0:3 offset1:7
	ds_read2_b64 v[27:30], v2 offset1:4
	s_waitcnt lgkmcnt(2)
	v_fma_f64 v[35:36], -v[7:8], v[15:16], v[21:22]
	v_fma_f64 v[15:16], -v[11:12], v[21:22], v[15:16]
	s_waitcnt lgkmcnt(1)
	v_mul_f64 v[7:8], v[7:8], v[23:24]
	s_waitcnt lgkmcnt(0)
	v_mul_f64 v[11:12], v[11:12], v[29:30]
	v_div_fixup_f64 v[31:32], v[33:34], v[31:32], 1.0
	v_mul_f64 v[21:22], v[35:36], v[31:32]
	v_mul_f64 v[15:16], v[31:32], v[15:16]
	v_mul_f64 v[7:8], v[7:8], -v[31:32]
	v_mul_f64 v[29:30], v[31:32], v[29:30]
	v_mul_f64 v[11:12], v[11:12], -v[31:32]
	v_mul_f64 v[23:24], v[31:32], v[23:24]
	v_fma_f64 v[19:20], -v[21:22], v[27:28], v[19:20]
	v_fma_f64 v[17:18], -v[25:26], v[15:16], v[17:18]
	v_fma_f64 v[5:6], -v[7:8], v[27:28], v[5:6]
	v_mul_f64 v[27:28], v[29:30], -v[27:28]
	v_fma_f64 v[13:14], -v[11:12], v[25:26], v[13:14]
	v_mul_f64 v[25:26], v[23:24], -v[25:26]
	ds_write2_b64 v40, v[19:20], v[21:22] offset1:4
	ds_write2_b64 v39, v[15:16], v[17:18] offset0:3 offset1:7
	ds_write2_b64 v37, v[5:6], v[7:8] offset1:4
	ds_write2_b64 v2, v[27:28], v[29:30] offset1:4
	ds_write2_b64 v38, v[11:12], v[13:14] offset0:3 offset1:7
	ds_write2_b64 v41, v[23:24], v[25:26] offset0:3 offset1:7
.LBB164_18:
	s_or_b64 exec, exec, s[2:3]
	v_cmp_gt_u32_e32 vcc, 16, v0
	s_waitcnt lgkmcnt(0)
	s_barrier
	s_and_saveexec_b64 s[2:3], vcc
	s_cbranch_execz .LBB164_20
; %bb.19:
	v_lshlrev_b32_e32 v2, 7, v0
	v_add_u32_e32 v37, 0x1000, v2
	v_add_u32_e32 v38, 0x800, v2
	ds_read2_b64 v[5:8], v37 offset1:8
	ds_read2_b64 v[11:14], v38 offset0:7 offset1:15
	v_add_u32_e32 v39, 0x2800, v2
	v_add_u32_e32 v40, 0x2000, v2
	v_add_u32_e32 v41, 0x1800, v2
	s_waitcnt lgkmcnt(0)
	v_fma_f64 v[31:32], -v[7:8], v[11:12], 1.0
	v_div_scale_f64 v[15:16], s[8:9], v[31:32], v[31:32], 1.0
	v_rcp_f64_e32 v[17:18], v[15:16]
	v_fma_f64 v[19:20], -v[15:16], v[17:18], 1.0
	v_fma_f64 v[17:18], v[17:18], v[19:20], v[17:18]
	v_div_scale_f64 v[19:20], vcc, 1.0, v[31:32], 1.0
	v_fma_f64 v[21:22], -v[15:16], v[17:18], 1.0
	v_fma_f64 v[17:18], v[17:18], v[21:22], v[17:18]
	v_mul_f64 v[21:22], v[19:20], v[17:18]
	v_fma_f64 v[15:16], -v[15:16], v[21:22], v[19:20]
	v_div_fmas_f64 v[33:34], v[15:16], v[17:18], v[21:22]
	ds_read2_b64 v[15:18], v39 offset0:7 offset1:15
	ds_read2_b64 v[19:22], v40 offset1:8
	ds_read2_b64 v[23:26], v41 offset0:7 offset1:15
	ds_read2_b64 v[27:30], v2 offset1:8
	s_waitcnt lgkmcnt(2)
	v_fma_f64 v[35:36], -v[7:8], v[15:16], v[21:22]
	v_fma_f64 v[15:16], -v[11:12], v[21:22], v[15:16]
	s_waitcnt lgkmcnt(1)
	v_mul_f64 v[7:8], v[7:8], v[23:24]
	s_waitcnt lgkmcnt(0)
	v_mul_f64 v[11:12], v[11:12], v[29:30]
	v_div_fixup_f64 v[31:32], v[33:34], v[31:32], 1.0
	v_mul_f64 v[21:22], v[35:36], v[31:32]
	v_mul_f64 v[15:16], v[31:32], v[15:16]
	v_mul_f64 v[7:8], v[7:8], -v[31:32]
	v_mul_f64 v[29:30], v[31:32], v[29:30]
	v_mul_f64 v[11:12], v[11:12], -v[31:32]
	v_mul_f64 v[23:24], v[31:32], v[23:24]
	v_fma_f64 v[19:20], -v[21:22], v[27:28], v[19:20]
	v_fma_f64 v[17:18], -v[25:26], v[15:16], v[17:18]
	v_fma_f64 v[5:6], -v[7:8], v[27:28], v[5:6]
	v_mul_f64 v[27:28], v[29:30], -v[27:28]
	v_fma_f64 v[13:14], -v[11:12], v[25:26], v[13:14]
	v_mul_f64 v[25:26], v[23:24], -v[25:26]
	ds_write2_b64 v40, v[19:20], v[21:22] offset1:8
	ds_write2_b64 v39, v[15:16], v[17:18] offset0:7 offset1:15
	ds_write2_b64 v37, v[5:6], v[7:8] offset1:8
	ds_write2_b64 v2, v[27:28], v[29:30] offset1:8
	ds_write2_b64 v38, v[11:12], v[13:14] offset0:7 offset1:15
	ds_write2_b64 v41, v[23:24], v[25:26] offset0:7 offset1:15
.LBB164_20:
	;; [unrolled: 58-line block ×4, first 2 shown]
	s_or_b64 exec, exec, s[2:3]
	v_cmp_gt_u32_e32 vcc, 2, v0
	s_waitcnt lgkmcnt(0)
	s_barrier
	s_and_saveexec_b64 s[2:3], vcc
	s_cbranch_execz .LBB164_26
; %bb.25:
	v_lshlrev_b32_e32 v2, 10, v0
	v_add_u32_e32 v37, 0x1f8, v2
	ds_read2st64_b64 v[5:8], v37 offset0:4 offset1:5
	ds_read2st64_b64 v[11:14], v2 offset0:8 offset1:9
	ds_read2st64_b64 v[15:18], v2 offset1:1
	ds_read2st64_b64 v[19:22], v37 offset0:12 offset1:13
	s_waitcnt lgkmcnt(2)
	v_fma_f64 v[31:32], -v[13:14], v[5:6], 1.0
	v_div_scale_f64 v[23:24], s[8:9], v[31:32], v[31:32], 1.0
	v_rcp_f64_e32 v[25:26], v[23:24]
	v_fma_f64 v[27:28], -v[23:24], v[25:26], 1.0
	v_fma_f64 v[25:26], v[25:26], v[27:28], v[25:26]
	v_div_scale_f64 v[27:28], vcc, 1.0, v[31:32], 1.0
	v_fma_f64 v[29:30], -v[23:24], v[25:26], 1.0
	v_fma_f64 v[25:26], v[25:26], v[29:30], v[25:26]
	v_mul_f64 v[29:30], v[27:28], v[25:26]
	v_fma_f64 v[23:24], -v[23:24], v[29:30], v[27:28]
	v_div_fmas_f64 v[33:34], v[23:24], v[25:26], v[29:30]
	ds_read2st64_b64 v[23:26], v2 offset0:16 offset1:17
	ds_read2st64_b64 v[27:30], v37 offset0:20 offset1:21
	s_waitcnt lgkmcnt(0)
	v_fma_f64 v[35:36], -v[13:14], v[27:28], v[25:26]
	v_fma_f64 v[25:26], -v[5:6], v[25:26], v[27:28]
	v_mul_f64 v[13:14], v[13:14], v[19:20]
	v_mul_f64 v[5:6], v[5:6], v[17:18]
	v_div_fixup_f64 v[31:32], v[33:34], v[31:32], 1.0
	v_mul_f64 v[27:28], v[35:36], v[31:32]
	v_mul_f64 v[25:26], v[31:32], v[25:26]
	v_mul_f64 v[13:14], v[13:14], -v[31:32]
	v_mul_f64 v[17:18], v[31:32], v[17:18]
	v_mul_f64 v[5:6], v[5:6], -v[31:32]
	v_mul_f64 v[19:20], v[31:32], v[19:20]
	v_fma_f64 v[23:24], -v[27:28], v[15:16], v[23:24]
	v_fma_f64 v[29:30], -v[21:22], v[25:26], v[29:30]
	;; [unrolled: 1-line block ×3, first 2 shown]
	v_mul_f64 v[15:16], v[17:18], -v[15:16]
	v_fma_f64 v[7:8], -v[5:6], v[21:22], v[7:8]
	v_mul_f64 v[21:22], v[19:20], -v[21:22]
	ds_write2st64_b64 v2, v[23:24], v[27:28] offset0:16 offset1:17
	ds_write2st64_b64 v37, v[25:26], v[29:30] offset0:20 offset1:21
	;; [unrolled: 1-line block ×3, first 2 shown]
	ds_write2st64_b64 v2, v[15:16], v[17:18] offset1:1
	ds_write2st64_b64 v37, v[5:6], v[7:8] offset0:4 offset1:5
	ds_write2st64_b64 v37, v[19:20], v[21:22] offset0:12 offset1:13
.LBB164_26:
	s_or_b64 exec, exec, s[2:3]
	v_cmp_eq_u32_e64 s[2:3], 0, v0
	s_waitcnt lgkmcnt(0)
	s_barrier
	s_and_saveexec_b64 s[8:9], s[2:3]
	s_cbranch_execz .LBB164_28
; %bb.27:
	s_movk_i32 s10, 0x1400
	v_add_u32_e64 v2, s10, 0
	v_mov_b32_e32 v0, 0
	ds_read2_b64 v[5:8], v2 offset1:255
	ds_read_b64 v[19:20], v0 offset:3064
	ds_read_b64 v[21:22], v0 offset:12280
	v_mov_b32_e32 v32, 0x1ff8
	v_mov_b32_e32 v33, 0xff8
	s_waitcnt lgkmcnt(1)
	v_fma_f64 v[23:24], -v[5:6], v[19:20], 1.0
	v_div_scale_f64 v[11:12], s[10:11], v[23:24], v[23:24], 1.0
	s_movk_i32 s10, 0x2400
	v_add_u32_e64 v31, s10, 0
	v_rcp_f64_e32 v[13:14], v[11:12]
	v_fma_f64 v[15:16], -v[11:12], v[13:14], 1.0
	v_fma_f64 v[13:14], v[13:14], v[15:16], v[13:14]
	v_div_scale_f64 v[15:16], vcc, 1.0, v[23:24], 1.0
	v_fma_f64 v[17:18], -v[11:12], v[13:14], 1.0
	v_fma_f64 v[13:14], v[13:14], v[17:18], v[13:14]
	v_mul_f64 v[17:18], v[15:16], v[13:14]
	v_fma_f64 v[11:12], -v[11:12], v[17:18], v[15:16]
	v_div_fmas_f64 v[25:26], v[11:12], v[13:14], v[17:18]
	ds_read2_b64 v[11:14], v31 offset1:255
	ds_read2st64_b64 v[15:18], v0 offset1:2
	s_waitcnt lgkmcnt(1)
	v_fma_f64 v[27:28], -v[19:20], v[11:12], v[13:14]
	s_waitcnt lgkmcnt(0)
	v_mul_f64 v[19:20], v[19:20], v[17:18]
	v_div_fixup_f64 v[23:24], v[25:26], v[23:24], 1.0
	v_fma_f64 v[25:26], -v[5:6], v[13:14], v[11:12]
	v_mul_f64 v[5:6], v[5:6], v[7:8]
	ds_read2_b64 v[11:14], v32 offset1:1
	v_mul_f64 v[27:28], v[23:24], v[27:28]
	v_mul_f64 v[25:26], v[25:26], v[23:24]
	v_mul_f64 v[29:30], v[5:6], -v[23:24]
	v_mul_f64 v[17:18], v[23:24], v[17:18]
	v_mul_f64 v[19:20], v[19:20], -v[23:24]
	v_mul_f64 v[23:24], v[23:24], v[7:8]
	ds_read2_b64 v[5:8], v33 offset1:1
	s_waitcnt lgkmcnt(1)
	v_fma_f64 v[21:22], -v[11:12], v[27:28], v[21:22]
	v_fma_f64 v[13:14], -v[25:26], v[15:16], v[13:14]
	s_waitcnt lgkmcnt(0)
	v_fma_f64 v[7:8], -v[29:30], v[15:16], v[7:8]
	v_mul_f64 v[15:16], v[17:18], -v[15:16]
	v_fma_f64 v[5:6], -v[19:20], v[11:12], v[5:6]
	v_mul_f64 v[11:12], v[23:24], -v[11:12]
	ds_write2_b64 v31, v[25:26], v[27:28] offset1:255
	ds_write_b64 v0, v[19:20] offset:3064
	ds_write2_b64 v2, v[29:30], v[23:24] offset1:255
	ds_write_b64 v0, v[21:22] offset:12280
	ds_write2st64_b64 v0, v[15:16], v[17:18] offset1:2
	ds_write2_b64 v33, v[5:6], v[7:8] offset1:1
	ds_write2_b64 v32, v[11:12], v[13:14] offset1:1
.LBB164_28:
	s_or_b64 exec, exec, s[8:9]
	s_load_dwordx2 s[14:15], s[4:5], 0x48
	s_load_dwordx4 s[8:11], s[4:5], 0x38
	s_waitcnt lgkmcnt(0)
	s_barrier
	s_and_saveexec_b64 s[16:17], s[0:1]
	s_cbranch_execnz .LBB164_31
; %bb.29:
	s_or_b64 exec, exec, s[16:17]
	s_and_saveexec_b64 s[0:1], s[2:3]
	s_cbranch_execnz .LBB164_35
.LBB164_30:
	s_endpgm
.LBB164_31:
	s_cmp_eq_u32 s7, 0
	s_cbranch_scc1 .LBB164_39
; %bb.32:
	s_mulk_i32 s19, 0x7f
	s_cbranch_execnz .LBB164_34
.LBB164_33:
	s_load_dwordx4 s[20:23], s[4:5], 0x28
	v_ashrrev_i32_e32 v2, 31, v1
	ds_read2st64_b64 v[5:8], v10 offset1:4
	v_lshlrev_b64 v[10:11], 3, v[1:2]
	s_mov_b32 s19, s18
	s_waitcnt lgkmcnt(0)
	v_mov_b32_e32 v0, s21
	v_add_co_u32_e32 v12, vcc, s20, v10
	v_addc_co_u32_e32 v13, vcc, v0, v11, vcc
	v_add_u32_e32 v0, s18, v1
	v_mov_b32_e32 v1, 0
	v_lshlrev_b64 v[0:1], 3, v[0:1]
	global_store_dwordx2 v[12:13], v[5:6], off
	v_mov_b32_e32 v2, s21
	v_add_co_u32_e32 v5, vcc, s20, v0
	v_addc_co_u32_e32 v6, vcc, v2, v1, vcc
	global_store_dwordx2 v[5:6], v[7:8], off
	ds_read2st64_b64 v[5:8], v9 offset1:4
	v_mov_b32_e32 v2, s23
	v_add_co_u32_e32 v9, vcc, s22, v10
	v_addc_co_u32_e32 v10, vcc, v2, v11, vcc
	v_add_co_u32_e32 v0, vcc, s22, v0
	v_addc_co_u32_e32 v1, vcc, v2, v1, vcc
	s_waitcnt lgkmcnt(0)
	global_store_dwordx2 v[9:10], v[5:6], off
	global_store_dwordx2 v[0:1], v[7:8], off
.LBB164_34:
	ds_read2st64_b64 v[5:8], v4 offset1:4
	v_ashrrev_i32_e32 v4, 31, v3
	v_lshlrev_b64 v[0:1], 3, v[3:4]
	v_mov_b32_e32 v2, s13
	v_add_co_u32_e32 v0, vcc, s12, v0
	v_addc_co_u32_e32 v1, vcc, v2, v1, vcc
	s_waitcnt lgkmcnt(0)
	global_store_dwordx2 v[0:1], v[5:6], off
	v_add_u32_e32 v0, s19, v3
	v_mov_b32_e32 v1, 0
	v_lshlrev_b64 v[0:1], 3, v[0:1]
	v_add_co_u32_e32 v0, vcc, s12, v0
	v_addc_co_u32_e32 v1, vcc, v2, v1, vcc
	global_store_dwordx2 v[0:1], v[7:8], off
	s_or_b64 exec, exec, s[16:17]
	s_and_saveexec_b64 s[0:1], s[2:3]
	s_cbranch_execz .LBB164_30
.LBB164_35:
	s_cmp_eq_u32 s7, 0
	s_cbranch_scc1 .LBB164_40
; %bb.36:
	s_load_dword s2, s[4:5], 0x50
	s_cbranch_execnz .LBB164_38
.LBB164_37:
	v_mov_b32_e32 v0, 0xff8
	ds_read2_b64 v[0:3], v0 offset1:1
	s_mov_b32 s0, s7
	s_ashr_i32 s7, s6, 31
	s_waitcnt lgkmcnt(0)
	s_load_dword s2, s[4:5], 0x50
	s_lshl_b64 s[12:13], s[6:7], 3
	s_mov_b32 s7, s0
	s_add_u32 s0, s10, s12
	s_addc_u32 s1, s11, s13
	v_mov_b32_e32 v6, 0
	ds_read_b64 v[4:5], v6
	global_store_dwordx2 v6, v[2:3], s[0:1]
	ds_read_b64 v[2:3], v6 offset:8184
	s_waitcnt lgkmcnt(0)
	s_add_i32 s0, s2, s6
	s_mov_b32 s1, 0
	s_lshl_b64 s[0:1], s[0:1], 3
	s_add_u32 s4, s10, s0
	s_addc_u32 s5, s11, s1
	global_store_dwordx2 v6, v[2:3], s[4:5]
	s_add_u32 s4, s14, s12
	s_addc_u32 s5, s15, s13
	s_add_u32 s0, s14, s0
	s_addc_u32 s1, s15, s1
	global_store_dwordx2 v6, v[4:5], s[4:5]
	global_store_dwordx2 v6, v[0:1], s[0:1]
.LBB164_38:
	s_waitcnt lgkmcnt(0)
	s_mul_i32 s0, s2, s7
	s_lshl_b32 s0, s0, 1
	s_add_i32 s0, s0, s6
	s_mov_b32 s1, 0
	v_mov_b32_e32 v4, 0
	s_lshl_b64 s[4:5], s[0:1], 3
	ds_read_b64 v[0:1], v4 offset:8192
	ds_read_b64 v[2:3], v4 offset:12280
	s_add_u32 s4, s8, s4
	s_addc_u32 s5, s9, s5
	s_add_i32 s0, s0, s2
	s_lshl_b64 s[0:1], s[0:1], 3
	s_add_u32 s0, s8, s0
	s_addc_u32 s1, s9, s1
	s_waitcnt lgkmcnt(1)
	global_store_dwordx2 v4, v[0:1], s[4:5]
	s_waitcnt lgkmcnt(0)
	global_store_dwordx2 v4, v[2:3], s[0:1]
	s_endpgm
.LBB164_39:
                                        ; implicit-def: $sgpr19
	s_branch .LBB164_33
.LBB164_40:
                                        ; implicit-def: $sgpr2
	s_branch .LBB164_37
	.section	.rodata,"a",@progbits
	.p2align	6, 0x0
	.amdhsa_kernel _ZN9rocsparseL29gtsv_spike_block_level_kernelILj256ELj128EdEEviiiPT1_PKS1_S4_S2_S2_S2_S2_S2_
		.amdhsa_group_segment_fixed_size 12288
		.amdhsa_private_segment_fixed_size 0
		.amdhsa_kernarg_size 336
		.amdhsa_user_sgpr_count 6
		.amdhsa_user_sgpr_private_segment_buffer 1
		.amdhsa_user_sgpr_dispatch_ptr 0
		.amdhsa_user_sgpr_queue_ptr 0
		.amdhsa_user_sgpr_kernarg_segment_ptr 1
		.amdhsa_user_sgpr_dispatch_id 0
		.amdhsa_user_sgpr_flat_scratch_init 0
		.amdhsa_user_sgpr_private_segment_size 0
		.amdhsa_uses_dynamic_stack 0
		.amdhsa_system_sgpr_private_segment_wavefront_offset 0
		.amdhsa_system_sgpr_workgroup_id_x 1
		.amdhsa_system_sgpr_workgroup_id_y 1
		.amdhsa_system_sgpr_workgroup_id_z 0
		.amdhsa_system_sgpr_workgroup_info 0
		.amdhsa_system_vgpr_workitem_id 0
		.amdhsa_next_free_vgpr 42
		.amdhsa_next_free_sgpr 98
		.amdhsa_reserve_vcc 1
		.amdhsa_reserve_flat_scratch 0
		.amdhsa_float_round_mode_32 0
		.amdhsa_float_round_mode_16_64 0
		.amdhsa_float_denorm_mode_32 3
		.amdhsa_float_denorm_mode_16_64 3
		.amdhsa_dx10_clamp 1
		.amdhsa_ieee_mode 1
		.amdhsa_fp16_overflow 0
		.amdhsa_exception_fp_ieee_invalid_op 0
		.amdhsa_exception_fp_denorm_src 0
		.amdhsa_exception_fp_ieee_div_zero 0
		.amdhsa_exception_fp_ieee_overflow 0
		.amdhsa_exception_fp_ieee_underflow 0
		.amdhsa_exception_fp_ieee_inexact 0
		.amdhsa_exception_int_div_zero 0
	.end_amdhsa_kernel
	.section	.text._ZN9rocsparseL29gtsv_spike_block_level_kernelILj256ELj128EdEEviiiPT1_PKS1_S4_S2_S2_S2_S2_S2_,"axG",@progbits,_ZN9rocsparseL29gtsv_spike_block_level_kernelILj256ELj128EdEEviiiPT1_PKS1_S4_S2_S2_S2_S2_S2_,comdat
.Lfunc_end164:
	.size	_ZN9rocsparseL29gtsv_spike_block_level_kernelILj256ELj128EdEEviiiPT1_PKS1_S4_S2_S2_S2_S2_S2_, .Lfunc_end164-_ZN9rocsparseL29gtsv_spike_block_level_kernelILj256ELj128EdEEviiiPT1_PKS1_S4_S2_S2_S2_S2_S2_
                                        ; -- End function
	.set _ZN9rocsparseL29gtsv_spike_block_level_kernelILj256ELj128EdEEviiiPT1_PKS1_S4_S2_S2_S2_S2_S2_.num_vgpr, 42
	.set _ZN9rocsparseL29gtsv_spike_block_level_kernelILj256ELj128EdEEviiiPT1_PKS1_S4_S2_S2_S2_S2_S2_.num_agpr, 0
	.set _ZN9rocsparseL29gtsv_spike_block_level_kernelILj256ELj128EdEEviiiPT1_PKS1_S4_S2_S2_S2_S2_S2_.numbered_sgpr, 24
	.set _ZN9rocsparseL29gtsv_spike_block_level_kernelILj256ELj128EdEEviiiPT1_PKS1_S4_S2_S2_S2_S2_S2_.num_named_barrier, 0
	.set _ZN9rocsparseL29gtsv_spike_block_level_kernelILj256ELj128EdEEviiiPT1_PKS1_S4_S2_S2_S2_S2_S2_.private_seg_size, 0
	.set _ZN9rocsparseL29gtsv_spike_block_level_kernelILj256ELj128EdEEviiiPT1_PKS1_S4_S2_S2_S2_S2_S2_.uses_vcc, 1
	.set _ZN9rocsparseL29gtsv_spike_block_level_kernelILj256ELj128EdEEviiiPT1_PKS1_S4_S2_S2_S2_S2_S2_.uses_flat_scratch, 0
	.set _ZN9rocsparseL29gtsv_spike_block_level_kernelILj256ELj128EdEEviiiPT1_PKS1_S4_S2_S2_S2_S2_S2_.has_dyn_sized_stack, 0
	.set _ZN9rocsparseL29gtsv_spike_block_level_kernelILj256ELj128EdEEviiiPT1_PKS1_S4_S2_S2_S2_S2_S2_.has_recursion, 0
	.set _ZN9rocsparseL29gtsv_spike_block_level_kernelILj256ELj128EdEEviiiPT1_PKS1_S4_S2_S2_S2_S2_S2_.has_indirect_call, 0
	.section	.AMDGPU.csdata,"",@progbits
; Kernel info:
; codeLenInByte = 4236
; TotalNumSgprs: 28
; NumVgprs: 42
; ScratchSize: 0
; MemoryBound: 0
; FloatMode: 240
; IeeeMode: 1
; LDSByteSize: 12288 bytes/workgroup (compile time only)
; SGPRBlocks: 12
; VGPRBlocks: 10
; NumSGPRsForWavesPerEU: 102
; NumVGPRsForWavesPerEU: 42
; Occupancy: 5
; WaveLimiterHint : 0
; COMPUTE_PGM_RSRC2:SCRATCH_EN: 0
; COMPUTE_PGM_RSRC2:USER_SGPR: 6
; COMPUTE_PGM_RSRC2:TRAP_HANDLER: 0
; COMPUTE_PGM_RSRC2:TGID_X_EN: 1
; COMPUTE_PGM_RSRC2:TGID_Y_EN: 1
; COMPUTE_PGM_RSRC2:TGID_Z_EN: 0
; COMPUTE_PGM_RSRC2:TIDIG_COMP_CNT: 0
	.section	.text._ZN9rocsparseL33gtsv_solve_spike_propagate_kernelILj256ELj128EdEEviiiPT1_PKS1_S4_S4_,"axG",@progbits,_ZN9rocsparseL33gtsv_solve_spike_propagate_kernelILj256ELj128EdEEviiiPT1_PKS1_S4_S4_,comdat
	.globl	_ZN9rocsparseL33gtsv_solve_spike_propagate_kernelILj256ELj128EdEEviiiPT1_PKS1_S4_S4_ ; -- Begin function _ZN9rocsparseL33gtsv_solve_spike_propagate_kernelILj256ELj128EdEEviiiPT1_PKS1_S4_S4_
	.p2align	8
	.type	_ZN9rocsparseL33gtsv_solve_spike_propagate_kernelILj256ELj128EdEEviiiPT1_PKS1_S4_S4_,@function
_ZN9rocsparseL33gtsv_solve_spike_propagate_kernelILj256ELj128EdEEviiiPT1_PKS1_S4_S4_: ; @_ZN9rocsparseL33gtsv_solve_spike_propagate_kernelILj256ELj128EdEEviiiPT1_PKS1_S4_S4_
; %bb.0:
	s_load_dword s10, s[4:5], 0x0
	v_lshl_or_b32 v1, s6, 8, v0
	v_mov_b32_e32 v3, 0
	v_mov_b32_e32 v5, 0
	;; [unrolled: 1-line block ×3, first 2 shown]
	s_waitcnt lgkmcnt(0)
	s_lshr_b32 s14, s10, 7
	v_cmp_le_i32_e64 s[0:1], s14, v1
	v_cmp_gt_i32_e32 vcc, s14, v1
	v_ashrrev_i32_e32 v2, 31, v1
	v_mov_b32_e32 v6, 0
	s_mulk_i32 s14, 0x7f
	s_and_saveexec_b64 s[8:9], vcc
	s_cbranch_execz .LBB165_2
; %bb.1:
	s_load_dwordx2 s[12:13], s[4:5], 0x18
	v_lshlrev_b64 v[3:4], 3, v[1:2]
	s_waitcnt lgkmcnt(0)
	v_mov_b32_e32 v5, s13
	v_add_co_u32_e64 v7, s[2:3], s12, v3
	v_addc_co_u32_e64 v8, s[2:3], v5, v4, s[2:3]
	v_add_u32_e32 v3, s14, v1
	v_mov_b32_e32 v4, 0
	v_lshlrev_b64 v[3:4], 3, v[3:4]
	v_add_co_u32_e64 v9, s[2:3], s12, v3
	v_addc_co_u32_e64 v10, s[2:3], v5, v4, s[2:3]
	global_load_dwordx2 v[3:4], v[7:8], off
	global_load_dwordx2 v[5:6], v[9:10], off
.LBB165_2:
	s_or_b64 exec, exec, s[8:9]
	s_load_dwordx2 s[2:3], s[4:5], 0x10
	v_lshlrev_b32_e32 v7, 3, v0
	v_add_u32_e32 v8, 16, v7
	s_waitcnt vmcnt(0)
	ds_write2st64_b64 v8, v[3:4], v[5:6] offset0:16 offset1:20
	s_and_saveexec_b64 s[8:9], s[0:1]
	s_xor_b64 s[0:1], exec, s[8:9]
; %bb.3:
	s_mov_b32 s8, 0
	s_mov_b32 s9, s8
	v_mov_b32_e32 v2, s8
	v_mov_b32_e32 v3, s9
	ds_write2st64_b64 v8, v[2:3], v[2:3] offset0:8 offset1:12
; %bb.4:
	s_or_saveexec_b64 s[8:9], s[0:1]
	v_mov_b32_e32 v3, 0
	v_mov_b32_e32 v5, 0
	;; [unrolled: 1-line block ×4, first 2 shown]
	s_mul_i32 s10, s10, s7
	s_xor_b64 exec, exec, s[8:9]
	s_cbranch_execz .LBB165_6
; %bb.5:
	s_load_dwordx2 s[12:13], s[4:5], 0x20
	v_lshlrev_b64 v[5:6], 3, v[1:2]
	v_add_u32_e32 v8, s14, v1
	v_mov_b32_e32 v9, 0
	v_lshlrev_b64 v[10:11], 3, v[8:9]
	s_waitcnt lgkmcnt(0)
	v_mov_b32_e32 v2, s13
	v_add_co_u32_e64 v5, s[0:1], s12, v5
	v_addc_co_u32_e64 v6, s[0:1], v2, v6, s[0:1]
	v_add_co_u32_e64 v10, s[0:1], s12, v10
	v_add_u32_e32 v8, s10, v8
	v_addc_co_u32_e64 v11, s[0:1], v2, v11, s[0:1]
	global_load_dwordx2 v[12:13], v[5:6], off
	global_load_dwordx2 v[14:15], v[10:11], off
	v_lshlrev_b64 v[5:6], 3, v[8:9]
	v_mov_b32_e32 v2, s3
	v_add_co_u32_e64 v5, s[0:1], s2, v5
	v_addc_co_u32_e64 v6, s[0:1], v2, v6, s[0:1]
	global_load_dwordx2 v[5:6], v[5:6], off
	v_add_u32_e32 v2, 16, v7
	s_waitcnt vmcnt(1)
	ds_write2st64_b64 v2, v[12:13], v[14:15] offset0:8 offset1:12
.LBB165_6:
	s_or_b64 exec, exec, s[8:9]
	v_add_u32_e32 v1, s10, v1
	s_waitcnt vmcnt(0)
	ds_write_b64 v7, v[5:6] offset:8
	s_and_saveexec_b64 s[8:9], vcc
	s_cbranch_execz .LBB165_8
; %bb.7:
	v_ashrrev_i32_e32 v2, 31, v1
	v_lshlrev_b64 v[2:3], 3, v[1:2]
	s_waitcnt lgkmcnt(0)
	v_mov_b32_e32 v4, s3
	v_add_co_u32_e64 v2, s[0:1], s2, v2
	v_addc_co_u32_e64 v3, s[0:1], v4, v3, s[0:1]
	global_load_dwordx2 v[3:4], v[2:3], off
.LBB165_8:
	s_or_b64 exec, exec, s[8:9]
	v_cmp_eq_u32_e64 s[0:1], 0, v0
	s_waitcnt vmcnt(0)
	ds_write_b64 v7, v[3:4] offset:2056
	s_waitcnt lgkmcnt(0)
	s_barrier
	s_and_saveexec_b64 s[8:9], s[0:1]
	s_cbranch_execz .LBB165_14
; %bb.9:
	s_load_dword s15, s[4:5], 0x30
	s_load_dwordx2 s[10:11], s[4:5], 0x28
	s_cmp_lt_i32 s6, 1
	s_mov_b64 s[4:5], 0
	s_mov_b64 s[12:13], 0
	s_waitcnt lgkmcnt(0)
	s_mul_i32 s7, s7, s15
	s_cbranch_scc1 .LBB165_11
; %bb.10:
	s_lshl_b32 s12, s7, 1
	s_add_i32 s13, s6, s15
	s_add_i32 s12, s13, s12
	s_add_i32 s12, s12, -1
	s_mov_b32 s13, 0
	s_lshl_b64 s[12:13], s[12:13], 3
	s_add_u32 s12, s10, s12
	s_addc_u32 s13, s11, s13
	s_load_dwordx2 s[12:13], s[12:13], 0x0
.LBB165_11:
	s_waitcnt lgkmcnt(0)
	v_mov_b32_e32 v3, s12
	v_mov_b32_e32 v4, s13
	s_add_i32 s12, s15, -1
	v_mov_b32_e32 v2, 0
	s_cmp_ge_u32 s6, s12
	ds_write_b64 v2, v[3:4]
	s_cbranch_scc1 .LBB165_13
; %bb.12:
	s_lshl_b32 s4, s7, 1
	s_add_i32 s4, s6, s4
	s_add_i32 s4, s4, 1
	s_mov_b32 s5, 0
	s_lshl_b64 s[4:5], s[4:5], 3
	s_add_u32 s4, s10, s4
	s_addc_u32 s5, s11, s5
	s_load_dwordx2 s[4:5], s[4:5], 0x0
.LBB165_13:
	s_lshl_b32 s7, s7, 1
	s_add_i32 s6, s7, s6
	s_mov_b32 s7, 0
	s_lshl_b64 s[12:13], s[6:7], 3
	s_add_u32 s12, s10, s12
	s_addc_u32 s13, s11, s13
	s_add_i32 s6, s6, s15
	s_lshl_b64 s[6:7], s[6:7], 3
	s_add_u32 s6, s10, s6
	s_addc_u32 s7, s11, s7
	s_load_dwordx2 s[10:11], s[6:7], 0x0
	s_load_dwordx2 s[16:17], s[12:13], 0x0
	s_waitcnt lgkmcnt(0)
	v_mov_b32_e32 v3, s4
	v_mov_b32_e32 v4, s5
	ds_write_b64 v2, v[3:4] offset:4104
	v_mov_b32_e32 v3, s10
	v_mov_b32_e32 v4, s11
	v_mov_b32_e32 v5, s16
	v_mov_b32_e32 v6, s17
	ds_write_b128 v2, v[3:6] offset:2048
.LBB165_14:
	s_or_b64 exec, exec, s[8:9]
	s_waitcnt lgkmcnt(0)
	s_barrier
	s_and_saveexec_b64 s[4:5], s[0:1]
	s_cbranch_execz .LBB165_16
; %bb.15:
	s_movk_i32 s0, 0x1410
	v_mov_b32_e32 v6, 0
	v_add_u32_e64 v12, s0, 0
	v_add_u32_e64 v8, 8, 0
	ds_read2st64_b64 v[2:5], v6 offset1:2
	ds_read2st64_b64 v[8:11], v8 offset0:6 offset1:8
	ds_read2_b64 v[12:15], v12 offset1:255
	s_movk_i32 s0, 0x2410
	s_waitcnt lgkmcnt(0)
	v_fma_f64 v[4:5], -v[14:15], v[10:11], v[4:5]
	v_fma_f64 v[12:13], -v[12:13], v[10:11], v[8:9]
	v_add_u32_e64 v8, s0, 0
	ds_read2_b64 v[8:11], v8 offset1:255
	s_waitcnt lgkmcnt(0)
	v_fma_f64 v[4:5], -v[10:11], v[2:3], v[4:5]
	v_fma_f64 v[2:3], -v[8:9], v[2:3], v[12:13]
	ds_write_b64 v6, v[4:5] offset:1024
	ds_write_b64 v6, v[2:3] offset:3080
.LBB165_16:
	s_or_b64 exec, exec, s[4:5]
	v_cmp_gt_u32_e64 s[0:1], 2, v0
	s_waitcnt lgkmcnt(0)
	s_barrier
	s_and_saveexec_b64 s[4:5], s[0:1]
	s_cbranch_execz .LBB165_18
; %bb.17:
	s_movk_i32 s0, 0x3f8
	v_mad_u32_u24 v6, v0, s0, v7
	v_lshlrev_b32_e32 v16, 10, v0
	v_add_u32_e32 v8, 0x1210, v16
	v_add_u32_e32 v12, 8, v6
	ds_read2st64_b64 v[2:5], v6 offset1:1
	ds_read2_b64 v[8:11], v8 offset1:255
	ds_read2st64_b64 v[12:15], v12 offset0:5 offset1:6
	s_waitcnt lgkmcnt(0)
	v_fma_f64 v[4:5], -v[10:11], v[14:15], v[4:5]
	v_fma_f64 v[12:13], -v[8:9], v[14:15], v[12:13]
	v_add_u32_e32 v8, 0x2210, v16
	ds_read2_b64 v[8:11], v8 offset1:255
	s_waitcnt lgkmcnt(0)
	v_fma_f64 v[4:5], -v[10:11], v[2:3], v[4:5]
	v_fma_f64 v[2:3], -v[8:9], v[2:3], v[12:13]
	ds_write_b64 v6, v[4:5] offset:512
	ds_write_b64 v6, v[2:3] offset:2568
.LBB165_18:
	s_or_b64 exec, exec, s[4:5]
	v_cmp_gt_u32_e64 s[0:1], 4, v0
	s_waitcnt lgkmcnt(0)
	s_barrier
	s_and_saveexec_b64 s[4:5], s[0:1]
	s_cbranch_execz .LBB165_20
; %bb.19:
	v_lshlrev_b32_e32 v6, 9, v0
	v_add_u32_e32 v8, 0x1110, v6
	v_add_u32_e32 v12, 0x800, v6
	ds_read2_b64 v[2:5], v6 offset1:32
	ds_read2_b64 v[8:11], v8 offset1:255
	ds_read2_b64 v[12:15], v12 offset0:33 offset1:65
	s_waitcnt lgkmcnt(0)
	v_fma_f64 v[4:5], -v[10:11], v[14:15], v[4:5]
	v_fma_f64 v[12:13], -v[8:9], v[14:15], v[12:13]
	v_add_u32_e32 v8, 0x2110, v6
	ds_read2_b64 v[8:11], v8 offset1:255
	s_waitcnt lgkmcnt(0)
	v_fma_f64 v[4:5], -v[10:11], v[2:3], v[4:5]
	v_fma_f64 v[2:3], -v[8:9], v[2:3], v[12:13]
	ds_write_b64 v6, v[4:5] offset:256
	ds_write_b64 v6, v[2:3] offset:2312
.LBB165_20:
	s_or_b64 exec, exec, s[4:5]
	v_cmp_gt_u32_e64 s[0:1], 8, v0
	s_waitcnt lgkmcnt(0)
	s_barrier
	s_and_saveexec_b64 s[4:5], s[0:1]
	s_cbranch_execz .LBB165_22
; %bb.21:
	v_lshlrev_b32_e32 v6, 8, v0
	v_add_u32_e32 v8, 0x1090, v6
	v_add_u32_e32 v12, 0x800, v6
	ds_read2_b64 v[2:5], v6 offset1:16
	ds_read2_b64 v[8:11], v8 offset1:255
	ds_read2_b64 v[12:15], v12 offset0:17 offset1:33
	s_waitcnt lgkmcnt(0)
	v_fma_f64 v[4:5], -v[10:11], v[14:15], v[4:5]
	v_fma_f64 v[12:13], -v[8:9], v[14:15], v[12:13]
	v_add_u32_e32 v8, 0x2090, v6
	ds_read2_b64 v[8:11], v8 offset1:255
	s_waitcnt lgkmcnt(0)
	v_fma_f64 v[4:5], -v[10:11], v[2:3], v[4:5]
	v_fma_f64 v[2:3], -v[8:9], v[2:3], v[12:13]
	ds_write_b64 v6, v[4:5] offset:128
	ds_write_b64 v6, v[2:3] offset:2184
.LBB165_22:
	;; [unrolled: 24-line block ×5, first 2 shown]
	s_or_b64 exec, exec, s[4:5]
	s_movk_i32 s0, 0x80
	v_cmp_gt_u32_e64 s[0:1], s0, v0
	s_waitcnt lgkmcnt(0)
	s_barrier
	s_and_saveexec_b64 s[4:5], s[0:1]
	s_cbranch_execz .LBB165_30
; %bb.29:
	v_lshlrev_b32_e32 v0, 4, v0
	v_add_u32_e32 v6, 0x1018, v0
	ds_read_b128 v[2:5], v0
	ds_read_b128 v[8:11], v0 offset:2064
	ds_read2_b64 v[12:15], v6 offset1:255
	v_add_u32_e32 v6, 0x2018, v0
	s_waitcnt lgkmcnt(0)
	v_fma_f64 v[4:5], -v[14:15], v[10:11], v[4:5]
	v_fma_f64 v[12:13], -v[12:13], v[10:11], v[8:9]
	ds_read2_b64 v[8:11], v6 offset1:255
	s_waitcnt lgkmcnt(0)
	v_fma_f64 v[4:5], -v[10:11], v[2:3], v[4:5]
	v_fma_f64 v[2:3], -v[8:9], v[2:3], v[12:13]
	ds_write_b64 v0, v[4:5] offset:8
	ds_write_b64 v0, v[2:3] offset:2064
.LBB165_30:
	s_or_b64 exec, exec, s[4:5]
	s_waitcnt lgkmcnt(0)
	s_barrier
	s_and_saveexec_b64 s[0:1], vcc
	s_cbranch_execz .LBB165_32
; %bb.31:
	v_ashrrev_i32_e32 v2, 31, v1
	v_add_u32_e32 v0, 8, v7
	v_lshlrev_b64 v[7:8], 3, v[1:2]
	ds_read2st64_b64 v[3:6], v0 offset1:4
	v_mov_b32_e32 v0, s3
	v_add_co_u32_e32 v7, vcc, s2, v7
	v_addc_co_u32_e32 v8, vcc, v0, v8, vcc
	v_add_u32_e32 v0, s14, v1
	v_mov_b32_e32 v1, 0
	v_lshlrev_b64 v[0:1], 3, v[0:1]
	v_mov_b32_e32 v2, s3
	v_add_co_u32_e32 v0, vcc, s2, v0
	v_addc_co_u32_e32 v1, vcc, v2, v1, vcc
	s_waitcnt lgkmcnt(0)
	global_store_dwordx2 v[7:8], v[5:6], off
	global_store_dwordx2 v[0:1], v[3:4], off
.LBB165_32:
	s_endpgm
	.section	.rodata,"a",@progbits
	.p2align	6, 0x0
	.amdhsa_kernel _ZN9rocsparseL33gtsv_solve_spike_propagate_kernelILj256ELj128EdEEviiiPT1_PKS1_S4_S4_
		.amdhsa_group_segment_fixed_size 12304
		.amdhsa_private_segment_fixed_size 0
		.amdhsa_kernarg_size 304
		.amdhsa_user_sgpr_count 6
		.amdhsa_user_sgpr_private_segment_buffer 1
		.amdhsa_user_sgpr_dispatch_ptr 0
		.amdhsa_user_sgpr_queue_ptr 0
		.amdhsa_user_sgpr_kernarg_segment_ptr 1
		.amdhsa_user_sgpr_dispatch_id 0
		.amdhsa_user_sgpr_flat_scratch_init 0
		.amdhsa_user_sgpr_private_segment_size 0
		.amdhsa_uses_dynamic_stack 0
		.amdhsa_system_sgpr_private_segment_wavefront_offset 0
		.amdhsa_system_sgpr_workgroup_id_x 1
		.amdhsa_system_sgpr_workgroup_id_y 1
		.amdhsa_system_sgpr_workgroup_id_z 0
		.amdhsa_system_sgpr_workgroup_info 0
		.amdhsa_system_vgpr_workitem_id 0
		.amdhsa_next_free_vgpr 41
		.amdhsa_next_free_sgpr 98
		.amdhsa_reserve_vcc 1
		.amdhsa_reserve_flat_scratch 0
		.amdhsa_float_round_mode_32 0
		.amdhsa_float_round_mode_16_64 0
		.amdhsa_float_denorm_mode_32 3
		.amdhsa_float_denorm_mode_16_64 3
		.amdhsa_dx10_clamp 1
		.amdhsa_ieee_mode 1
		.amdhsa_fp16_overflow 0
		.amdhsa_exception_fp_ieee_invalid_op 0
		.amdhsa_exception_fp_denorm_src 0
		.amdhsa_exception_fp_ieee_div_zero 0
		.amdhsa_exception_fp_ieee_overflow 0
		.amdhsa_exception_fp_ieee_underflow 0
		.amdhsa_exception_fp_ieee_inexact 0
		.amdhsa_exception_int_div_zero 0
	.end_amdhsa_kernel
	.section	.text._ZN9rocsparseL33gtsv_solve_spike_propagate_kernelILj256ELj128EdEEviiiPT1_PKS1_S4_S4_,"axG",@progbits,_ZN9rocsparseL33gtsv_solve_spike_propagate_kernelILj256ELj128EdEEviiiPT1_PKS1_S4_S4_,comdat
.Lfunc_end165:
	.size	_ZN9rocsparseL33gtsv_solve_spike_propagate_kernelILj256ELj128EdEEviiiPT1_PKS1_S4_S4_, .Lfunc_end165-_ZN9rocsparseL33gtsv_solve_spike_propagate_kernelILj256ELj128EdEEviiiPT1_PKS1_S4_S4_
                                        ; -- End function
	.set _ZN9rocsparseL33gtsv_solve_spike_propagate_kernelILj256ELj128EdEEviiiPT1_PKS1_S4_S4_.num_vgpr, 17
	.set _ZN9rocsparseL33gtsv_solve_spike_propagate_kernelILj256ELj128EdEEviiiPT1_PKS1_S4_S4_.num_agpr, 0
	.set _ZN9rocsparseL33gtsv_solve_spike_propagate_kernelILj256ELj128EdEEviiiPT1_PKS1_S4_S4_.numbered_sgpr, 18
	.set _ZN9rocsparseL33gtsv_solve_spike_propagate_kernelILj256ELj128EdEEviiiPT1_PKS1_S4_S4_.num_named_barrier, 0
	.set _ZN9rocsparseL33gtsv_solve_spike_propagate_kernelILj256ELj128EdEEviiiPT1_PKS1_S4_S4_.private_seg_size, 0
	.set _ZN9rocsparseL33gtsv_solve_spike_propagate_kernelILj256ELj128EdEEviiiPT1_PKS1_S4_S4_.uses_vcc, 1
	.set _ZN9rocsparseL33gtsv_solve_spike_propagate_kernelILj256ELj128EdEEviiiPT1_PKS1_S4_S4_.uses_flat_scratch, 0
	.set _ZN9rocsparseL33gtsv_solve_spike_propagate_kernelILj256ELj128EdEEviiiPT1_PKS1_S4_S4_.has_dyn_sized_stack, 0
	.set _ZN9rocsparseL33gtsv_solve_spike_propagate_kernelILj256ELj128EdEEviiiPT1_PKS1_S4_S4_.has_recursion, 0
	.set _ZN9rocsparseL33gtsv_solve_spike_propagate_kernelILj256ELj128EdEEviiiPT1_PKS1_S4_S4_.has_indirect_call, 0
	.section	.AMDGPU.csdata,"",@progbits
; Kernel info:
; codeLenInByte = 2024
; TotalNumSgprs: 22
; NumVgprs: 17
; ScratchSize: 0
; MemoryBound: 0
; FloatMode: 240
; IeeeMode: 1
; LDSByteSize: 12304 bytes/workgroup (compile time only)
; SGPRBlocks: 12
; VGPRBlocks: 10
; NumSGPRsForWavesPerEU: 102
; NumVGPRsForWavesPerEU: 41
; Occupancy: 5
; WaveLimiterHint : 0
; COMPUTE_PGM_RSRC2:SCRATCH_EN: 0
; COMPUTE_PGM_RSRC2:USER_SGPR: 6
; COMPUTE_PGM_RSRC2:TRAP_HANDLER: 0
; COMPUTE_PGM_RSRC2:TGID_X_EN: 1
; COMPUTE_PGM_RSRC2:TGID_Y_EN: 1
; COMPUTE_PGM_RSRC2:TGID_Z_EN: 0
; COMPUTE_PGM_RSRC2:TIDIG_COMP_CNT: 0
	.section	.text._ZN9rocsparseL39gtsv_spike_backward_substitution_kernelILj256ELj128EdEEviiiPT1_PKS1_S4_,"axG",@progbits,_ZN9rocsparseL39gtsv_spike_backward_substitution_kernelILj256ELj128EdEEviiiPT1_PKS1_S4_,comdat
	.globl	_ZN9rocsparseL39gtsv_spike_backward_substitution_kernelILj256ELj128EdEEviiiPT1_PKS1_S4_ ; -- Begin function _ZN9rocsparseL39gtsv_spike_backward_substitution_kernelILj256ELj128EdEEviiiPT1_PKS1_S4_
	.p2align	8
	.type	_ZN9rocsparseL39gtsv_spike_backward_substitution_kernelILj256ELj128EdEEviiiPT1_PKS1_S4_,@function
_ZN9rocsparseL39gtsv_spike_backward_substitution_kernelILj256ELj128EdEEviiiPT1_PKS1_S4_: ; @_ZN9rocsparseL39gtsv_spike_backward_substitution_kernelILj256ELj128EdEEviiiPT1_PKS1_S4_
; %bb.0:
	s_load_dword s12, s[4:5], 0x0
	s_lshl_b32 s6, s6, 8
	v_or_b32_e32 v5, s6, v0
	s_waitcnt lgkmcnt(0)
	s_lshr_b32 s10, s12, 7
	v_cmp_gt_i32_e32 vcc, s10, v5
	s_and_saveexec_b64 s[0:1], vcc
	s_cbranch_execz .LBB166_9
; %bb.1:
	s_load_dwordx2 s[8:9], s[4:5], 0x10
	v_mov_b32_e32 v1, 0
	v_cmp_lt_i32_e32 vcc, 0, v5
	v_mov_b32_e32 v2, 0
	s_mul_i32 s11, s12, s7
	s_and_saveexec_b64 s[0:1], vcc
	s_cbranch_execz .LBB166_3
; %bb.2:
	s_mul_i32 s2, s10, 0x7f
	s_mul_i32 s3, s12, s7
	s_add_i32 s2, s2, s3
	v_add3_u32 v1, v5, s2, -1
	v_mov_b32_e32 v2, 0
	v_lshlrev_b64 v[1:2], 3, v[1:2]
	s_waitcnt lgkmcnt(0)
	v_mov_b32_e32 v3, s9
	v_add_co_u32_e32 v1, vcc, s8, v1
	v_addc_co_u32_e32 v2, vcc, v3, v2, vcc
	global_load_dwordx2 v[1:2], v[1:2], off
.LBB166_3:
	s_or_b64 exec, exec, s[0:1]
	s_load_dwordx4 s[0:3], s[4:5], 0x18
	v_add_u32_e32 v3, 0x80, v5
	v_cmp_le_u32_e32 vcc, s12, v3
	s_and_saveexec_b64 s[4:5], vcc
	s_xor_b64 s[4:5], exec, s[4:5]
; %bb.4:
                                        ; implicit-def: $vgpr5
; %bb.5:
	s_or_saveexec_b64 s[4:5], s[4:5]
	v_mov_b32_e32 v3, 0
	v_mov_b32_e32 v4, 0
	;; [unrolled: 1-line block ×3, first 2 shown]
	s_xor_b64 exec, exec, s[4:5]
	s_cbranch_execz .LBB166_7
; %bb.6:
	s_ashr_i32 s7, s11, 31
	v_ashrrev_i32_e32 v4, 31, v5
	v_mov_b32_e32 v6, s7
	v_add_co_u32_e32 v3, vcc, s11, v5
	v_addc_co_u32_e32 v4, vcc, v4, v6, vcc
	v_lshlrev_b64 v[3:4], 3, v[3:4]
	s_waitcnt lgkmcnt(0)
	v_mov_b32_e32 v5, s9
	v_add_co_u32_e32 v3, vcc, s8, v3
	v_addc_co_u32_e32 v4, vcc, v5, v4, vcc
	global_load_dwordx2 v[3:4], v[3:4], off offset:8
	v_mov_b32_e32 v17, s11
.LBB166_7:
	s_or_b64 exec, exec, s[4:5]
	v_add_u32_e32 v15, v0, v17
	s_lshl_b32 s5, s10, 1
	v_add_u32_e32 v5, s5, v15
	v_add_u32_e32 v6, s5, v0
	s_mul_i32 s5, s10, 3
	v_add_u32_e32 v7, s5, v15
	v_add_u32_e32 v8, s5, v0
	s_lshl_b32 s5, s10, 2
	v_add_u32_e32 v9, s5, v15
	v_add_u32_e32 v10, s5, v0
	s_mul_i32 s5, s10, 5
	s_mul_i32 s4, s10, 7
	v_add_u32_e32 v11, s5, v15
	v_add_u32_e32 v12, s5, v0
	s_mul_i32 s5, s10, 6
	v_add_u32_e32 v14, s5, v0
	v_add_u32_e32 v16, s4, v0
	v_add_u32_e32 v0, s10, v0
	v_add_u32_e32 v13, s5, v15
	v_add_u32_e32 v15, s4, v15
	v_add_u32_e32 v17, v0, v17
	s_movk_i32 s5, 0x7e
	s_waitcnt lgkmcnt(0)
	v_mov_b32_e32 v18, s9
	v_mov_b32_e32 v19, s1
	;; [unrolled: 1-line block ×3, first 2 shown]
.LBB166_8:                              ; =>This Inner Loop Header: Depth=1
	v_add_u32_e32 v21, s6, v17
	v_ashrrev_i32_e32 v22, 31, v21
	v_add_u32_e32 v23, s6, v0
	v_lshlrev_b64 v[21:22], 3, v[21:22]
	v_ashrrev_i32_e32 v24, 31, v23
	v_lshlrev_b64 v[23:24], 3, v[23:24]
	v_add_co_u32_e32 v21, vcc, s8, v21
	v_addc_co_u32_e32 v22, vcc, v18, v22, vcc
	v_add_co_u32_e32 v25, vcc, s0, v23
	v_addc_co_u32_e32 v26, vcc, v19, v24, vcc
	global_load_dwordx2 v[27:28], v[25:26], off
	global_load_dwordx2 v[29:30], v[21:22], off
	v_add_co_u32_e32 v23, vcc, s2, v23
	v_addc_co_u32_e32 v24, vcc, v20, v24, vcc
	global_load_dwordx2 v[23:24], v[23:24], off
	s_add_i32 s5, s5, -7
	v_add_u32_e32 v0, s4, v0
	v_add_u32_e32 v17, s4, v17
	s_cmp_lg_u32 s5, 0
	s_waitcnt vmcnt(1)
	v_fma_f64 v[25:26], -v[1:2], v[27:28], v[29:30]
	s_waitcnt vmcnt(0)
	v_fma_f64 v[23:24], -v[3:4], v[23:24], v[25:26]
	v_add_u32_e32 v25, s6, v5
	v_ashrrev_i32_e32 v26, 31, v25
	v_add_u32_e32 v5, s4, v5
	global_store_dwordx2 v[21:22], v[23:24], off
	v_add_u32_e32 v21, s6, v6
	v_lshlrev_b64 v[23:24], 3, v[25:26]
	v_ashrrev_i32_e32 v22, 31, v21
	v_lshlrev_b64 v[21:22], 3, v[21:22]
	v_add_co_u32_e32 v23, vcc, s8, v23
	v_addc_co_u32_e32 v24, vcc, v18, v24, vcc
	v_add_co_u32_e32 v25, vcc, s0, v21
	v_addc_co_u32_e32 v26, vcc, v19, v22, vcc
	global_load_dwordx2 v[27:28], v[25:26], off
	global_load_dwordx2 v[29:30], v[23:24], off
	v_add_co_u32_e32 v21, vcc, s2, v21
	v_addc_co_u32_e32 v22, vcc, v20, v22, vcc
	global_load_dwordx2 v[21:22], v[21:22], off
	v_add_u32_e32 v6, s4, v6
	s_waitcnt vmcnt(1)
	v_fma_f64 v[25:26], -v[1:2], v[27:28], v[29:30]
	s_waitcnt vmcnt(0)
	v_fma_f64 v[21:22], -v[3:4], v[21:22], v[25:26]
	v_add_u32_e32 v25, s6, v7
	v_ashrrev_i32_e32 v26, 31, v25
	v_add_u32_e32 v7, s4, v7
	global_store_dwordx2 v[23:24], v[21:22], off
	v_add_u32_e32 v21, s6, v8
	v_lshlrev_b64 v[23:24], 3, v[25:26]
	v_ashrrev_i32_e32 v22, 31, v21
	v_lshlrev_b64 v[21:22], 3, v[21:22]
	v_add_co_u32_e32 v23, vcc, s8, v23
	v_addc_co_u32_e32 v24, vcc, v18, v24, vcc
	v_add_co_u32_e32 v25, vcc, s0, v21
	v_addc_co_u32_e32 v26, vcc, v19, v22, vcc
	global_load_dwordx2 v[27:28], v[25:26], off
	global_load_dwordx2 v[29:30], v[23:24], off
	v_add_co_u32_e32 v21, vcc, s2, v21
	v_addc_co_u32_e32 v22, vcc, v20, v22, vcc
	global_load_dwordx2 v[21:22], v[21:22], off
	v_add_u32_e32 v8, s4, v8
	;; [unrolled: 22-line block ×6, first 2 shown]
	s_waitcnt vmcnt(1)
	v_fma_f64 v[25:26], -v[1:2], v[27:28], v[29:30]
	s_waitcnt vmcnt(0)
	v_fma_f64 v[21:22], -v[3:4], v[21:22], v[25:26]
	global_store_dwordx2 v[23:24], v[21:22], off
	s_cbranch_scc1 .LBB166_8
.LBB166_9:
	s_endpgm
	.section	.rodata,"a",@progbits
	.p2align	6, 0x0
	.amdhsa_kernel _ZN9rocsparseL39gtsv_spike_backward_substitution_kernelILj256ELj128EdEEviiiPT1_PKS1_S4_
		.amdhsa_group_segment_fixed_size 0
		.amdhsa_private_segment_fixed_size 0
		.amdhsa_kernarg_size 40
		.amdhsa_user_sgpr_count 6
		.amdhsa_user_sgpr_private_segment_buffer 1
		.amdhsa_user_sgpr_dispatch_ptr 0
		.amdhsa_user_sgpr_queue_ptr 0
		.amdhsa_user_sgpr_kernarg_segment_ptr 1
		.amdhsa_user_sgpr_dispatch_id 0
		.amdhsa_user_sgpr_flat_scratch_init 0
		.amdhsa_user_sgpr_private_segment_size 0
		.amdhsa_uses_dynamic_stack 0
		.amdhsa_system_sgpr_private_segment_wavefront_offset 0
		.amdhsa_system_sgpr_workgroup_id_x 1
		.amdhsa_system_sgpr_workgroup_id_y 1
		.amdhsa_system_sgpr_workgroup_id_z 0
		.amdhsa_system_sgpr_workgroup_info 0
		.amdhsa_system_vgpr_workitem_id 0
		.amdhsa_next_free_vgpr 31
		.amdhsa_next_free_sgpr 13
		.amdhsa_reserve_vcc 1
		.amdhsa_reserve_flat_scratch 0
		.amdhsa_float_round_mode_32 0
		.amdhsa_float_round_mode_16_64 0
		.amdhsa_float_denorm_mode_32 3
		.amdhsa_float_denorm_mode_16_64 3
		.amdhsa_dx10_clamp 1
		.amdhsa_ieee_mode 1
		.amdhsa_fp16_overflow 0
		.amdhsa_exception_fp_ieee_invalid_op 0
		.amdhsa_exception_fp_denorm_src 0
		.amdhsa_exception_fp_ieee_div_zero 0
		.amdhsa_exception_fp_ieee_overflow 0
		.amdhsa_exception_fp_ieee_underflow 0
		.amdhsa_exception_fp_ieee_inexact 0
		.amdhsa_exception_int_div_zero 0
	.end_amdhsa_kernel
	.section	.text._ZN9rocsparseL39gtsv_spike_backward_substitution_kernelILj256ELj128EdEEviiiPT1_PKS1_S4_,"axG",@progbits,_ZN9rocsparseL39gtsv_spike_backward_substitution_kernelILj256ELj128EdEEviiiPT1_PKS1_S4_,comdat
.Lfunc_end166:
	.size	_ZN9rocsparseL39gtsv_spike_backward_substitution_kernelILj256ELj128EdEEviiiPT1_PKS1_S4_, .Lfunc_end166-_ZN9rocsparseL39gtsv_spike_backward_substitution_kernelILj256ELj128EdEEviiiPT1_PKS1_S4_
                                        ; -- End function
	.set _ZN9rocsparseL39gtsv_spike_backward_substitution_kernelILj256ELj128EdEEviiiPT1_PKS1_S4_.num_vgpr, 31
	.set _ZN9rocsparseL39gtsv_spike_backward_substitution_kernelILj256ELj128EdEEviiiPT1_PKS1_S4_.num_agpr, 0
	.set _ZN9rocsparseL39gtsv_spike_backward_substitution_kernelILj256ELj128EdEEviiiPT1_PKS1_S4_.numbered_sgpr, 13
	.set _ZN9rocsparseL39gtsv_spike_backward_substitution_kernelILj256ELj128EdEEviiiPT1_PKS1_S4_.num_named_barrier, 0
	.set _ZN9rocsparseL39gtsv_spike_backward_substitution_kernelILj256ELj128EdEEviiiPT1_PKS1_S4_.private_seg_size, 0
	.set _ZN9rocsparseL39gtsv_spike_backward_substitution_kernelILj256ELj128EdEEviiiPT1_PKS1_S4_.uses_vcc, 1
	.set _ZN9rocsparseL39gtsv_spike_backward_substitution_kernelILj256ELj128EdEEviiiPT1_PKS1_S4_.uses_flat_scratch, 0
	.set _ZN9rocsparseL39gtsv_spike_backward_substitution_kernelILj256ELj128EdEEviiiPT1_PKS1_S4_.has_dyn_sized_stack, 0
	.set _ZN9rocsparseL39gtsv_spike_backward_substitution_kernelILj256ELj128EdEEviiiPT1_PKS1_S4_.has_recursion, 0
	.set _ZN9rocsparseL39gtsv_spike_backward_substitution_kernelILj256ELj128EdEEviiiPT1_PKS1_S4_.has_indirect_call, 0
	.section	.AMDGPU.csdata,"",@progbits
; Kernel info:
; codeLenInByte = 1204
; TotalNumSgprs: 17
; NumVgprs: 31
; ScratchSize: 0
; MemoryBound: 0
; FloatMode: 240
; IeeeMode: 1
; LDSByteSize: 0 bytes/workgroup (compile time only)
; SGPRBlocks: 2
; VGPRBlocks: 7
; NumSGPRsForWavesPerEU: 17
; NumVGPRsForWavesPerEU: 31
; Occupancy: 8
; WaveLimiterHint : 0
; COMPUTE_PGM_RSRC2:SCRATCH_EN: 0
; COMPUTE_PGM_RSRC2:USER_SGPR: 6
; COMPUTE_PGM_RSRC2:TRAP_HANDLER: 0
; COMPUTE_PGM_RSRC2:TGID_X_EN: 1
; COMPUTE_PGM_RSRC2:TGID_Y_EN: 1
; COMPUTE_PGM_RSRC2:TGID_Z_EN: 0
; COMPUTE_PGM_RSRC2:TIDIG_COMP_CNT: 0
	.section	.text._ZN9rocsparseL32gtsv_transpose_back_array_kernelILj256ELj128EdEEviiiPKT1_PS1_,"axG",@progbits,_ZN9rocsparseL32gtsv_transpose_back_array_kernelILj256ELj128EdEEviiiPKT1_PS1_,comdat
	.globl	_ZN9rocsparseL32gtsv_transpose_back_array_kernelILj256ELj128EdEEviiiPKT1_PS1_ ; -- Begin function _ZN9rocsparseL32gtsv_transpose_back_array_kernelILj256ELj128EdEEviiiPKT1_PS1_
	.p2align	8
	.type	_ZN9rocsparseL32gtsv_transpose_back_array_kernelILj256ELj128EdEEviiiPKT1_PS1_,@function
_ZN9rocsparseL32gtsv_transpose_back_array_kernelILj256ELj128EdEEviiiPKT1_PS1_: ; @_ZN9rocsparseL32gtsv_transpose_back_array_kernelILj256ELj128EdEEviiiPKT1_PS1_
; %bb.0:
	s_load_dwordx4 s[0:3], s[4:5], 0x0
	v_lshl_or_b32 v0, s6, 8, v0
	v_lshlrev_b32_e32 v3, 7, v0
	s_waitcnt lgkmcnt(0)
	v_cvt_f32_u32_e32 v1, s1
	s_sub_i32 s3, 0, s1
	v_rcp_iflag_f32_e32 v1, v1
	v_mul_f32_e32 v1, 0x4f7ffffe, v1
	v_cvt_u32_f32_e32 v1, v1
	v_mul_lo_u32 v2, s3, v1
	v_mul_hi_u32 v2, v1, v2
	v_add_u32_e32 v1, v1, v2
	v_mul_hi_u32 v1, v3, v1
	v_mul_lo_u32 v2, v1, s1
	v_add_u32_e32 v4, 1, v1
	v_sub_u32_e32 v2, v3, v2
	v_cmp_le_u32_e32 vcc, s1, v2
	v_cndmask_b32_e32 v1, v1, v4, vcc
	v_subrev_u32_e32 v4, s1, v2
	v_cndmask_b32_e32 v2, v2, v4, vcc
	v_add_u32_e32 v4, 1, v1
	v_cmp_le_u32_e32 vcc, s1, v2
	v_cndmask_b32_e32 v1, v1, v4, vcc
	v_mul_lo_u32 v2, v1, s1
	v_sub_u32_e32 v2, v3, v2
	v_add_u32_e32 v1, v1, v2
	v_cmp_gt_i32_e32 vcc, s0, v1
	s_and_saveexec_b64 s[8:9], vcc
	s_cbranch_execz .LBB167_2
; %bb.1:
	s_load_dwordx4 s[8:11], s[4:5], 0x10
	s_mul_i32 s0, s1, s7
	v_add_u32_e32 v2, s0, v0
	v_ashrrev_i32_e32 v3, 31, v2
	v_lshlrev_b64 v[2:3], 3, v[2:3]
	s_waitcnt lgkmcnt(0)
	v_mov_b32_e32 v0, s9
	v_add_co_u32_e32 v2, vcc, s8, v2
	v_addc_co_u32_e32 v3, vcc, v0, v3, vcc
	global_load_dwordx2 v[2:3], v[2:3], off
	s_mul_i32 s0, s2, s7
	v_add_u32_e32 v0, s0, v1
	v_ashrrev_i32_e32 v1, 31, v0
	v_lshlrev_b64 v[0:1], 3, v[0:1]
	v_mov_b32_e32 v4, s11
	v_add_co_u32_e32 v0, vcc, s10, v0
	v_addc_co_u32_e32 v1, vcc, v4, v1, vcc
	s_waitcnt vmcnt(0)
	global_store_dwordx2 v[0:1], v[2:3], off
.LBB167_2:
	s_endpgm
	.section	.rodata,"a",@progbits
	.p2align	6, 0x0
	.amdhsa_kernel _ZN9rocsparseL32gtsv_transpose_back_array_kernelILj256ELj128EdEEviiiPKT1_PS1_
		.amdhsa_group_segment_fixed_size 0
		.amdhsa_private_segment_fixed_size 0
		.amdhsa_kernarg_size 32
		.amdhsa_user_sgpr_count 6
		.amdhsa_user_sgpr_private_segment_buffer 1
		.amdhsa_user_sgpr_dispatch_ptr 0
		.amdhsa_user_sgpr_queue_ptr 0
		.amdhsa_user_sgpr_kernarg_segment_ptr 1
		.amdhsa_user_sgpr_dispatch_id 0
		.amdhsa_user_sgpr_flat_scratch_init 0
		.amdhsa_user_sgpr_private_segment_size 0
		.amdhsa_uses_dynamic_stack 0
		.amdhsa_system_sgpr_private_segment_wavefront_offset 0
		.amdhsa_system_sgpr_workgroup_id_x 1
		.amdhsa_system_sgpr_workgroup_id_y 1
		.amdhsa_system_sgpr_workgroup_id_z 0
		.amdhsa_system_sgpr_workgroup_info 0
		.amdhsa_system_vgpr_workitem_id 0
		.amdhsa_next_free_vgpr 5
		.amdhsa_next_free_sgpr 12
		.amdhsa_reserve_vcc 1
		.amdhsa_reserve_flat_scratch 0
		.amdhsa_float_round_mode_32 0
		.amdhsa_float_round_mode_16_64 0
		.amdhsa_float_denorm_mode_32 3
		.amdhsa_float_denorm_mode_16_64 3
		.amdhsa_dx10_clamp 1
		.amdhsa_ieee_mode 1
		.amdhsa_fp16_overflow 0
		.amdhsa_exception_fp_ieee_invalid_op 0
		.amdhsa_exception_fp_denorm_src 0
		.amdhsa_exception_fp_ieee_div_zero 0
		.amdhsa_exception_fp_ieee_overflow 0
		.amdhsa_exception_fp_ieee_underflow 0
		.amdhsa_exception_fp_ieee_inexact 0
		.amdhsa_exception_int_div_zero 0
	.end_amdhsa_kernel
	.section	.text._ZN9rocsparseL32gtsv_transpose_back_array_kernelILj256ELj128EdEEviiiPKT1_PS1_,"axG",@progbits,_ZN9rocsparseL32gtsv_transpose_back_array_kernelILj256ELj128EdEEviiiPKT1_PS1_,comdat
.Lfunc_end167:
	.size	_ZN9rocsparseL32gtsv_transpose_back_array_kernelILj256ELj128EdEEviiiPKT1_PS1_, .Lfunc_end167-_ZN9rocsparseL32gtsv_transpose_back_array_kernelILj256ELj128EdEEviiiPKT1_PS1_
                                        ; -- End function
	.set _ZN9rocsparseL32gtsv_transpose_back_array_kernelILj256ELj128EdEEviiiPKT1_PS1_.num_vgpr, 5
	.set _ZN9rocsparseL32gtsv_transpose_back_array_kernelILj256ELj128EdEEviiiPKT1_PS1_.num_agpr, 0
	.set _ZN9rocsparseL32gtsv_transpose_back_array_kernelILj256ELj128EdEEviiiPKT1_PS1_.numbered_sgpr, 12
	.set _ZN9rocsparseL32gtsv_transpose_back_array_kernelILj256ELj128EdEEviiiPKT1_PS1_.num_named_barrier, 0
	.set _ZN9rocsparseL32gtsv_transpose_back_array_kernelILj256ELj128EdEEviiiPKT1_PS1_.private_seg_size, 0
	.set _ZN9rocsparseL32gtsv_transpose_back_array_kernelILj256ELj128EdEEviiiPKT1_PS1_.uses_vcc, 1
	.set _ZN9rocsparseL32gtsv_transpose_back_array_kernelILj256ELj128EdEEviiiPKT1_PS1_.uses_flat_scratch, 0
	.set _ZN9rocsparseL32gtsv_transpose_back_array_kernelILj256ELj128EdEEviiiPKT1_PS1_.has_dyn_sized_stack, 0
	.set _ZN9rocsparseL32gtsv_transpose_back_array_kernelILj256ELj128EdEEviiiPKT1_PS1_.has_recursion, 0
	.set _ZN9rocsparseL32gtsv_transpose_back_array_kernelILj256ELj128EdEEviiiPKT1_PS1_.has_indirect_call, 0
	.section	.AMDGPU.csdata,"",@progbits
; Kernel info:
; codeLenInByte = 248
; TotalNumSgprs: 16
; NumVgprs: 5
; ScratchSize: 0
; MemoryBound: 0
; FloatMode: 240
; IeeeMode: 1
; LDSByteSize: 0 bytes/workgroup (compile time only)
; SGPRBlocks: 1
; VGPRBlocks: 1
; NumSGPRsForWavesPerEU: 16
; NumVGPRsForWavesPerEU: 5
; Occupancy: 10
; WaveLimiterHint : 0
; COMPUTE_PGM_RSRC2:SCRATCH_EN: 0
; COMPUTE_PGM_RSRC2:USER_SGPR: 6
; COMPUTE_PGM_RSRC2:TRAP_HANDLER: 0
; COMPUTE_PGM_RSRC2:TGID_X_EN: 1
; COMPUTE_PGM_RSRC2:TGID_Y_EN: 1
; COMPUTE_PGM_RSRC2:TGID_Z_EN: 0
; COMPUTE_PGM_RSRC2:TIDIG_COMP_CNT: 0
	.section	.text._ZN9rocsparseL42gtsv_transpose_and_pad_array_shared_kernelILj256ELj256EdEEviiiPKT1_PS1_S1_,"axG",@progbits,_ZN9rocsparseL42gtsv_transpose_and_pad_array_shared_kernelILj256ELj256EdEEviiiPKT1_PS1_S1_,comdat
	.globl	_ZN9rocsparseL42gtsv_transpose_and_pad_array_shared_kernelILj256ELj256EdEEviiiPKT1_PS1_S1_ ; -- Begin function _ZN9rocsparseL42gtsv_transpose_and_pad_array_shared_kernelILj256ELj256EdEEviiiPKT1_PS1_S1_
	.p2align	8
	.type	_ZN9rocsparseL42gtsv_transpose_and_pad_array_shared_kernelILj256ELj256EdEEviiiPKT1_PS1_S1_,@function
_ZN9rocsparseL42gtsv_transpose_and_pad_array_shared_kernelILj256ELj256EdEEviiiPKT1_PS1_S1_: ; @_ZN9rocsparseL42gtsv_transpose_and_pad_array_shared_kernelILj256ELj256EdEEviiiPKT1_PS1_S1_
; %bb.0:
	s_load_dwordx4 s[0:3], s[4:5], 0x0
	s_load_dwordx2 s[8:9], s[4:5], 0x20
	v_lshl_or_b32 v3, s6, 8, v0
	s_waitcnt lgkmcnt(0)
	v_cmp_gt_i32_e32 vcc, s0, v3
	v_mov_b32_e32 v1, s8
	v_mov_b32_e32 v2, s9
	s_and_saveexec_b64 s[8:9], vcc
	s_cbranch_execz .LBB168_2
; %bb.1:
	s_load_dwordx2 s[10:11], s[4:5], 0x10
	s_mul_i32 s0, s2, s7
	v_add_u32_e32 v1, s0, v3
	v_ashrrev_i32_e32 v2, 31, v1
	v_lshlrev_b64 v[1:2], 3, v[1:2]
	s_waitcnt lgkmcnt(0)
	v_mov_b32_e32 v3, s11
	v_add_co_u32_e32 v1, vcc, s10, v1
	v_addc_co_u32_e32 v2, vcc, v3, v2, vcc
	global_load_dwordx2 v[1:2], v[1:2], off
.LBB168_2:
	s_or_b64 exec, exec, s[8:9]
	v_lshlrev_b32_e32 v3, 3, v0
	s_waitcnt vmcnt(0)
	ds_write_b64 v3, v[1:2]
	s_lshr_b32 s0, s1, 8
	v_mov_b32_e32 v1, s6
	v_mad_u32_u24 v0, s0, v0, v1
	v_cmp_gt_i32_e32 vcc, s1, v0
	s_waitcnt lgkmcnt(0)
	s_barrier
	s_and_saveexec_b64 s[2:3], vcc
	s_cbranch_execz .LBB168_4
; %bb.3:
	s_load_dwordx2 s[2:3], s[4:5], 0x18
	s_mul_i32 s0, s1, s7
	ds_read_b64 v[1:2], v3
	v_add_u32_e32 v3, s0, v0
	v_ashrrev_i32_e32 v4, 31, v3
	v_lshlrev_b64 v[3:4], 3, v[3:4]
	s_waitcnt lgkmcnt(0)
	v_mov_b32_e32 v0, s3
	v_add_co_u32_e32 v3, vcc, s2, v3
	v_addc_co_u32_e32 v4, vcc, v0, v4, vcc
	global_store_dwordx2 v[3:4], v[1:2], off
.LBB168_4:
	s_endpgm
	.section	.rodata,"a",@progbits
	.p2align	6, 0x0
	.amdhsa_kernel _ZN9rocsparseL42gtsv_transpose_and_pad_array_shared_kernelILj256ELj256EdEEviiiPKT1_PS1_S1_
		.amdhsa_group_segment_fixed_size 2048
		.amdhsa_private_segment_fixed_size 0
		.amdhsa_kernarg_size 40
		.amdhsa_user_sgpr_count 6
		.amdhsa_user_sgpr_private_segment_buffer 1
		.amdhsa_user_sgpr_dispatch_ptr 0
		.amdhsa_user_sgpr_queue_ptr 0
		.amdhsa_user_sgpr_kernarg_segment_ptr 1
		.amdhsa_user_sgpr_dispatch_id 0
		.amdhsa_user_sgpr_flat_scratch_init 0
		.amdhsa_user_sgpr_private_segment_size 0
		.amdhsa_uses_dynamic_stack 0
		.amdhsa_system_sgpr_private_segment_wavefront_offset 0
		.amdhsa_system_sgpr_workgroup_id_x 1
		.amdhsa_system_sgpr_workgroup_id_y 1
		.amdhsa_system_sgpr_workgroup_id_z 0
		.amdhsa_system_sgpr_workgroup_info 0
		.amdhsa_system_vgpr_workitem_id 0
		.amdhsa_next_free_vgpr 5
		.amdhsa_next_free_sgpr 12
		.amdhsa_reserve_vcc 1
		.amdhsa_reserve_flat_scratch 0
		.amdhsa_float_round_mode_32 0
		.amdhsa_float_round_mode_16_64 0
		.amdhsa_float_denorm_mode_32 3
		.amdhsa_float_denorm_mode_16_64 3
		.amdhsa_dx10_clamp 1
		.amdhsa_ieee_mode 1
		.amdhsa_fp16_overflow 0
		.amdhsa_exception_fp_ieee_invalid_op 0
		.amdhsa_exception_fp_denorm_src 0
		.amdhsa_exception_fp_ieee_div_zero 0
		.amdhsa_exception_fp_ieee_overflow 0
		.amdhsa_exception_fp_ieee_underflow 0
		.amdhsa_exception_fp_ieee_inexact 0
		.amdhsa_exception_int_div_zero 0
	.end_amdhsa_kernel
	.section	.text._ZN9rocsparseL42gtsv_transpose_and_pad_array_shared_kernelILj256ELj256EdEEviiiPKT1_PS1_S1_,"axG",@progbits,_ZN9rocsparseL42gtsv_transpose_and_pad_array_shared_kernelILj256ELj256EdEEviiiPKT1_PS1_S1_,comdat
.Lfunc_end168:
	.size	_ZN9rocsparseL42gtsv_transpose_and_pad_array_shared_kernelILj256ELj256EdEEviiiPKT1_PS1_S1_, .Lfunc_end168-_ZN9rocsparseL42gtsv_transpose_and_pad_array_shared_kernelILj256ELj256EdEEviiiPKT1_PS1_S1_
                                        ; -- End function
	.set _ZN9rocsparseL42gtsv_transpose_and_pad_array_shared_kernelILj256ELj256EdEEviiiPKT1_PS1_S1_.num_vgpr, 5
	.set _ZN9rocsparseL42gtsv_transpose_and_pad_array_shared_kernelILj256ELj256EdEEviiiPKT1_PS1_S1_.num_agpr, 0
	.set _ZN9rocsparseL42gtsv_transpose_and_pad_array_shared_kernelILj256ELj256EdEEviiiPKT1_PS1_S1_.numbered_sgpr, 12
	.set _ZN9rocsparseL42gtsv_transpose_and_pad_array_shared_kernelILj256ELj256EdEEviiiPKT1_PS1_S1_.num_named_barrier, 0
	.set _ZN9rocsparseL42gtsv_transpose_and_pad_array_shared_kernelILj256ELj256EdEEviiiPKT1_PS1_S1_.private_seg_size, 0
	.set _ZN9rocsparseL42gtsv_transpose_and_pad_array_shared_kernelILj256ELj256EdEEviiiPKT1_PS1_S1_.uses_vcc, 1
	.set _ZN9rocsparseL42gtsv_transpose_and_pad_array_shared_kernelILj256ELj256EdEEviiiPKT1_PS1_S1_.uses_flat_scratch, 0
	.set _ZN9rocsparseL42gtsv_transpose_and_pad_array_shared_kernelILj256ELj256EdEEviiiPKT1_PS1_S1_.has_dyn_sized_stack, 0
	.set _ZN9rocsparseL42gtsv_transpose_and_pad_array_shared_kernelILj256ELj256EdEEviiiPKT1_PS1_S1_.has_recursion, 0
	.set _ZN9rocsparseL42gtsv_transpose_and_pad_array_shared_kernelILj256ELj256EdEEviiiPKT1_PS1_S1_.has_indirect_call, 0
	.section	.AMDGPU.csdata,"",@progbits
; Kernel info:
; codeLenInByte = 220
; TotalNumSgprs: 16
; NumVgprs: 5
; ScratchSize: 0
; MemoryBound: 0
; FloatMode: 240
; IeeeMode: 1
; LDSByteSize: 2048 bytes/workgroup (compile time only)
; SGPRBlocks: 1
; VGPRBlocks: 1
; NumSGPRsForWavesPerEU: 16
; NumVGPRsForWavesPerEU: 5
; Occupancy: 10
; WaveLimiterHint : 0
; COMPUTE_PGM_RSRC2:SCRATCH_EN: 0
; COMPUTE_PGM_RSRC2:USER_SGPR: 6
; COMPUTE_PGM_RSRC2:TRAP_HANDLER: 0
; COMPUTE_PGM_RSRC2:TGID_X_EN: 1
; COMPUTE_PGM_RSRC2:TGID_Y_EN: 1
; COMPUTE_PGM_RSRC2:TGID_Z_EN: 0
; COMPUTE_PGM_RSRC2:TIDIG_COMP_CNT: 0
	.section	.text._ZN9rocsparseL18gtsv_LBM_wv_kernelILj256ELj256EdEEviiiPKT1_S3_S3_PS1_S4_S4_Pi,"axG",@progbits,_ZN9rocsparseL18gtsv_LBM_wv_kernelILj256ELj256EdEEviiiPKT1_S3_S3_PS1_S4_S4_Pi,comdat
	.globl	_ZN9rocsparseL18gtsv_LBM_wv_kernelILj256ELj256EdEEviiiPKT1_S3_S3_PS1_S4_S4_Pi ; -- Begin function _ZN9rocsparseL18gtsv_LBM_wv_kernelILj256ELj256EdEEviiiPKT1_S3_S3_PS1_S4_S4_Pi
	.p2align	8
	.type	_ZN9rocsparseL18gtsv_LBM_wv_kernelILj256ELj256EdEEviiiPKT1_S3_S3_PS1_S4_S4_Pi,@function
_ZN9rocsparseL18gtsv_LBM_wv_kernelILj256ELj256EdEEviiiPKT1_S3_S3_PS1_S4_S4_Pi: ; @_ZN9rocsparseL18gtsv_LBM_wv_kernelILj256ELj256EdEEviiiPKT1_S3_S3_PS1_S4_S4_Pi
; %bb.0:
	s_load_dword s27, s[4:5], 0x0
	v_lshl_or_b32 v0, s6, 8, v0
	s_waitcnt lgkmcnt(0)
	s_lshr_b32 s26, s27, 8
	v_cmp_gt_i32_e32 vcc, s26, v0
	s_and_saveexec_b64 s[0:1], vcc
	s_cbranch_execz .LBB169_30
; %bb.1:
	s_load_dwordx2 s[16:17], s[4:5], 0x10
	s_load_dwordx8 s[8:15], s[4:5], 0x20
	v_ashrrev_i32_e32 v1, 31, v0
	v_lshlrev_b64 v[4:5], 3, v[0:1]
	s_mul_i32 s28, s26, 0xff
	s_waitcnt lgkmcnt(0)
	v_mov_b32_e32 v2, s17
	v_add_co_u32_e32 v1, vcc, s16, v4
	v_addc_co_u32_e32 v2, vcc, v2, v5, vcc
	global_load_dwordx2 v[6:7], v[1:2], off
	v_add_u32_e32 v2, s28, v0
	v_mov_b32_e32 v3, 0
	v_lshlrev_b64 v[8:9], 3, v[2:3]
	v_mov_b32_e32 v2, s9
	v_add_co_u32_e32 v1, vcc, s8, v8
	v_addc_co_u32_e32 v2, vcc, v2, v9, vcc
	global_load_dwordx2 v[10:11], v[1:2], off
	s_load_dwordx2 s[6:7], s[4:5], 0x40
	v_mov_b32_e32 v2, s11
	v_add_co_u32_e32 v1, vcc, s10, v4
	v_addc_co_u32_e32 v2, vcc, v2, v5, vcc
	s_cmp_lt_i32 s27, 1
	v_add_u32_e32 v39, s26, v0
	v_mov_b32_e32 v12, s13
	v_add_co_u32_e32 v8, vcc, s12, v8
	v_addc_co_u32_e32 v9, vcc, v12, v9, vcc
	s_waitcnt vmcnt(1)
	global_store_dwordx2 v[1:2], v[6:7], off
	s_waitcnt vmcnt(1)
	global_store_dwordx2 v[8:9], v[10:11], off
	s_cbranch_scc1 .LBB169_23
; %bb.2:
	s_load_dwordx2 s[18:19], s[4:5], 0x18
	s_mov_b32 s22, 0x372fe950
	s_mul_i32 s29, s26, 0xfe
	s_lshl_b32 s30, s26, 1
	v_add_u32_e32 v40, s26, v39
	s_waitcnt lgkmcnt(0)
	v_mov_b32_e32 v6, s19
	v_add_co_u32_e32 v3, vcc, s18, v4
	v_addc_co_u32_e32 v4, vcc, v6, v5, vcc
	global_load_dwordx2 v[5:6], v[3:4], off
	v_mov_b32_e32 v3, 0
	s_mov_b64 s[20:21], 0
	s_mov_b32 s23, 0x3fe3c6ef
	v_mov_b32_e32 v41, 2
	v_mov_b32_e32 v42, 1
	;; [unrolled: 1-line block ×3, first 2 shown]
	s_branch .LBB169_5
.LBB169_3:                              ;   in Loop: Header=BB169_5 Depth=1
	s_or_b64 exec, exec, s[4:5]
	v_fma_f64 v[5:6], -v[4:5], v[21:22], v[9:10]
	v_mov_b32_e32 v4, s26
.LBB169_4:                              ;   in Loop: Header=BB169_5 Depth=1
	s_or_b64 exec, exec, s[2:3]
	v_add_u32_e32 v3, v4, v3
	v_cmp_le_i32_e32 vcc, s27, v3
	s_or_b64 s[20:21], vcc, s[20:21]
	s_andn2_b64 exec, exec, s[20:21]
	s_cbranch_execz .LBB169_22
.LBB169_5:                              ; =>This Inner Loop Header: Depth=1
	v_add_u32_e32 v13, v3, v0
	v_ashrrev_i32_e32 v14, 31, v13
	v_lshlrev_b64 v[11:12], 3, v[13:14]
	v_mov_b32_e32 v9, 0
	v_add_co_u32_e32 v7, vcc, s8, v11
	v_addc_co_u32_e32 v8, vcc, v43, v12, vcc
	global_load_dwordx2 v[15:16], v[7:8], off
	v_mov_b32_e32 v7, 0
	v_mov_b32_e32 v10, 0
	;; [unrolled: 1-line block ×3, first 2 shown]
	v_cmp_gt_u32_e64 s[0:1], s28, v3
	s_and_saveexec_b64 s[2:3], s[0:1]
	s_cbranch_execz .LBB169_7
; %bb.6:                                ;   in Loop: Header=BB169_5 Depth=1
	v_add_u32_e32 v7, v39, v3
	v_ashrrev_i32_e32 v8, 31, v7
	v_lshlrev_b64 v[7:8], 3, v[7:8]
	v_mov_b32_e32 v4, s17
	v_add_co_u32_e32 v7, vcc, s16, v7
	v_addc_co_u32_e32 v8, vcc, v4, v8, vcc
	global_load_dwordx2 v[7:8], v[7:8], off
.LBB169_7:                              ;   in Loop: Header=BB169_5 Depth=1
	s_or_b64 exec, exec, s[2:3]
	s_and_saveexec_b64 s[2:3], s[0:1]
	s_cbranch_execz .LBB169_9
; %bb.8:                                ;   in Loop: Header=BB169_5 Depth=1
	v_add_u32_e32 v9, v39, v3
	v_ashrrev_i32_e32 v10, 31, v9
	v_lshlrev_b64 v[9:10], 3, v[9:10]
	v_mov_b32_e32 v4, s19
	v_add_co_u32_e32 v9, vcc, s18, v9
	v_addc_co_u32_e32 v10, vcc, v4, v10, vcc
	global_load_dwordx2 v[9:10], v[9:10], off
.LBB169_9:                              ;   in Loop: Header=BB169_5 Depth=1
	s_or_b64 exec, exec, s[2:3]
	v_mov_b32_e32 v19, 0
	v_mov_b32_e32 v17, 0
	v_mov_b32_e32 v20, 0
	v_mov_b32_e32 v18, 0
	s_and_saveexec_b64 s[2:3], s[0:1]
	s_cbranch_execz .LBB169_11
; %bb.10:                               ;   in Loop: Header=BB169_5 Depth=1
	v_add_u32_e32 v17, v39, v3
	v_ashrrev_i32_e32 v18, 31, v17
	v_lshlrev_b64 v[17:18], 3, v[17:18]
	v_mov_b32_e32 v4, s9
	v_add_co_u32_e32 v17, vcc, s8, v17
	v_addc_co_u32_e32 v18, vcc, v4, v18, vcc
	global_load_dwordx2 v[17:18], v[17:18], off
.LBB169_11:                             ;   in Loop: Header=BB169_5 Depth=1
	s_or_b64 exec, exec, s[2:3]
	v_cmp_gt_u32_e64 s[2:3], s29, v3
	s_and_saveexec_b64 s[4:5], s[2:3]
	s_cbranch_execz .LBB169_13
; %bb.12:                               ;   in Loop: Header=BB169_5 Depth=1
	v_add_u32_e32 v19, v40, v3
	v_ashrrev_i32_e32 v20, 31, v19
	v_lshlrev_b64 v[19:20], 3, v[19:20]
	v_mov_b32_e32 v4, s17
	v_add_co_u32_e32 v19, vcc, s16, v19
	v_addc_co_u32_e32 v20, vcc, v4, v20, vcc
	global_load_dwordx2 v[19:20], v[19:20], off
.LBB169_13:                             ;   in Loop: Header=BB169_5 Depth=1
	s_or_b64 exec, exec, s[4:5]
	s_waitcnt vmcnt(0)
	v_cmp_gt_f64_e32 vcc, 0, v[7:8]
	v_xor_b32_e32 v4, 0x80000000, v8
	v_mov_b32_e32 v21, v7
	v_mov_b32_e32 v23, v19
	;; [unrolled: 1-line block ×3, first 2 shown]
	v_cmp_gt_f64_e64 s[4:5], 0, v[17:18]
	v_cndmask_b32_e32 v22, v8, v4, vcc
	v_cmp_gt_f64_e32 vcc, 0, v[19:20]
	v_xor_b32_e32 v4, 0x80000000, v20
	v_cndmask_b32_e32 v24, v20, v4, vcc
	v_cmp_lt_f64_e32 vcc, v[21:22], v[23:24]
	v_xor_b32_e32 v4, 0x80000000, v10
	v_mov_b32_e32 v23, v9
	v_cndmask_b32_e32 v22, v22, v24, vcc
	v_cndmask_b32_e32 v21, v7, v19, vcc
	v_cmp_gt_f64_e32 vcc, 0, v[9:10]
	v_cndmask_b32_e32 v24, v10, v4, vcc
	v_cmp_lt_f64_e32 vcc, v[23:24], v[21:22]
	v_xor_b32_e32 v4, 0x80000000, v16
	v_cndmask_b32_e32 v24, v24, v22, vcc
	v_cndmask_b32_e32 v23, v9, v21, vcc
	v_cmp_gt_f64_e32 vcc, 0, v[15:16]
	v_mul_f64 v[21:22], v[15:16], v[7:8]
	v_cndmask_b32_e32 v26, v16, v4, vcc
	v_cmp_lt_f64_e32 vcc, v[25:26], v[23:24]
	v_xor_b32_e32 v4, 0x80000000, v18
	v_cndmask_b32_e64 v25, v18, v4, s[4:5]
	v_cmp_gt_f64_e64 s[4:5], 0, v[5:6]
	v_xor_b32_e32 v4, 0x80000000, v6
	v_cndmask_b32_e32 v27, v26, v24, vcc
	v_cndmask_b32_e32 v26, v15, v23, vcc
	v_mov_b32_e32 v24, v17
	v_cmp_lt_f64_e32 vcc, v[24:25], v[26:27]
	v_mov_b32_e32 v23, v5
	v_cndmask_b32_e64 v24, v6, v4, s[4:5]
	v_xor_b32_e32 v4, 0x80000000, v22
	v_cmp_ne_u32_e64 s[4:5], s28, v3
	v_cndmask_b32_e32 v27, v25, v27, vcc
	v_cndmask_b32_e32 v26, v17, v26, vcc
	v_cmp_gt_f64_e32 vcc, 0, v[21:22]
	v_mul_f64 v[23:24], v[23:24], v[26:27]
	v_mov_b32_e32 v25, v21
	v_cndmask_b32_e32 v26, v22, v4, vcc
	v_mul_f64 v[25:26], v[25:26], s[22:23]
	v_cmp_nge_f64_e32 vcc, v[23:24], v[25:26]
	s_and_b64 s[4:5], s[4:5], vcc
	s_and_saveexec_b64 s[24:25], s[4:5]
	s_xor_b64 s[4:5], exec, s[24:25]
	s_cbranch_execz .LBB169_19
; %bb.14:                               ;   in Loop: Header=BB169_5 Depth=1
	v_fma_f64 v[27:28], v[5:6], v[9:10], -v[21:22]
	v_add_u32_e32 v21, v39, v3
	v_ashrrev_i32_e32 v22, 31, v21
	v_lshlrev_b64 v[29:30], 3, v[21:22]
	v_mov_b32_e32 v23, s11
	v_add_co_u32_e32 v31, vcc, s10, v29
	v_addc_co_u32_e32 v32, vcc, v23, v30, vcc
	v_div_scale_f64 v[44:45], s[24:25], v[27:28], v[27:28], 1.0
	v_mov_b32_e32 v24, s13
	v_add_co_u32_e32 v33, vcc, s12, v29
	v_addc_co_u32_e32 v34, vcc, v24, v30, vcc
	global_load_dwordx2 v[23:24], v[31:32], off
	global_load_dwordx2 v[35:36], v[33:34], off
	v_ashrrev_i32_e32 v4, 31, v3
	v_lshlrev_b64 v[25:26], 3, v[3:4]
	v_mov_b32_e32 v37, s13
	v_add_co_u32_e32 v48, vcc, v1, v25
	v_addc_co_u32_e32 v49, vcc, v2, v26, vcc
	v_add_co_u32_e32 v50, vcc, s12, v11
	v_rcp_f64_e32 v[46:47], v[44:45]
	global_load_dwordx2 v[25:26], v[48:49], off
	v_addc_co_u32_e32 v51, vcc, v37, v12, vcc
	global_load_dwordx2 v[37:38], v[50:51], off
	v_mov_b32_e32 v4, s15
	v_lshlrev_b64 v[13:14], 2, v[13:14]
	v_fma_f64 v[52:53], -v[44:45], v[46:47], 1.0
	v_fma_f64 v[46:47], v[46:47], v[52:53], v[46:47]
	v_div_scale_f64 v[52:53], vcc, 1.0, v[27:28], 1.0
	v_fma_f64 v[54:55], -v[44:45], v[46:47], 1.0
	v_fma_f64 v[46:47], v[46:47], v[54:55], v[46:47]
	v_mul_f64 v[54:55], v[52:53], v[46:47]
	v_fma_f64 v[44:45], -v[44:45], v[54:55], v[52:53]
	v_div_fmas_f64 v[44:45], v[44:45], v[46:47], v[54:55]
	v_add_co_u32_e32 v11, vcc, s14, v11
	v_addc_co_u32_e32 v12, vcc, v4, v12, vcc
	s_waitcnt vmcnt(3)
	v_mul_f64 v[46:47], v[15:16], v[23:24]
	s_waitcnt vmcnt(2)
	v_mul_f64 v[52:53], v[15:16], v[35:36]
	v_mul_f64 v[15:16], v[17:18], -v[15:16]
	v_add_co_u32_e32 v13, vcc, s6, v13
	v_div_fixup_f64 v[27:28], v[44:45], v[27:28], 1.0
	s_waitcnt vmcnt(1)
	v_fma_f64 v[46:47], v[9:10], v[25:26], -v[46:47]
	s_waitcnt vmcnt(0)
	v_fma_f64 v[9:10], v[9:10], v[37:38], -v[52:53]
	v_mov_b32_e32 v52, s7
	v_addc_co_u32_e32 v14, vcc, v52, v14, vcc
	v_mul_f64 v[15:16], v[27:28], v[15:16]
	v_mul_f64 v[44:45], v[27:28], v[46:47]
	;; [unrolled: 1-line block ×3, first 2 shown]
	global_store_dwordx2 v[48:49], v[44:45], off
	global_store_dwordx2 v[50:51], v[9:10], off
	global_store_dwordx2 v[11:12], v[15:16], off
	global_store_dword v[13:14], v41, off
	s_and_saveexec_b64 s[24:25], s[0:1]
	s_cbranch_execz .LBB169_16
; %bb.15:                               ;   in Loop: Header=BB169_5 Depth=1
	v_mul_f64 v[9:10], v[7:8], v[25:26]
	v_mul_f64 v[11:12], v[7:8], v[37:38]
	;; [unrolled: 1-line block ×3, first 2 shown]
	v_mov_b32_e32 v4, s15
	v_lshlrev_b64 v[15:16], 2, v[21:22]
	v_add_co_u32_e32 v21, vcc, s14, v29
	v_addc_co_u32_e32 v22, vcc, v4, v30, vcc
	v_fma_f64 v[9:10], v[5:6], v[23:24], -v[9:10]
	v_fma_f64 v[11:12], v[5:6], v[35:36], -v[11:12]
	v_mul_f64 v[13:14], v[27:28], v[13:14]
	v_mov_b32_e32 v35, s7
	v_add_co_u32_e32 v15, vcc, s6, v15
	v_addc_co_u32_e32 v16, vcc, v35, v16, vcc
	v_mul_f64 v[9:10], v[27:28], v[9:10]
	v_mul_f64 v[11:12], v[27:28], v[11:12]
	global_store_dwordx2 v[21:22], v[13:14], off
	global_store_dwordx2 v[31:32], v[9:10], off
	;; [unrolled: 1-line block ×3, first 2 shown]
	global_store_dword v[15:16], v41, off
.LBB169_16:                             ;   in Loop: Header=BB169_5 Depth=1
	s_or_b64 exec, exec, s[24:25]
	v_mov_b32_e32 v9, 0
	v_mov_b32_e32 v10, 0
	s_and_saveexec_b64 s[24:25], s[2:3]
	s_cbranch_execz .LBB169_18
; %bb.17:                               ;   in Loop: Header=BB169_5 Depth=1
	v_add_u32_e32 v9, v40, v3
	v_ashrrev_i32_e32 v10, 31, v9
	v_lshlrev_b64 v[9:10], 3, v[9:10]
	v_mov_b32_e32 v4, s11
	v_add_co_u32_e32 v11, vcc, s10, v9
	v_addc_co_u32_e32 v12, vcc, v4, v10, vcc
	v_mov_b32_e32 v4, s19
	v_add_co_u32_e32 v9, vcc, s18, v9
	v_addc_co_u32_e32 v10, vcc, v4, v10, vcc
	global_load_dwordx2 v[13:14], v[11:12], off
	v_mul_f64 v[4:5], v[5:6], v[19:20]
	global_load_dwordx2 v[9:10], v[9:10], off
	v_mul_f64 v[6:7], v[19:20], v[7:8]
	v_mul_f64 v[15:16], v[27:28], v[4:5]
	;; [unrolled: 1-line block ×5, first 2 shown]
	v_fma_f64 v[6:7], v[6:7], v[25:26], -v[15:16]
	s_waitcnt vmcnt(1)
	v_add_f64 v[6:7], v[6:7], v[13:14]
	s_waitcnt vmcnt(0)
	v_fma_f64 v[9:10], -v[27:28], v[4:5], v[9:10]
	global_store_dwordx2 v[11:12], v[6:7], off
.LBB169_18:                             ;   in Loop: Header=BB169_5 Depth=1
	s_or_b64 exec, exec, s[24:25]
	v_mov_b32_e32 v5, v9
	v_mov_b32_e32 v6, v10
                                        ; implicit-def: $vgpr21_vgpr22
                                        ; implicit-def: $vgpr9_vgpr10
                                        ; implicit-def: $vgpr15_vgpr16
                                        ; implicit-def: $vgpr11_vgpr12
                                        ; implicit-def: $vgpr13_vgpr14
                                        ; implicit-def: $vgpr7_vgpr8
.LBB169_19:                             ;   in Loop: Header=BB169_5 Depth=1
	s_or_saveexec_b64 s[2:3], s[4:5]
	v_mov_b32_e32 v4, s30
	s_xor_b64 exec, exec, s[2:3]
	s_cbranch_execz .LBB169_4
; %bb.20:                               ;   in Loop: Header=BB169_5 Depth=1
	v_div_scale_f64 v[19:20], s[4:5], v[5:6], v[5:6], 1.0
	v_ashrrev_i32_e32 v4, 31, v3
	v_mov_b32_e32 v26, s13
	v_lshlrev_b64 v[17:18], 3, v[3:4]
	v_add_co_u32_e32 v25, vcc, s12, v11
	v_addc_co_u32_e32 v26, vcc, v26, v12, vcc
	v_add_co_u32_e32 v27, vcc, v1, v17
	v_addc_co_u32_e32 v28, vcc, v2, v18, vcc
	global_load_dwordx2 v[17:18], v[27:28], off
	global_load_dwordx2 v[29:30], v[25:26], off
	v_lshlrev_b64 v[13:14], 2, v[13:14]
	v_rcp_f64_e32 v[23:24], v[19:20]
	v_fma_f64 v[31:32], -v[19:20], v[23:24], 1.0
	v_fma_f64 v[23:24], v[23:24], v[31:32], v[23:24]
	v_div_scale_f64 v[31:32], vcc, 1.0, v[5:6], 1.0
	v_fma_f64 v[33:34], -v[19:20], v[23:24], 1.0
	v_fma_f64 v[23:24], v[23:24], v[33:34], v[23:24]
	v_mul_f64 v[33:34], v[31:32], v[23:24]
	v_fma_f64 v[19:20], -v[19:20], v[33:34], v[31:32]
	v_mov_b32_e32 v31, s7
	v_div_fmas_f64 v[19:20], v[19:20], v[23:24], v[33:34]
	v_add_co_u32_e32 v11, vcc, s14, v11
	v_div_fixup_f64 v[4:5], v[19:20], v[5:6], 1.0
	v_mov_b32_e32 v6, s15
	v_addc_co_u32_e32 v12, vcc, v6, v12, vcc
	v_add_co_u32_e32 v13, vcc, s6, v13
	v_addc_co_u32_e32 v14, vcc, v31, v14, vcc
	s_waitcnt vmcnt(1)
	v_mul_f64 v[19:20], v[4:5], v[17:18]
	s_waitcnt vmcnt(0)
	v_mul_f64 v[23:24], v[4:5], v[29:30]
	v_mul_f64 v[15:16], v[4:5], v[15:16]
	global_store_dwordx2 v[27:28], v[19:20], off
	global_store_dwordx2 v[25:26], v[23:24], off
	;; [unrolled: 1-line block ×3, first 2 shown]
	global_store_dword v[13:14], v42, off
	s_and_saveexec_b64 s[4:5], s[0:1]
	s_cbranch_execz .LBB169_3
; %bb.21:                               ;   in Loop: Header=BB169_5 Depth=1
	v_add_u32_e32 v11, v39, v3
	v_ashrrev_i32_e32 v12, 31, v11
	v_lshlrev_b64 v[11:12], 3, v[11:12]
	v_mov_b32_e32 v6, s11
	v_add_co_u32_e32 v11, vcc, s10, v11
	v_addc_co_u32_e32 v12, vcc, v6, v12, vcc
	global_load_dwordx2 v[13:14], v[11:12], off
	v_mul_f64 v[6:7], v[7:8], v[4:5]
	s_waitcnt vmcnt(0)
	v_fma_f64 v[6:7], -v[6:7], v[17:18], v[13:14]
	global_store_dwordx2 v[11:12], v[6:7], off
	s_branch .LBB169_3
.LBB169_22:
	s_or_b64 exec, exec, s[20:21]
.LBB169_23:
	v_subrev_u32_e32 v5, s26, v3
	v_add_u32_e32 v3, v5, v0
	v_ashrrev_i32_e32 v4, 31, v3
	v_lshlrev_b64 v[3:4], 2, v[3:4]
	s_waitcnt lgkmcnt(0)
	v_mov_b32_e32 v6, s7
	v_add_co_u32_e32 v3, vcc, s6, v3
	v_addc_co_u32_e32 v4, vcc, v6, v4, vcc
	s_waitcnt vmcnt(0)
	buffer_wbinvl1_vol
	global_load_dword v3, v[3:4], off
	s_waitcnt vmcnt(0)
	v_mul_lo_u32 v3, v3, s26
	v_sub_u32_e32 v3, v5, v3
	v_cmp_lt_i32_e32 vcc, -1, v3
	s_and_b64 exec, exec, vcc
	s_cbranch_execz .LBB169_30
; %bb.24:
	v_subrev_u32_e32 v9, s26, v0
	s_lshl_b32 s4, s26, 1
	s_mov_b64 s[0:1], 0
	v_mov_b32_e32 v10, s7
	v_mov_b32_e32 v11, s15
	s_branch .LBB169_26
.LBB169_25:                             ;   in Loop: Header=BB169_26 Depth=1
	s_or_b64 exec, exec, s[2:3]
	v_sub_u32_e32 v3, v3, v4
	v_cmp_gt_i32_e32 vcc, 0, v3
	s_or_b64 s[0:1], vcc, s[0:1]
	s_andn2_b64 exec, exec, s[0:1]
	s_cbranch_execz .LBB169_30
.LBB169_26:                             ; =>This Inner Loop Header: Depth=1
	v_add_u32_e32 v4, v3, v0
	s_waitcnt vmcnt(0)
	v_ashrrev_i32_e32 v5, 31, v4
	v_lshlrev_b64 v[6:7], 2, v[4:5]
	v_add_co_u32_e32 v6, vcc, s6, v6
	v_addc_co_u32_e32 v7, vcc, v10, v7, vcc
	global_load_dword v12, v[6:7], off
	v_lshlrev_b64 v[7:8], 3, v[4:5]
	v_add_co_u32_e32 v4, vcc, s14, v7
	v_addc_co_u32_e32 v5, vcc, v11, v8, vcc
	global_load_dwordx2 v[5:6], v[4:5], off
	s_waitcnt vmcnt(1)
	v_cmp_ne_u32_e32 vcc, 1, v12
	s_and_saveexec_b64 s[2:3], vcc
	s_xor_b64 s[2:3], exec, s[2:3]
	s_cbranch_execz .LBB169_28
; %bb.27:                               ;   in Loop: Header=BB169_26 Depth=1
	v_add_u32_e32 v12, v39, v3
	v_ashrrev_i32_e32 v13, 31, v12
	v_lshlrev_b64 v[12:13], 3, v[12:13]
	v_mov_b32_e32 v4, s11
	v_add_co_u32_e32 v14, vcc, s10, v12
	v_addc_co_u32_e32 v15, vcc, v4, v13, vcc
	v_ashrrev_i32_e32 v4, 31, v3
	v_lshlrev_b64 v[16:17], 3, v[3:4]
	v_mov_b32_e32 v4, s13
	v_add_co_u32_e32 v16, vcc, v1, v16
	v_addc_co_u32_e32 v17, vcc, v2, v17, vcc
	v_add_co_u32_e32 v12, vcc, s12, v12
	v_addc_co_u32_e32 v13, vcc, v4, v13, vcc
	global_load_dwordx2 v[18:19], v[14:15], off
	global_load_dwordx2 v[20:21], v[16:17], off
	v_add_co_u32_e32 v7, vcc, s12, v7
	v_addc_co_u32_e32 v8, vcc, v4, v8, vcc
	global_load_dwordx2 v[22:23], v[12:13], off
	global_load_dwordx2 v[24:25], v[7:8], off
	v_add_u32_e32 v26, v9, v3
	v_ashrrev_i32_e32 v27, 31, v26
	v_lshlrev_b64 v[26:27], 3, v[26:27]
	v_mov_b32_e32 v4, s15
	v_add_co_u32_e32 v28, vcc, s14, v26
	v_addc_co_u32_e32 v29, vcc, v4, v27, vcc
	v_mov_b32_e32 v30, s11
	v_mov_b32_e32 v31, s13
	s_waitcnt vmcnt(2)
	v_fma_f64 v[18:19], -v[5:6], v[18:19], v[20:21]
	v_add_co_u32_e32 v20, vcc, s10, v26
	v_addc_co_u32_e32 v21, vcc, v30, v27, vcc
	s_waitcnt vmcnt(0)
	v_fma_f64 v[4:5], -v[5:6], v[22:23], v[24:25]
	v_add_co_u32_e32 v22, vcc, s12, v26
	global_load_dwordx2 v[24:25], v[28:29], off
	s_nop 0
	global_store_dwordx2 v[16:17], v[18:19], off
	global_store_dwordx2 v[7:8], v[4:5], off
	v_addc_co_u32_e32 v23, vcc, v31, v27, vcc
	global_load_dwordx2 v[4:5], v[14:15], off
	global_load_dwordx2 v[6:7], v[20:21], off
	;; [unrolled: 1-line block ×4, first 2 shown]
	s_waitcnt vmcnt(2)
	v_fma_f64 v[4:5], -v[24:25], v[4:5], v[6:7]
	s_waitcnt vmcnt(0)
	v_fma_f64 v[6:7], -v[24:25], v[16:17], v[18:19]
	global_store_dwordx2 v[20:21], v[4:5], off
	global_store_dwordx2 v[22:23], v[6:7], off
                                        ; implicit-def: $vgpr5_vgpr6
                                        ; implicit-def: $vgpr7_vgpr8
.LBB169_28:                             ;   in Loop: Header=BB169_26 Depth=1
	s_or_saveexec_b64 s[2:3], s[2:3]
	v_mov_b32_e32 v4, s4
	s_xor_b64 exec, exec, s[2:3]
	s_cbranch_execz .LBB169_25
; %bb.29:                               ;   in Loop: Header=BB169_26 Depth=1
	v_add_u32_e32 v12, v39, v3
	v_ashrrev_i32_e32 v13, 31, v12
	v_lshlrev_b64 v[12:13], 3, v[12:13]
	v_mov_b32_e32 v4, s11
	v_add_co_u32_e32 v14, vcc, s10, v12
	v_addc_co_u32_e32 v15, vcc, v4, v13, vcc
	v_ashrrev_i32_e32 v4, 31, v3
	v_lshlrev_b64 v[16:17], 3, v[3:4]
	v_mov_b32_e32 v4, s13
	v_add_co_u32_e32 v16, vcc, v1, v16
	v_addc_co_u32_e32 v17, vcc, v2, v17, vcc
	v_add_co_u32_e32 v12, vcc, s12, v12
	v_addc_co_u32_e32 v13, vcc, v4, v13, vcc
	global_load_dwordx2 v[18:19], v[14:15], off
	global_load_dwordx2 v[20:21], v[16:17], off
	v_add_co_u32_e32 v7, vcc, s12, v7
	v_addc_co_u32_e32 v8, vcc, v4, v8, vcc
	global_load_dwordx2 v[14:15], v[12:13], off
	global_load_dwordx2 v[22:23], v[7:8], off
	s_waitcnt vmcnt(2)
	v_fma_f64 v[12:13], -v[5:6], v[18:19], v[20:21]
	s_waitcnt vmcnt(0)
	v_fma_f64 v[4:5], -v[5:6], v[14:15], v[22:23]
	global_store_dwordx2 v[16:17], v[12:13], off
	global_store_dwordx2 v[7:8], v[4:5], off
	v_mov_b32_e32 v4, s26
	s_branch .LBB169_25
.LBB169_30:
	s_endpgm
	.section	.rodata,"a",@progbits
	.p2align	6, 0x0
	.amdhsa_kernel _ZN9rocsparseL18gtsv_LBM_wv_kernelILj256ELj256EdEEviiiPKT1_S3_S3_PS1_S4_S4_Pi
		.amdhsa_group_segment_fixed_size 0
		.amdhsa_private_segment_fixed_size 0
		.amdhsa_kernarg_size 72
		.amdhsa_user_sgpr_count 6
		.amdhsa_user_sgpr_private_segment_buffer 1
		.amdhsa_user_sgpr_dispatch_ptr 0
		.amdhsa_user_sgpr_queue_ptr 0
		.amdhsa_user_sgpr_kernarg_segment_ptr 1
		.amdhsa_user_sgpr_dispatch_id 0
		.amdhsa_user_sgpr_flat_scratch_init 0
		.amdhsa_user_sgpr_private_segment_size 0
		.amdhsa_uses_dynamic_stack 0
		.amdhsa_system_sgpr_private_segment_wavefront_offset 0
		.amdhsa_system_sgpr_workgroup_id_x 1
		.amdhsa_system_sgpr_workgroup_id_y 0
		.amdhsa_system_sgpr_workgroup_id_z 0
		.amdhsa_system_sgpr_workgroup_info 0
		.amdhsa_system_vgpr_workitem_id 0
		.amdhsa_next_free_vgpr 56
		.amdhsa_next_free_sgpr 31
		.amdhsa_reserve_vcc 1
		.amdhsa_reserve_flat_scratch 0
		.amdhsa_float_round_mode_32 0
		.amdhsa_float_round_mode_16_64 0
		.amdhsa_float_denorm_mode_32 3
		.amdhsa_float_denorm_mode_16_64 3
		.amdhsa_dx10_clamp 1
		.amdhsa_ieee_mode 1
		.amdhsa_fp16_overflow 0
		.amdhsa_exception_fp_ieee_invalid_op 0
		.amdhsa_exception_fp_denorm_src 0
		.amdhsa_exception_fp_ieee_div_zero 0
		.amdhsa_exception_fp_ieee_overflow 0
		.amdhsa_exception_fp_ieee_underflow 0
		.amdhsa_exception_fp_ieee_inexact 0
		.amdhsa_exception_int_div_zero 0
	.end_amdhsa_kernel
	.section	.text._ZN9rocsparseL18gtsv_LBM_wv_kernelILj256ELj256EdEEviiiPKT1_S3_S3_PS1_S4_S4_Pi,"axG",@progbits,_ZN9rocsparseL18gtsv_LBM_wv_kernelILj256ELj256EdEEviiiPKT1_S3_S3_PS1_S4_S4_Pi,comdat
.Lfunc_end169:
	.size	_ZN9rocsparseL18gtsv_LBM_wv_kernelILj256ELj256EdEEviiiPKT1_S3_S3_PS1_S4_S4_Pi, .Lfunc_end169-_ZN9rocsparseL18gtsv_LBM_wv_kernelILj256ELj256EdEEviiiPKT1_S3_S3_PS1_S4_S4_Pi
                                        ; -- End function
	.set _ZN9rocsparseL18gtsv_LBM_wv_kernelILj256ELj256EdEEviiiPKT1_S3_S3_PS1_S4_S4_Pi.num_vgpr, 56
	.set _ZN9rocsparseL18gtsv_LBM_wv_kernelILj256ELj256EdEEviiiPKT1_S3_S3_PS1_S4_S4_Pi.num_agpr, 0
	.set _ZN9rocsparseL18gtsv_LBM_wv_kernelILj256ELj256EdEEviiiPKT1_S3_S3_PS1_S4_S4_Pi.numbered_sgpr, 31
	.set _ZN9rocsparseL18gtsv_LBM_wv_kernelILj256ELj256EdEEviiiPKT1_S3_S3_PS1_S4_S4_Pi.num_named_barrier, 0
	.set _ZN9rocsparseL18gtsv_LBM_wv_kernelILj256ELj256EdEEviiiPKT1_S3_S3_PS1_S4_S4_Pi.private_seg_size, 0
	.set _ZN9rocsparseL18gtsv_LBM_wv_kernelILj256ELj256EdEEviiiPKT1_S3_S3_PS1_S4_S4_Pi.uses_vcc, 1
	.set _ZN9rocsparseL18gtsv_LBM_wv_kernelILj256ELj256EdEEviiiPKT1_S3_S3_PS1_S4_S4_Pi.uses_flat_scratch, 0
	.set _ZN9rocsparseL18gtsv_LBM_wv_kernelILj256ELj256EdEEviiiPKT1_S3_S3_PS1_S4_S4_Pi.has_dyn_sized_stack, 0
	.set _ZN9rocsparseL18gtsv_LBM_wv_kernelILj256ELj256EdEEviiiPKT1_S3_S3_PS1_S4_S4_Pi.has_recursion, 0
	.set _ZN9rocsparseL18gtsv_LBM_wv_kernelILj256ELj256EdEEviiiPKT1_S3_S3_PS1_S4_S4_Pi.has_indirect_call, 0
	.section	.AMDGPU.csdata,"",@progbits
; Kernel info:
; codeLenInByte = 2492
; TotalNumSgprs: 35
; NumVgprs: 56
; ScratchSize: 0
; MemoryBound: 1
; FloatMode: 240
; IeeeMode: 1
; LDSByteSize: 0 bytes/workgroup (compile time only)
; SGPRBlocks: 4
; VGPRBlocks: 13
; NumSGPRsForWavesPerEU: 35
; NumVGPRsForWavesPerEU: 56
; Occupancy: 4
; WaveLimiterHint : 0
; COMPUTE_PGM_RSRC2:SCRATCH_EN: 0
; COMPUTE_PGM_RSRC2:USER_SGPR: 6
; COMPUTE_PGM_RSRC2:TRAP_HANDLER: 0
; COMPUTE_PGM_RSRC2:TGID_X_EN: 1
; COMPUTE_PGM_RSRC2:TGID_Y_EN: 0
; COMPUTE_PGM_RSRC2:TGID_Z_EN: 0
; COMPUTE_PGM_RSRC2:TIDIG_COMP_CNT: 0
	.section	.text._ZN9rocsparseL19gtsv_LBM_rhs_kernelILj256ELj256ELj8EdEEviiiPKT2_S3_S3_PS1_S3_PKi,"axG",@progbits,_ZN9rocsparseL19gtsv_LBM_rhs_kernelILj256ELj256ELj8EdEEviiiPKT2_S3_S3_PS1_S3_PKi,comdat
	.globl	_ZN9rocsparseL19gtsv_LBM_rhs_kernelILj256ELj256ELj8EdEEviiiPKT2_S3_S3_PS1_S3_PKi ; -- Begin function _ZN9rocsparseL19gtsv_LBM_rhs_kernelILj256ELj256ELj8EdEEviiiPKT2_S3_S3_PS1_S3_PKi
	.p2align	8
	.type	_ZN9rocsparseL19gtsv_LBM_rhs_kernelILj256ELj256ELj8EdEEviiiPKT2_S3_S3_PS1_S3_PKi,@function
_ZN9rocsparseL19gtsv_LBM_rhs_kernelILj256ELj256ELj8EdEEviiiPKT2_S3_S3_PS1_S3_PKi: ; @_ZN9rocsparseL19gtsv_LBM_rhs_kernelILj256ELj256ELj8EdEEviiiPKT2_S3_S3_PS1_S3_PKi
; %bb.0:
	s_load_dword s23, s[4:5], 0x0
	v_lshl_or_b32 v0, s6, 8, v0
	s_waitcnt lgkmcnt(0)
	s_lshr_b32 s22, s23, 8
	v_cmp_gt_i32_e32 vcc, s22, v0
	s_and_saveexec_b64 s[0:1], vcc
	s_cbranch_execz .LBB170_29
; %bb.1:
	s_load_dwordx4 s[8:11], s[4:5], 0x28
	s_load_dwordx2 s[16:17], s[4:5], 0x38
	s_cmp_lt_i32 s23, 1
	v_add_u32_e32 v71, s22, v0
	s_mul_i32 s24, s7, s23
	s_cbranch_scc1 .LBB170_21
; %bb.2:
	s_load_dwordx4 s[12:15], s[4:5], 0x10
	s_load_dwordx2 s[6:7], s[4:5], 0x20
	v_ashrrev_i32_e32 v1, 31, v0
	v_lshlrev_b64 v[1:2], 3, v[0:1]
	s_lshl_b32 s28, s24, 3
	s_waitcnt lgkmcnt(0)
	v_mov_b32_e32 v3, s15
	v_add_co_u32_e32 v1, vcc, s14, v1
	v_addc_co_u32_e32 v2, vcc, v3, v2, vcc
	global_load_dwordx2 v[7:8], v[1:2], off
	s_add_i32 s29, s28, s23
	s_add_i32 s30, s29, s23
	;; [unrolled: 1-line block ×6, first 2 shown]
	s_mul_i32 s25, s22, 0xff
	s_mul_i32 s26, s22, 0xfe
	s_lshl_b32 s27, s22, 1
	v_add_u32_e32 v72, s22, v71
	s_add_i32 s36, s35, s23
	v_mov_b32_e32 v2, 0
	s_mov_b64 s[18:19], 0
	v_mov_b32_e32 v74, s7
	v_mov_b32_e32 v73, 0
	s_branch .LBB170_5
.LBB170_3:                              ;   in Loop: Header=BB170_5 Depth=1
	s_or_b64 exec, exec, s[4:5]
	v_fma_f64 v[7:8], -v[7:8], v[47:48], v[5:6]
	v_mov_b32_e32 v1, s22
.LBB170_4:                              ;   in Loop: Header=BB170_5 Depth=1
	s_or_b64 exec, exec, s[2:3]
	v_add_u32_e32 v73, v1, v73
	v_cmp_le_i32_e32 vcc, s23, v73
	s_or_b64 s[18:19], vcc, s[18:19]
	s_andn2_b64 exec, exec, s[18:19]
	s_cbranch_execz .LBB170_20
.LBB170_5:                              ; =>This Inner Loop Header: Depth=1
	v_add_u32_e32 v29, v73, v0
	v_ashrrev_i32_e32 v30, 31, v29
	v_lshlrev_b64 v[3:4], 3, v[29:30]
	v_mov_b32_e32 v5, 0
	v_add_co_u32_e32 v3, vcc, s6, v3
	v_addc_co_u32_e32 v4, vcc, v74, v4, vcc
	global_load_dwordx2 v[13:14], v[3:4], off
	v_mov_b32_e32 v3, 0
	v_mov_b32_e32 v6, 0
	;; [unrolled: 1-line block ×3, first 2 shown]
	v_cmp_gt_u32_e64 s[0:1], s25, v73
	s_and_saveexec_b64 s[2:3], s[0:1]
	s_cbranch_execz .LBB170_7
; %bb.6:                                ;   in Loop: Header=BB170_5 Depth=1
	v_add_u32_e32 v3, v71, v73
	v_ashrrev_i32_e32 v4, 31, v3
	v_lshlrev_b64 v[3:4], 3, v[3:4]
	v_mov_b32_e32 v1, s13
	v_add_co_u32_e32 v3, vcc, s12, v3
	v_addc_co_u32_e32 v4, vcc, v1, v4, vcc
	global_load_dwordx2 v[3:4], v[3:4], off
.LBB170_7:                              ;   in Loop: Header=BB170_5 Depth=1
	s_or_b64 exec, exec, s[2:3]
	s_and_saveexec_b64 s[2:3], s[0:1]
	s_cbranch_execz .LBB170_9
; %bb.8:                                ;   in Loop: Header=BB170_5 Depth=1
	v_add_u32_e32 v5, v71, v73
	v_ashrrev_i32_e32 v6, 31, v5
	v_lshlrev_b64 v[5:6], 3, v[5:6]
	v_mov_b32_e32 v1, s15
	v_add_co_u32_e32 v5, vcc, s14, v5
	v_addc_co_u32_e32 v6, vcc, v1, v6, vcc
	global_load_dwordx2 v[5:6], v[5:6], off
.LBB170_9:                              ;   in Loop: Header=BB170_5 Depth=1
	s_or_b64 exec, exec, s[2:3]
	v_mov_b32_e32 v11, 0
	v_mov_b32_e32 v9, 0
	;; [unrolled: 1-line block ×4, first 2 shown]
	s_and_saveexec_b64 s[2:3], s[0:1]
	s_cbranch_execz .LBB170_11
; %bb.10:                               ;   in Loop: Header=BB170_5 Depth=1
	v_add_u32_e32 v9, v71, v73
	v_ashrrev_i32_e32 v10, 31, v9
	v_lshlrev_b64 v[9:10], 3, v[9:10]
	v_mov_b32_e32 v1, s7
	v_add_co_u32_e32 v9, vcc, s6, v9
	v_addc_co_u32_e32 v10, vcc, v1, v10, vcc
	global_load_dwordx2 v[9:10], v[9:10], off
.LBB170_11:                             ;   in Loop: Header=BB170_5 Depth=1
	s_or_b64 exec, exec, s[2:3]
	v_cmp_gt_u32_e64 s[2:3], s26, v73
	s_and_saveexec_b64 s[4:5], s[2:3]
	s_cbranch_execz .LBB170_13
; %bb.12:                               ;   in Loop: Header=BB170_5 Depth=1
	v_add_u32_e32 v11, v72, v73
	v_ashrrev_i32_e32 v12, 31, v11
	v_lshlrev_b64 v[11:12], 3, v[11:12]
	v_mov_b32_e32 v1, s13
	v_add_co_u32_e32 v11, vcc, s12, v11
	v_addc_co_u32_e32 v12, vcc, v1, v12, vcc
	global_load_dwordx2 v[11:12], v[11:12], off
.LBB170_13:                             ;   in Loop: Header=BB170_5 Depth=1
	s_or_b64 exec, exec, s[4:5]
	v_lshlrev_b64 v[15:16], 2, v[29:30]
	v_mov_b32_e32 v1, s17
	v_add_co_u32_e32 v15, vcc, s16, v15
	v_addc_co_u32_e32 v16, vcc, v1, v16, vcc
	v_add_u32_e32 v1, s28, v29
	global_load_dword v49, v[15:16], off
	v_lshlrev_b64 v[15:16], 3, v[1:2]
	v_add_u32_e32 v1, s29, v29
	s_waitcnt vmcnt(4)
	v_mov_b32_e32 v39, s9
	v_add_co_u32_e32 v15, vcc, s8, v15
	v_lshlrev_b64 v[17:18], 3, v[1:2]
	v_addc_co_u32_e32 v16, vcc, v39, v16, vcc
	v_add_u32_e32 v1, s30, v29
	v_add_co_u32_e32 v17, vcc, s8, v17
	v_lshlrev_b64 v[19:20], 3, v[1:2]
	v_addc_co_u32_e32 v18, vcc, v39, v18, vcc
	v_add_u32_e32 v1, s31, v29
	v_add_co_u32_e32 v19, vcc, s8, v19
	v_lshlrev_b64 v[21:22], 3, v[1:2]
	v_addc_co_u32_e32 v20, vcc, v39, v20, vcc
	v_add_u32_e32 v1, s33, v29
	v_add_co_u32_e32 v21, vcc, s8, v21
	v_lshlrev_b64 v[23:24], 3, v[1:2]
	v_addc_co_u32_e32 v22, vcc, v39, v22, vcc
	v_add_u32_e32 v1, s34, v29
	v_add_co_u32_e32 v23, vcc, s8, v23
	v_lshlrev_b64 v[25:26], 3, v[1:2]
	v_addc_co_u32_e32 v24, vcc, v39, v24, vcc
	v_add_u32_e32 v1, s35, v29
	v_add_co_u32_e32 v25, vcc, s8, v25
	v_lshlrev_b64 v[27:28], 3, v[1:2]
	v_addc_co_u32_e32 v26, vcc, v39, v26, vcc
	v_add_u32_e32 v1, s36, v29
	v_add_co_u32_e32 v27, vcc, s8, v27
	v_lshlrev_b64 v[29:30], 3, v[1:2]
	v_addc_co_u32_e32 v28, vcc, v39, v28, vcc
	v_add_co_u32_e32 v29, vcc, s8, v29
	global_load_dwordx2 v[31:32], v[15:16], off
	global_load_dwordx2 v[33:34], v[17:18], off
	;; [unrolled: 1-line block ×4, first 2 shown]
	v_addc_co_u32_e32 v30, vcc, v39, v30, vcc
	global_load_dwordx2 v[43:44], v[23:24], off
	global_load_dwordx2 v[39:40], v[25:26], off
	;; [unrolled: 1-line block ×4, first 2 shown]
	s_waitcnt vmcnt(9)
	v_mul_f64 v[47:48], v[13:14], v[3:4]
	v_cmp_ne_u32_e64 s[4:5], s25, v73
	s_waitcnt vmcnt(8)
	v_cmp_ne_u32_e32 vcc, 1, v49
	s_and_b64 s[4:5], s[4:5], vcc
	s_and_saveexec_b64 s[20:21], s[4:5]
	s_xor_b64 s[4:5], exec, s[20:21]
	s_cbranch_execz .LBB170_17
; %bb.14:                               ;   in Loop: Header=BB170_5 Depth=1
	v_fma_f64 v[47:48], v[7:8], v[5:6], -v[47:48]
	v_add_u32_e32 v59, v71, v73
	v_add_u32_e32 v1, s28, v59
	v_lshlrev_b64 v[51:52], 3, v[1:2]
	v_add_u32_e32 v1, s29, v59
	v_mov_b32_e32 v65, s9
	v_lshlrev_b64 v[53:54], 3, v[1:2]
	v_add_co_u32_e32 v75, vcc, s8, v51
	v_div_scale_f64 v[49:50], s[20:21], v[47:48], v[47:48], 1.0
	v_add_u32_e32 v1, s30, v59
	v_addc_co_u32_e32 v76, vcc, v65, v52, vcc
	v_lshlrev_b64 v[51:52], 3, v[1:2]
	v_add_co_u32_e32 v77, vcc, s8, v53
	v_add_u32_e32 v1, s31, v59
	v_addc_co_u32_e32 v78, vcc, v65, v54, vcc
	v_lshlrev_b64 v[53:54], 3, v[1:2]
	v_add_co_u32_e32 v79, vcc, s8, v51
	v_add_u32_e32 v1, s33, v59
	v_addc_co_u32_e32 v80, vcc, v65, v52, vcc
	v_rcp_f64_e32 v[55:56], v[49:50]
	v_lshlrev_b64 v[51:52], 3, v[1:2]
	v_add_co_u32_e32 v81, vcc, s8, v53
	v_add_u32_e32 v1, s34, v59
	v_addc_co_u32_e32 v82, vcc, v65, v54, vcc
	v_lshlrev_b64 v[57:58], 3, v[1:2]
	v_add_co_u32_e32 v83, vcc, s8, v51
	v_add_u32_e32 v1, s35, v59
	v_addc_co_u32_e32 v84, vcc, v65, v52, vcc
	v_lshlrev_b64 v[53:54], 3, v[1:2]
	v_add_co_u32_e32 v89, vcc, s8, v57
	v_add_u32_e32 v1, s36, v59
	global_load_dwordx2 v[61:62], v[75:76], off
	global_load_dwordx2 v[63:64], v[77:78], off
	;; [unrolled: 1-line block ×4, first 2 shown]
	v_addc_co_u32_e32 v90, vcc, v65, v58, vcc
	v_lshlrev_b64 v[51:52], 3, v[1:2]
	v_add_co_u32_e32 v91, vcc, s8, v53
	global_load_dwordx2 v[93:94], v[83:84], off
	v_addc_co_u32_e32 v92, vcc, v65, v54, vcc
	v_add_co_u32_e32 v95, vcc, s8, v51
	v_addc_co_u32_e32 v96, vcc, v65, v52, vcc
	global_load_dwordx2 v[97:98], v[89:90], off
	global_load_dwordx2 v[99:100], v[91:92], off
	;; [unrolled: 1-line block ×3, first 2 shown]
	v_fma_f64 v[59:60], -v[49:50], v[55:56], 1.0
	v_div_scale_f64 v[53:54], vcc, 1.0, v[47:48], 1.0
	v_mov_b32_e32 v69, 0
	v_mov_b32_e32 v70, 0
	v_fma_f64 v[51:52], v[55:56], v[59:60], v[55:56]
	v_fma_f64 v[55:56], -v[49:50], v[51:52], 1.0
	v_fma_f64 v[51:52], v[51:52], v[55:56], v[51:52]
	v_mul_f64 v[55:56], v[53:54], v[51:52]
	v_fma_f64 v[49:50], -v[49:50], v[55:56], v[53:54]
	v_div_fmas_f64 v[49:50], v[49:50], v[51:52], v[55:56]
	v_div_fixup_f64 v[47:48], v[49:50], v[47:48], 1.0
	s_waitcnt vmcnt(7)
	v_mul_f64 v[67:68], v[47:48], v[61:62]
	s_waitcnt vmcnt(6)
	v_mul_f64 v[61:62], v[47:48], v[63:64]
	;; [unrolled: 2-line block ×5, first 2 shown]
	v_mul_f64 v[51:52], v[47:48], v[43:44]
	s_waitcnt vmcnt(2)
	v_mul_f64 v[43:44], v[47:48], v[97:98]
	v_mul_f64 v[57:58], v[47:48], v[35:36]
	s_waitcnt vmcnt(1)
	v_mul_f64 v[35:36], v[47:48], v[99:100]
	;; [unrolled: 3-line block ×3, first 2 shown]
	v_mul_f64 v[59:60], v[47:48], v[33:34]
	v_mul_f64 v[49:50], v[47:48], v[37:38]
	;; [unrolled: 1-line block ×21, first 2 shown]
	v_fma_f64 v[41:42], v[5:6], v[65:66], -v[41:42]
	v_fma_f64 v[45:46], v[5:6], v[59:60], -v[45:46]
	v_fma_f64 v[85:86], v[5:6], v[57:58], -v[85:86]
	v_fma_f64 v[87:88], v[5:6], v[49:50], -v[87:88]
	v_fma_f64 v[93:94], v[5:6], v[51:52], -v[93:94]
	v_fma_f64 v[97:98], v[5:6], v[39:40], -v[97:98]
	v_fma_f64 v[99:100], v[5:6], v[37:38], -v[99:100]
	v_fma_f64 v[5:6], v[5:6], v[33:34], -v[13:14]
	v_fma_f64 v[13:14], v[7:8], v[67:68], -v[101:102]
	v_fma_f64 v[101:102], v[7:8], v[61:62], -v[103:104]
	v_fma_f64 v[103:104], v[7:8], v[63:64], -v[105:106]
	v_fma_f64 v[105:106], v[7:8], v[53:54], -v[107:108]
	v_fma_f64 v[107:108], v[7:8], v[55:56], -v[109:110]
	v_fma_f64 v[109:110], v[7:8], v[43:44], -v[111:112]
	v_fma_f64 v[111:112], v[7:8], v[35:36], -v[113:114]
	v_fma_f64 v[113:114], v[7:8], v[31:32], -v[115:116]
	global_store_dwordx2 v[15:16], v[41:42], off
	global_store_dwordx2 v[17:18], v[45:46], off
	;; [unrolled: 1-line block ×16, first 2 shown]
	s_and_saveexec_b64 s[20:21], s[2:3]
	s_cbranch_execz .LBB170_16
; %bb.15:                               ;   in Loop: Header=BB170_5 Depth=1
	v_add_u32_e32 v5, v72, v73
	v_add_u32_e32 v1, s28, v5
	v_lshlrev_b64 v[13:14], 3, v[1:2]
	v_mov_b32_e32 v23, s9
	v_add_co_u32_e32 v13, vcc, s8, v13
	v_addc_co_u32_e32 v14, vcc, v23, v14, vcc
	global_load_dwordx2 v[15:16], v[13:14], off
	v_mul_f64 v[7:8], v[7:8], v[11:12]
	v_mul_f64 v[3:4], v[3:4], v[11:12]
	v_add_u32_e32 v1, s29, v5
	v_lshlrev_b64 v[17:18], 3, v[1:2]
	v_add_u32_e32 v1, s30, v5
	v_add_co_u32_e32 v17, vcc, s8, v17
	v_addc_co_u32_e32 v18, vcc, v23, v18, vcc
	v_mul_f64 v[11:12], v[7:8], v[67:68]
	global_load_dwordx2 v[19:20], v[17:18], off
	v_mul_f64 v[21:22], v[7:8], v[63:64]
	v_ashrrev_i32_e32 v6, 31, v5
	v_fma_f64 v[11:12], v[3:4], v[65:66], -v[11:12]
	s_waitcnt vmcnt(1)
	v_add_f64 v[11:12], v[11:12], v[15:16]
	v_lshlrev_b64 v[15:16], 3, v[1:2]
	v_add_u32_e32 v1, s31, v5
	v_add_co_u32_e32 v15, vcc, s8, v15
	v_addc_co_u32_e32 v16, vcc, v23, v16, vcc
	global_store_dwordx2 v[13:14], v[11:12], off
	global_load_dwordx2 v[11:12], v[15:16], off
	v_mul_f64 v[13:14], v[7:8], v[61:62]
	v_fma_f64 v[13:14], v[3:4], v[59:60], -v[13:14]
	s_waitcnt vmcnt(2)
	v_add_f64 v[13:14], v[13:14], v[19:20]
	v_fma_f64 v[19:20], v[3:4], v[57:58], -v[21:22]
	v_lshlrev_b64 v[21:22], 3, v[1:2]
	v_add_u32_e32 v1, s33, v5
	v_add_co_u32_e32 v21, vcc, s8, v21
	v_addc_co_u32_e32 v22, vcc, v23, v22, vcc
	global_store_dwordx2 v[17:18], v[13:14], off
	global_load_dwordx2 v[13:14], v[21:22], off
	v_lshlrev_b64 v[17:18], 3, v[1:2]
	v_add_u32_e32 v1, s34, v5
	v_add_co_u32_e32 v17, vcc, s8, v17
	v_addc_co_u32_e32 v18, vcc, v23, v18, vcc
	s_waitcnt vmcnt(2)
	v_add_f64 v[11:12], v[19:20], v[11:12]
	v_mul_f64 v[19:20], v[7:8], v[55:56]
	global_store_dwordx2 v[15:16], v[11:12], off
	global_load_dwordx2 v[11:12], v[17:18], off
	v_mul_f64 v[15:16], v[7:8], v[53:54]
	v_fma_f64 v[19:20], v[3:4], v[51:52], -v[19:20]
	v_fma_f64 v[15:16], v[3:4], v[49:50], -v[15:16]
	s_waitcnt vmcnt(2)
	v_add_f64 v[13:14], v[15:16], v[13:14]
	v_lshlrev_b64 v[15:16], 3, v[1:2]
	v_add_u32_e32 v1, s35, v5
	v_add_co_u32_e32 v15, vcc, s8, v15
	v_addc_co_u32_e32 v16, vcc, v23, v16, vcc
	s_waitcnt vmcnt(0)
	v_add_f64 v[11:12], v[19:20], v[11:12]
	global_store_dwordx2 v[21:22], v[13:14], off
	global_store_dwordx2 v[17:18], v[11:12], off
	global_load_dwordx2 v[11:12], v[15:16], off
	v_mul_f64 v[13:14], v[7:8], v[43:44]
	v_mov_b32_e32 v17, s15
	v_fma_f64 v[13:14], v[3:4], v[39:40], -v[13:14]
	s_waitcnt vmcnt(0)
	v_add_f64 v[11:12], v[13:14], v[11:12]
	v_lshlrev_b64 v[13:14], 3, v[1:2]
	v_add_u32_e32 v1, s36, v5
	v_add_co_u32_e32 v13, vcc, s8, v13
	v_addc_co_u32_e32 v14, vcc, v23, v14, vcc
	global_store_dwordx2 v[15:16], v[11:12], off
	global_load_dwordx2 v[11:12], v[13:14], off
	v_mul_f64 v[15:16], v[7:8], v[35:36]
	v_fma_f64 v[15:16], v[3:4], v[37:38], -v[15:16]
	s_waitcnt vmcnt(0)
	v_add_f64 v[11:12], v[15:16], v[11:12]
	v_lshlrev_b64 v[15:16], 3, v[5:6]
	v_lshlrev_b64 v[5:6], 3, v[1:2]
	v_add_co_u32_e32 v5, vcc, s8, v5
	v_addc_co_u32_e32 v6, vcc, v23, v6, vcc
	global_store_dwordx2 v[13:14], v[11:12], off
	v_add_co_u32_e32 v13, vcc, s14, v15
	v_addc_co_u32_e32 v14, vcc, v17, v16, vcc
	global_load_dwordx2 v[11:12], v[5:6], off
	v_mul_f64 v[15:16], v[7:8], v[31:32]
	global_load_dwordx2 v[13:14], v[13:14], off
	v_mul_f64 v[7:8], v[9:10], v[7:8]
	v_fma_f64 v[3:4], v[3:4], v[33:34], -v[15:16]
	s_waitcnt vmcnt(1)
	v_add_f64 v[3:4], v[3:4], v[11:12]
	s_waitcnt vmcnt(0)
	v_fma_f64 v[69:70], -v[47:48], v[7:8], v[13:14]
	global_store_dwordx2 v[5:6], v[3:4], off
.LBB170_16:                             ;   in Loop: Header=BB170_5 Depth=1
	s_or_b64 exec, exec, s[20:21]
	v_mov_b32_e32 v7, v69
	v_mov_b32_e32 v8, v70
                                        ; implicit-def: $vgpr3_vgpr4
                                        ; implicit-def: $vgpr5_vgpr6
                                        ; implicit-def: $vgpr47_vgpr48
                                        ; implicit-def: $vgpr15_vgpr16
                                        ; implicit-def: $vgpr31_vgpr32
                                        ; implicit-def: $vgpr17_vgpr18
                                        ; implicit-def: $vgpr33_vgpr34
                                        ; implicit-def: $vgpr19_vgpr20
                                        ; implicit-def: $vgpr35_vgpr36
                                        ; implicit-def: $vgpr21_vgpr22
                                        ; implicit-def: $vgpr37_vgpr38
                                        ; implicit-def: $vgpr23_vgpr24
                                        ; implicit-def: $vgpr43_vgpr44
                                        ; implicit-def: $vgpr25_vgpr26
                                        ; implicit-def: $vgpr39_vgpr40
                                        ; implicit-def: $vgpr27_vgpr28
                                        ; implicit-def: $vgpr41_vgpr42
                                        ; implicit-def: $vgpr29_vgpr30
                                        ; implicit-def: $vgpr45_vgpr46
.LBB170_17:                             ;   in Loop: Header=BB170_5 Depth=1
	s_or_saveexec_b64 s[2:3], s[4:5]
	v_mov_b32_e32 v1, s27
	s_xor_b64 exec, exec, s[2:3]
	s_cbranch_execz .LBB170_4
; %bb.18:                               ;   in Loop: Header=BB170_5 Depth=1
	v_div_scale_f64 v[9:10], s[4:5], v[7:8], v[7:8], 1.0
	v_rcp_f64_e32 v[11:12], v[9:10]
	v_fma_f64 v[13:14], -v[9:10], v[11:12], 1.0
	v_fma_f64 v[11:12], v[11:12], v[13:14], v[11:12]
	v_div_scale_f64 v[13:14], vcc, 1.0, v[7:8], 1.0
	v_fma_f64 v[49:50], -v[9:10], v[11:12], 1.0
	v_fma_f64 v[11:12], v[11:12], v[49:50], v[11:12]
	v_mul_f64 v[49:50], v[13:14], v[11:12]
	v_fma_f64 v[9:10], -v[9:10], v[49:50], v[13:14]
	v_div_fmas_f64 v[9:10], v[9:10], v[11:12], v[49:50]
	v_div_fixup_f64 v[7:8], v[9:10], v[7:8], 1.0
	s_waitcnt vmcnt(7)
	v_mul_f64 v[51:52], v[7:8], v[31:32]
	s_waitcnt vmcnt(6)
	v_mul_f64 v[49:50], v[7:8], v[33:34]
	s_waitcnt vmcnt(5)
	v_mul_f64 v[35:36], v[7:8], v[35:36]
	s_waitcnt vmcnt(4)
	v_mul_f64 v[31:32], v[7:8], v[37:38]
	s_waitcnt vmcnt(3)
	v_mul_f64 v[33:34], v[7:8], v[43:44]
	s_waitcnt vmcnt(2)
	v_mul_f64 v[13:14], v[7:8], v[39:40]
	s_waitcnt vmcnt(1)
	v_mul_f64 v[11:12], v[7:8], v[41:42]
	s_waitcnt vmcnt(0)
	v_mul_f64 v[9:10], v[7:8], v[45:46]
	global_store_dwordx2 v[15:16], v[51:52], off
	global_store_dwordx2 v[17:18], v[49:50], off
	global_store_dwordx2 v[19:20], v[35:36], off
	global_store_dwordx2 v[21:22], v[31:32], off
	global_store_dwordx2 v[23:24], v[33:34], off
	global_store_dwordx2 v[25:26], v[13:14], off
	global_store_dwordx2 v[27:28], v[11:12], off
	global_store_dwordx2 v[29:30], v[9:10], off
	s_and_saveexec_b64 s[4:5], s[0:1]
	s_cbranch_execz .LBB170_3
; %bb.19:                               ;   in Loop: Header=BB170_5 Depth=1
	v_add_u32_e32 v25, v71, v73
	v_add_u32_e32 v1, s28, v25
	v_lshlrev_b64 v[15:16], 3, v[1:2]
	v_mov_b32_e32 v26, s9
	v_add_co_u32_e32 v15, vcc, s8, v15
	v_addc_co_u32_e32 v16, vcc, v26, v16, vcc
	global_load_dwordx2 v[17:18], v[15:16], off
	v_add_u32_e32 v1, s29, v25
	v_lshlrev_b64 v[19:20], 3, v[1:2]
	v_add_u32_e32 v1, s30, v25
	v_add_co_u32_e32 v19, vcc, s8, v19
	v_addc_co_u32_e32 v20, vcc, v26, v20, vcc
	global_load_dwordx2 v[21:22], v[19:20], off
	v_lshlrev_b64 v[23:24], 3, v[1:2]
	v_add_u32_e32 v1, s31, v25
	v_add_co_u32_e32 v23, vcc, s8, v23
	v_addc_co_u32_e32 v24, vcc, v26, v24, vcc
	s_waitcnt vmcnt(1)
	v_fma_f64 v[17:18], -v[3:4], v[51:52], v[17:18]
	global_store_dwordx2 v[15:16], v[17:18], off
	global_load_dwordx2 v[15:16], v[23:24], off
	s_waitcnt vmcnt(2)
	v_fma_f64 v[17:18], -v[3:4], v[49:50], v[21:22]
	v_lshlrev_b64 v[21:22], 3, v[1:2]
	v_add_u32_e32 v1, s33, v25
	v_add_co_u32_e32 v21, vcc, s8, v21
	v_addc_co_u32_e32 v22, vcc, v26, v22, vcc
	global_store_dwordx2 v[19:20], v[17:18], off
	global_load_dwordx2 v[17:18], v[21:22], off
	v_lshlrev_b64 v[19:20], 3, v[1:2]
	v_add_u32_e32 v1, s34, v25
	v_add_co_u32_e32 v19, vcc, s8, v19
	v_addc_co_u32_e32 v20, vcc, v26, v20, vcc
	s_waitcnt vmcnt(2)
	v_fma_f64 v[15:16], -v[3:4], v[35:36], v[15:16]
	global_store_dwordx2 v[23:24], v[15:16], off
	global_load_dwordx2 v[15:16], v[19:20], off
	s_waitcnt vmcnt(2)
	v_fma_f64 v[17:18], -v[3:4], v[31:32], v[17:18]
	v_lshlrev_b64 v[23:24], 3, v[1:2]
	v_add_u32_e32 v1, s35, v25
	v_add_co_u32_e32 v23, vcc, s8, v23
	v_addc_co_u32_e32 v24, vcc, v26, v24, vcc
	s_waitcnt vmcnt(0)
	v_fma_f64 v[15:16], -v[3:4], v[33:34], v[15:16]
	global_store_dwordx2 v[21:22], v[17:18], off
	global_store_dwordx2 v[19:20], v[15:16], off
	global_load_dwordx2 v[15:16], v[23:24], off
	s_waitcnt vmcnt(0)
	v_fma_f64 v[13:14], -v[3:4], v[13:14], v[15:16]
	v_lshlrev_b64 v[15:16], 3, v[1:2]
	v_add_u32_e32 v1, s36, v25
	v_add_co_u32_e32 v15, vcc, s8, v15
	v_addc_co_u32_e32 v16, vcc, v26, v16, vcc
	global_store_dwordx2 v[23:24], v[13:14], off
	global_load_dwordx2 v[13:14], v[15:16], off
	s_waitcnt vmcnt(0)
	v_fma_f64 v[11:12], -v[3:4], v[11:12], v[13:14]
	v_lshlrev_b64 v[13:14], 3, v[1:2]
	global_store_dwordx2 v[15:16], v[11:12], off
	v_add_co_u32_e32 v11, vcc, s8, v13
	v_addc_co_u32_e32 v12, vcc, v26, v14, vcc
	global_load_dwordx2 v[13:14], v[11:12], off
	s_waitcnt vmcnt(0)
	v_fma_f64 v[3:4], -v[3:4], v[9:10], v[13:14]
	global_store_dwordx2 v[11:12], v[3:4], off
	s_branch .LBB170_3
.LBB170_20:
	s_or_b64 exec, exec, s[18:19]
	s_branch .LBB170_22
.LBB170_21:
	v_mov_b32_e32 v73, 0
.LBB170_22:
	v_subrev_u32_e32 v3, s22, v73
	v_add_u32_e32 v1, v3, v0
	v_ashrrev_i32_e32 v2, 31, v1
	v_lshlrev_b64 v[1:2], 2, v[1:2]
	s_waitcnt lgkmcnt(0)
	v_mov_b32_e32 v4, s17
	v_add_co_u32_e32 v1, vcc, s16, v1
	v_addc_co_u32_e32 v2, vcc, v4, v2, vcc
	s_waitcnt vmcnt(0)
	buffer_wbinvl1_vol
	global_load_dword v1, v[1:2], off
	s_waitcnt vmcnt(0)
	v_mul_lo_u32 v1, v1, s22
	v_sub_u32_e32 v7, v3, v1
	v_cmp_lt_i32_e32 vcc, -1, v7
	s_and_b64 exec, exec, vcc
	s_cbranch_execz .LBB170_29
; %bb.23:
	s_lshl_b32 s4, s24, 3
	s_add_i32 s5, s4, s23
	s_add_i32 s6, s5, s23
	;; [unrolled: 1-line block ×7, first 2 shown]
	s_lshl_b32 s18, s22, 1
	s_mov_b64 s[0:1], 0
	v_mov_b32_e32 v8, s17
	v_mov_b32_e32 v9, s11
	;; [unrolled: 1-line block ×3, first 2 shown]
	s_branch .LBB170_25
.LBB170_24:                             ;   in Loop: Header=BB170_25 Depth=1
	s_or_b64 exec, exec, s[2:3]
	v_sub_u32_e32 v7, v7, v1
	v_cmp_gt_i32_e32 vcc, 0, v7
	s_or_b64 s[0:1], vcc, s[0:1]
	s_andn2_b64 exec, exec, s[0:1]
	s_cbranch_execz .LBB170_29
.LBB170_25:                             ; =>This Inner Loop Header: Depth=1
	v_add_u32_e32 v5, v7, v0
	v_ashrrev_i32_e32 v6, 31, v5
	s_waitcnt vmcnt(0)
	v_lshlrev_b64 v[3:4], 2, v[5:6]
	v_add_co_u32_e32 v3, vcc, s16, v3
	v_addc_co_u32_e32 v4, vcc, v8, v4, vcc
	global_load_dword v1, v[3:4], off
	v_lshlrev_b64 v[3:4], 3, v[5:6]
	v_add_co_u32_e32 v3, vcc, s10, v3
	v_addc_co_u32_e32 v4, vcc, v9, v4, vcc
	global_load_dwordx2 v[3:4], v[3:4], off
	s_waitcnt vmcnt(1)
	v_cmp_ne_u32_e32 vcc, 1, v1
	s_and_saveexec_b64 s[2:3], vcc
	s_xor_b64 s[2:3], exec, s[2:3]
	s_cbranch_execz .LBB170_27
; %bb.26:                               ;   in Loop: Header=BB170_25 Depth=1
	v_add_u32_e32 v6, v71, v7
	v_add_u32_e32 v1, s4, v6
	v_lshlrev_b64 v[10:11], 3, v[1:2]
	v_mov_b32_e32 v1, s9
	v_add_co_u32_e32 v10, vcc, s8, v10
	v_addc_co_u32_e32 v11, vcc, v1, v11, vcc
	v_add_u32_e32 v1, s5, v6
	v_lshlrev_b64 v[12:13], 3, v[1:2]
	v_add_u32_e32 v1, s6, v6
	v_lshlrev_b64 v[14:15], 3, v[1:2]
	;; [unrolled: 2-line block ×8, first 2 shown]
	v_mov_b32_e32 v1, s9
	v_add_co_u32_e32 v26, vcc, s8, v26
	v_addc_co_u32_e32 v27, vcc, v1, v27, vcc
	global_load_dwordx2 v[10:11], v[10:11], off
	v_add_co_u32_e32 v12, vcc, s8, v12
	global_load_dwordx2 v[28:29], v[26:27], off
	v_addc_co_u32_e32 v13, vcc, v1, v13, vcc
	v_mov_b32_e32 v6, s9
	v_add_co_u32_e32 v14, vcc, s8, v14
	v_addc_co_u32_e32 v15, vcc, v6, v15, vcc
	v_mov_b32_e32 v30, s9
	v_add_co_u32_e32 v16, vcc, s8, v16
	v_addc_co_u32_e32 v17, vcc, v30, v17, vcc
	v_mov_b32_e32 v36, s9
	global_load_dwordx2 v[30:31], v[12:13], off
	global_load_dwordx2 v[32:33], v[14:15], off
	;; [unrolled: 1-line block ×3, first 2 shown]
	v_add_co_u32_e32 v12, vcc, s8, v18
	v_addc_co_u32_e32 v13, vcc, v36, v19, vcc
	v_mov_b32_e32 v37, s9
	v_add_co_u32_e32 v14, vcc, s8, v20
	v_addc_co_u32_e32 v15, vcc, v37, v21, vcc
	v_mov_b32_e32 v38, s9
	v_add_co_u32_e32 v16, vcc, s8, v22
	v_addc_co_u32_e32 v17, vcc, v38, v23, vcc
	v_add_u32_e32 v1, s5, v5
	v_mov_b32_e32 v39, s9
	v_add_co_u32_e32 v18, vcc, s8, v24
	v_lshlrev_b64 v[20:21], 3, v[1:2]
	v_addc_co_u32_e32 v19, vcc, v39, v25, vcc
	v_mov_b32_e32 v40, s9
	v_add_u32_e32 v1, s6, v5
	s_waitcnt vmcnt(3)
	v_fma_f64 v[22:23], -v[3:4], v[10:11], v[28:29]
	global_load_dwordx2 v[24:25], v[12:13], off
	global_load_dwordx2 v[28:29], v[14:15], off
	;; [unrolled: 1-line block ×4, first 2 shown]
	v_add_co_u32_e32 v12, vcc, s8, v20
	v_addc_co_u32_e32 v13, vcc, v40, v21, vcc
	v_lshlrev_b64 v[16:17], 3, v[1:2]
	v_add_u32_e32 v1, s7, v5
	global_store_dwordx2 v[26:27], v[22:23], off
	global_load_dwordx2 v[14:15], v[12:13], off
	v_add_co_u32_e32 v16, vcc, s8, v16
	v_addc_co_u32_e32 v17, vcc, v6, v17, vcc
	s_waitcnt vmcnt(0)
	v_fma_f64 v[14:15], -v[3:4], v[30:31], v[14:15]
	global_store_dwordx2 v[12:13], v[14:15], off
	global_load_dwordx2 v[12:13], v[16:17], off
	v_lshlrev_b64 v[14:15], 3, v[1:2]
	v_add_u32_e32 v1, s12, v5
	v_add_co_u32_e32 v14, vcc, s8, v14
	v_addc_co_u32_e32 v15, vcc, v6, v15, vcc
	s_waitcnt vmcnt(0)
	v_fma_f64 v[12:13], -v[3:4], v[32:33], v[12:13]
	global_store_dwordx2 v[16:17], v[12:13], off
	global_load_dwordx2 v[12:13], v[14:15], off
	v_lshlrev_b64 v[16:17], 3, v[1:2]
	v_add_u32_e32 v1, s13, v5
	;; [unrolled: 8-line block ×4, first 2 shown]
	v_add_co_u32_e32 v16, vcc, s8, v16
	v_addc_co_u32_e32 v17, vcc, v6, v17, vcc
	v_lshlrev_b64 v[5:6], 3, v[1:2]
	v_subrev_u32_e32 v1, s22, v7
	v_add_co_u32_e32 v5, vcc, s8, v5
	s_waitcnt vmcnt(0)
	v_fma_f64 v[12:13], -v[3:4], v[28:29], v[12:13]
	global_store_dwordx2 v[14:15], v[12:13], off
	global_load_dwordx2 v[12:13], v[16:17], off
	v_mov_b32_e32 v14, s9
	v_addc_co_u32_e32 v6, vcc, v14, v6, vcc
	v_add_u32_e32 v14, v1, v0
	v_ashrrev_i32_e32 v15, 31, v14
	v_add_u32_e32 v1, s4, v14
	s_waitcnt vmcnt(0)
	v_fma_f64 v[12:13], -v[3:4], v[36:37], v[12:13]
	global_store_dwordx2 v[16:17], v[12:13], off
	global_load_dwordx2 v[12:13], v[5:6], off
	v_lshlrev_b64 v[15:16], 3, v[14:15]
	v_mov_b32_e32 v17, s9
	v_add_co_u32_e32 v15, vcc, s10, v15
	v_addc_co_u32_e32 v16, vcc, v9, v16, vcc
	s_waitcnt vmcnt(0)
	v_fma_f64 v[3:4], -v[3:4], v[38:39], v[12:13]
	global_load_dwordx2 v[12:13], v[15:16], off
	v_lshlrev_b64 v[15:16], 3, v[1:2]
	v_add_u32_e32 v1, s5, v14
	v_add_co_u32_e32 v15, vcc, s8, v15
	v_addc_co_u32_e32 v16, vcc, v17, v16, vcc
	global_store_dwordx2 v[5:6], v[3:4], off
	global_load_dwordx2 v[3:4], v[15:16], off
	v_lshlrev_b64 v[5:6], 3, v[1:2]
	v_add_u32_e32 v1, s6, v14
	v_add_co_u32_e32 v5, vcc, s8, v5
	s_waitcnt vmcnt(0)
	v_fma_f64 v[3:4], -v[12:13], v[10:11], v[3:4]
	v_mov_b32_e32 v10, s9
	v_addc_co_u32_e32 v6, vcc, v10, v6, vcc
	v_lshlrev_b64 v[10:11], 3, v[1:2]
	v_add_u32_e32 v1, s7, v14
	v_add_co_u32_e32 v10, vcc, s8, v10
	global_store_dwordx2 v[15:16], v[3:4], off
	global_load_dwordx2 v[3:4], v[5:6], off
	v_mov_b32_e32 v15, s9
	v_addc_co_u32_e32 v11, vcc, v15, v11, vcc
	s_waitcnt vmcnt(0)
	v_fma_f64 v[3:4], -v[12:13], v[30:31], v[3:4]
	global_store_dwordx2 v[5:6], v[3:4], off
	global_load_dwordx2 v[3:4], v[10:11], off
	v_lshlrev_b64 v[5:6], 3, v[1:2]
	v_add_u32_e32 v1, s12, v14
	v_add_co_u32_e32 v5, vcc, s8, v5
	v_addc_co_u32_e32 v6, vcc, v15, v6, vcc
	s_waitcnt vmcnt(0)
	v_fma_f64 v[3:4], -v[12:13], v[32:33], v[3:4]
	global_store_dwordx2 v[10:11], v[3:4], off
	global_load_dwordx2 v[3:4], v[5:6], off
	v_lshlrev_b64 v[10:11], 3, v[1:2]
	v_add_u32_e32 v1, s13, v14
	v_add_co_u32_e32 v10, vcc, s8, v10
	;; [unrolled: 8-line block ×4, first 2 shown]
	v_addc_co_u32_e32 v11, vcc, v15, v11, vcc
	s_waitcnt vmcnt(0)
	v_fma_f64 v[3:4], -v[12:13], v[28:29], v[3:4]
	global_store_dwordx2 v[5:6], v[3:4], off
	global_load_dwordx2 v[3:4], v[10:11], off
	v_lshlrev_b64 v[5:6], 3, v[1:2]
	s_waitcnt vmcnt(0)
	v_fma_f64 v[3:4], -v[12:13], v[36:37], v[3:4]
	global_store_dwordx2 v[10:11], v[3:4], off
	v_add_co_u32_e32 v3, vcc, s8, v5
	v_addc_co_u32_e32 v4, vcc, v15, v6, vcc
	global_load_dwordx2 v[5:6], v[3:4], off
	s_waitcnt vmcnt(0)
	v_fma_f64 v[5:6], -v[12:13], v[38:39], v[5:6]
	global_store_dwordx2 v[3:4], v[5:6], off
                                        ; implicit-def: $vgpr5
                                        ; implicit-def: $vgpr3_vgpr4
.LBB170_27:                             ;   in Loop: Header=BB170_25 Depth=1
	s_or_saveexec_b64 s[2:3], s[2:3]
	v_mov_b32_e32 v1, s18
	s_xor_b64 exec, exec, s[2:3]
	s_cbranch_execz .LBB170_24
; %bb.28:                               ;   in Loop: Header=BB170_25 Depth=1
	v_add_u32_e32 v6, v71, v7
	v_add_u32_e32 v1, s4, v6
	v_lshlrev_b64 v[10:11], 3, v[1:2]
	v_mov_b32_e32 v1, s9
	v_add_co_u32_e32 v10, vcc, s8, v10
	v_addc_co_u32_e32 v11, vcc, v1, v11, vcc
	v_add_u32_e32 v1, s4, v5
	v_lshlrev_b64 v[12:13], 3, v[1:2]
	v_mov_b32_e32 v1, s9
	v_add_co_u32_e32 v12, vcc, s8, v12
	v_addc_co_u32_e32 v13, vcc, v1, v13, vcc
	global_load_dwordx2 v[14:15], v[10:11], off
	global_load_dwordx2 v[16:17], v[12:13], off
	v_add_u32_e32 v1, s5, v6
	v_lshlrev_b64 v[10:11], 3, v[1:2]
	v_add_u32_e32 v1, s5, v5
	v_mov_b32_e32 v20, s9
	v_lshlrev_b64 v[18:19], 3, v[1:2]
	v_add_co_u32_e32 v10, vcc, s8, v10
	v_addc_co_u32_e32 v11, vcc, v20, v11, vcc
	v_mov_b32_e32 v21, s9
	v_add_u32_e32 v1, s6, v6
	s_waitcnt vmcnt(0)
	v_fma_f64 v[14:15], -v[3:4], v[14:15], v[16:17]
	v_add_co_u32_e32 v16, vcc, s8, v18
	v_addc_co_u32_e32 v17, vcc, v21, v19, vcc
	global_store_dwordx2 v[12:13], v[14:15], off
	global_load_dwordx2 v[12:13], v[10:11], off
	s_nop 0
	global_load_dwordx2 v[14:15], v[16:17], off
	v_lshlrev_b64 v[10:11], 3, v[1:2]
	v_add_u32_e32 v1, s6, v5
	v_lshlrev_b64 v[18:19], 3, v[1:2]
	v_add_co_u32_e32 v10, vcc, s8, v10
	v_addc_co_u32_e32 v11, vcc, v20, v11, vcc
	v_add_u32_e32 v1, s7, v6
	s_waitcnt vmcnt(0)
	v_fma_f64 v[12:13], -v[3:4], v[12:13], v[14:15]
	v_add_co_u32_e32 v14, vcc, s8, v18
	v_addc_co_u32_e32 v15, vcc, v21, v19, vcc
	global_store_dwordx2 v[16:17], v[12:13], off
	global_load_dwordx2 v[12:13], v[10:11], off
	s_nop 0
	global_load_dwordx2 v[16:17], v[14:15], off
	v_lshlrev_b64 v[10:11], 3, v[1:2]
	v_add_u32_e32 v1, s7, v5
	v_lshlrev_b64 v[18:19], 3, v[1:2]
	v_add_co_u32_e32 v10, vcc, s8, v10
	v_addc_co_u32_e32 v11, vcc, v20, v11, vcc
	v_add_u32_e32 v1, s12, v6
	s_waitcnt vmcnt(0)
	v_fma_f64 v[12:13], -v[3:4], v[12:13], v[16:17]
	v_add_co_u32_e32 v16, vcc, s8, v18
	v_addc_co_u32_e32 v17, vcc, v21, v19, vcc
	global_store_dwordx2 v[14:15], v[12:13], off
	global_load_dwordx2 v[12:13], v[10:11], off
	s_nop 0
	global_load_dwordx2 v[14:15], v[16:17], off
	v_lshlrev_b64 v[10:11], 3, v[1:2]
	v_add_u32_e32 v1, s12, v5
	v_lshlrev_b64 v[18:19], 3, v[1:2]
	v_add_co_u32_e32 v10, vcc, s8, v10
	v_addc_co_u32_e32 v11, vcc, v20, v11, vcc
	v_add_u32_e32 v1, s13, v6
	s_waitcnt vmcnt(0)
	v_fma_f64 v[12:13], -v[3:4], v[12:13], v[14:15]
	v_add_co_u32_e32 v14, vcc, s8, v18
	v_addc_co_u32_e32 v15, vcc, v21, v19, vcc
	global_store_dwordx2 v[16:17], v[12:13], off
	global_load_dwordx2 v[12:13], v[10:11], off
	s_nop 0
	global_load_dwordx2 v[16:17], v[14:15], off
	v_lshlrev_b64 v[10:11], 3, v[1:2]
	v_add_u32_e32 v1, s13, v5
	v_lshlrev_b64 v[18:19], 3, v[1:2]
	v_add_co_u32_e32 v10, vcc, s8, v10
	v_addc_co_u32_e32 v11, vcc, v20, v11, vcc
	v_add_u32_e32 v1, s14, v6
	s_waitcnt vmcnt(0)
	v_fma_f64 v[12:13], -v[3:4], v[12:13], v[16:17]
	v_add_co_u32_e32 v16, vcc, s8, v18
	v_addc_co_u32_e32 v17, vcc, v21, v19, vcc
	global_store_dwordx2 v[14:15], v[12:13], off
	global_load_dwordx2 v[12:13], v[10:11], off
	s_nop 0
	global_load_dwordx2 v[14:15], v[16:17], off
	v_lshlrev_b64 v[10:11], 3, v[1:2]
	v_add_u32_e32 v1, s14, v5
	v_lshlrev_b64 v[18:19], 3, v[1:2]
	v_add_co_u32_e32 v10, vcc, s8, v10
	v_addc_co_u32_e32 v11, vcc, v20, v11, vcc
	v_add_u32_e32 v1, s15, v6
	s_waitcnt vmcnt(0)
	v_fma_f64 v[12:13], -v[3:4], v[12:13], v[14:15]
	v_add_co_u32_e32 v14, vcc, s8, v18
	v_addc_co_u32_e32 v15, vcc, v21, v19, vcc
	v_mov_b32_e32 v18, s9
	v_mov_b32_e32 v19, s9
	global_store_dwordx2 v[16:17], v[12:13], off
	global_load_dwordx2 v[12:13], v[10:11], off
	s_nop 0
	global_load_dwordx2 v[16:17], v[14:15], off
	v_lshlrev_b64 v[10:11], 3, v[1:2]
	v_add_u32_e32 v1, s15, v5
	v_lshlrev_b64 v[5:6], 3, v[1:2]
	v_add_co_u32_e32 v10, vcc, s8, v10
	v_addc_co_u32_e32 v11, vcc, v18, v11, vcc
	v_add_co_u32_e32 v5, vcc, s8, v5
	v_addc_co_u32_e32 v6, vcc, v19, v6, vcc
	v_mov_b32_e32 v1, s22
	s_waitcnt vmcnt(0)
	v_fma_f64 v[12:13], -v[3:4], v[12:13], v[16:17]
	global_store_dwordx2 v[14:15], v[12:13], off
	global_load_dwordx2 v[12:13], v[10:11], off
	s_nop 0
	global_load_dwordx2 v[14:15], v[5:6], off
	s_waitcnt vmcnt(0)
	v_fma_f64 v[3:4], -v[3:4], v[12:13], v[14:15]
	global_store_dwordx2 v[5:6], v[3:4], off
	s_branch .LBB170_24
.LBB170_29:
	s_endpgm
	.section	.rodata,"a",@progbits
	.p2align	6, 0x0
	.amdhsa_kernel _ZN9rocsparseL19gtsv_LBM_rhs_kernelILj256ELj256ELj8EdEEviiiPKT2_S3_S3_PS1_S3_PKi
		.amdhsa_group_segment_fixed_size 0
		.amdhsa_private_segment_fixed_size 0
		.amdhsa_kernarg_size 64
		.amdhsa_user_sgpr_count 6
		.amdhsa_user_sgpr_private_segment_buffer 1
		.amdhsa_user_sgpr_dispatch_ptr 0
		.amdhsa_user_sgpr_queue_ptr 0
		.amdhsa_user_sgpr_kernarg_segment_ptr 1
		.amdhsa_user_sgpr_dispatch_id 0
		.amdhsa_user_sgpr_flat_scratch_init 0
		.amdhsa_user_sgpr_private_segment_size 0
		.amdhsa_uses_dynamic_stack 0
		.amdhsa_system_sgpr_private_segment_wavefront_offset 0
		.amdhsa_system_sgpr_workgroup_id_x 1
		.amdhsa_system_sgpr_workgroup_id_y 1
		.amdhsa_system_sgpr_workgroup_id_z 0
		.amdhsa_system_sgpr_workgroup_info 0
		.amdhsa_system_vgpr_workitem_id 0
		.amdhsa_next_free_vgpr 117
		.amdhsa_next_free_sgpr 37
		.amdhsa_reserve_vcc 1
		.amdhsa_reserve_flat_scratch 0
		.amdhsa_float_round_mode_32 0
		.amdhsa_float_round_mode_16_64 0
		.amdhsa_float_denorm_mode_32 3
		.amdhsa_float_denorm_mode_16_64 3
		.amdhsa_dx10_clamp 1
		.amdhsa_ieee_mode 1
		.amdhsa_fp16_overflow 0
		.amdhsa_exception_fp_ieee_invalid_op 0
		.amdhsa_exception_fp_denorm_src 0
		.amdhsa_exception_fp_ieee_div_zero 0
		.amdhsa_exception_fp_ieee_overflow 0
		.amdhsa_exception_fp_ieee_underflow 0
		.amdhsa_exception_fp_ieee_inexact 0
		.amdhsa_exception_int_div_zero 0
	.end_amdhsa_kernel
	.section	.text._ZN9rocsparseL19gtsv_LBM_rhs_kernelILj256ELj256ELj8EdEEviiiPKT2_S3_S3_PS1_S3_PKi,"axG",@progbits,_ZN9rocsparseL19gtsv_LBM_rhs_kernelILj256ELj256ELj8EdEEviiiPKT2_S3_S3_PS1_S3_PKi,comdat
.Lfunc_end170:
	.size	_ZN9rocsparseL19gtsv_LBM_rhs_kernelILj256ELj256ELj8EdEEviiiPKT2_S3_S3_PS1_S3_PKi, .Lfunc_end170-_ZN9rocsparseL19gtsv_LBM_rhs_kernelILj256ELj256ELj8EdEEviiiPKT2_S3_S3_PS1_S3_PKi
                                        ; -- End function
	.set _ZN9rocsparseL19gtsv_LBM_rhs_kernelILj256ELj256ELj8EdEEviiiPKT2_S3_S3_PS1_S3_PKi.num_vgpr, 117
	.set _ZN9rocsparseL19gtsv_LBM_rhs_kernelILj256ELj256ELj8EdEEviiiPKT2_S3_S3_PS1_S3_PKi.num_agpr, 0
	.set _ZN9rocsparseL19gtsv_LBM_rhs_kernelILj256ELj256ELj8EdEEviiiPKT2_S3_S3_PS1_S3_PKi.numbered_sgpr, 37
	.set _ZN9rocsparseL19gtsv_LBM_rhs_kernelILj256ELj256ELj8EdEEviiiPKT2_S3_S3_PS1_S3_PKi.num_named_barrier, 0
	.set _ZN9rocsparseL19gtsv_LBM_rhs_kernelILj256ELj256ELj8EdEEviiiPKT2_S3_S3_PS1_S3_PKi.private_seg_size, 0
	.set _ZN9rocsparseL19gtsv_LBM_rhs_kernelILj256ELj256ELj8EdEEviiiPKT2_S3_S3_PS1_S3_PKi.uses_vcc, 1
	.set _ZN9rocsparseL19gtsv_LBM_rhs_kernelILj256ELj256ELj8EdEEviiiPKT2_S3_S3_PS1_S3_PKi.uses_flat_scratch, 0
	.set _ZN9rocsparseL19gtsv_LBM_rhs_kernelILj256ELj256ELj8EdEEviiiPKT2_S3_S3_PS1_S3_PKi.has_dyn_sized_stack, 0
	.set _ZN9rocsparseL19gtsv_LBM_rhs_kernelILj256ELj256ELj8EdEEviiiPKT2_S3_S3_PS1_S3_PKi.has_recursion, 0
	.set _ZN9rocsparseL19gtsv_LBM_rhs_kernelILj256ELj256ELj8EdEEviiiPKT2_S3_S3_PS1_S3_PKi.has_indirect_call, 0
	.section	.AMDGPU.csdata,"",@progbits
; Kernel info:
; codeLenInByte = 4992
; TotalNumSgprs: 41
; NumVgprs: 117
; ScratchSize: 0
; MemoryBound: 0
; FloatMode: 240
; IeeeMode: 1
; LDSByteSize: 0 bytes/workgroup (compile time only)
; SGPRBlocks: 5
; VGPRBlocks: 29
; NumSGPRsForWavesPerEU: 41
; NumVGPRsForWavesPerEU: 117
; Occupancy: 2
; WaveLimiterHint : 0
; COMPUTE_PGM_RSRC2:SCRATCH_EN: 0
; COMPUTE_PGM_RSRC2:USER_SGPR: 6
; COMPUTE_PGM_RSRC2:TRAP_HANDLER: 0
; COMPUTE_PGM_RSRC2:TGID_X_EN: 1
; COMPUTE_PGM_RSRC2:TGID_Y_EN: 1
; COMPUTE_PGM_RSRC2:TGID_Z_EN: 0
; COMPUTE_PGM_RSRC2:TIDIG_COMP_CNT: 0
	.section	.text._ZN9rocsparseL19gtsv_LBM_rhs_kernelILj256ELj256ELj4EdEEviiiPKT2_S3_S3_PS1_S3_PKi,"axG",@progbits,_ZN9rocsparseL19gtsv_LBM_rhs_kernelILj256ELj256ELj4EdEEviiiPKT2_S3_S3_PS1_S3_PKi,comdat
	.globl	_ZN9rocsparseL19gtsv_LBM_rhs_kernelILj256ELj256ELj4EdEEviiiPKT2_S3_S3_PS1_S3_PKi ; -- Begin function _ZN9rocsparseL19gtsv_LBM_rhs_kernelILj256ELj256ELj4EdEEviiiPKT2_S3_S3_PS1_S3_PKi
	.p2align	8
	.type	_ZN9rocsparseL19gtsv_LBM_rhs_kernelILj256ELj256ELj4EdEEviiiPKT2_S3_S3_PS1_S3_PKi,@function
_ZN9rocsparseL19gtsv_LBM_rhs_kernelILj256ELj256ELj4EdEEviiiPKT2_S3_S3_PS1_S3_PKi: ; @_ZN9rocsparseL19gtsv_LBM_rhs_kernelILj256ELj256ELj4EdEEviiiPKT2_S3_S3_PS1_S3_PKi
; %bb.0:
	s_load_dword s23, s[4:5], 0x0
	v_lshl_or_b32 v0, s6, 8, v0
	s_waitcnt lgkmcnt(0)
	s_lshr_b32 s22, s23, 8
	v_cmp_gt_i32_e32 vcc, s22, v0
	s_and_saveexec_b64 s[0:1], vcc
	s_cbranch_execz .LBB171_29
; %bb.1:
	s_load_dwordx4 s[8:11], s[4:5], 0x28
	s_load_dwordx2 s[16:17], s[4:5], 0x38
	s_cmp_lt_i32 s23, 1
	v_add_u32_e32 v39, s22, v0
	s_mul_i32 s24, s7, s23
	s_cbranch_scc1 .LBB171_21
; %bb.2:
	s_load_dwordx4 s[12:15], s[4:5], 0x10
	s_load_dwordx2 s[6:7], s[4:5], 0x20
	v_ashrrev_i32_e32 v1, 31, v0
	v_lshlrev_b64 v[1:2], 3, v[0:1]
	s_lshl_b32 s28, s24, 2
	s_waitcnt lgkmcnt(0)
	v_mov_b32_e32 v3, s15
	v_add_co_u32_e32 v1, vcc, s14, v1
	v_addc_co_u32_e32 v2, vcc, v3, v2, vcc
	global_load_dwordx2 v[5:6], v[1:2], off
	s_add_i32 s29, s28, s23
	s_add_i32 s30, s29, s23
	s_mul_i32 s25, s22, 0xff
	s_mul_i32 s26, s22, 0xfe
	s_lshl_b32 s27, s22, 1
	v_add_u32_e32 v41, s22, v39
	s_add_i32 s31, s30, s23
	v_mov_b32_e32 v2, 0
	s_mov_b64 s[18:19], 0
	v_mov_b32_e32 v42, s7
	v_mov_b32_e32 v40, 0
	s_branch .LBB171_5
.LBB171_3:                              ;   in Loop: Header=BB171_5 Depth=1
	s_or_b64 exec, exec, s[4:5]
	v_fma_f64 v[5:6], -v[5:6], v[29:30], v[7:8]
	v_mov_b32_e32 v1, s22
.LBB171_4:                              ;   in Loop: Header=BB171_5 Depth=1
	s_or_b64 exec, exec, s[2:3]
	v_add_u32_e32 v40, v1, v40
	v_cmp_le_i32_e32 vcc, s23, v40
	s_or_b64 s[18:19], vcc, s[18:19]
	s_andn2_b64 exec, exec, s[18:19]
	s_cbranch_execz .LBB171_20
.LBB171_5:                              ; =>This Inner Loop Header: Depth=1
	v_add_u32_e32 v15, v40, v0
	v_ashrrev_i32_e32 v16, 31, v15
	v_lshlrev_b64 v[3:4], 3, v[15:16]
	v_mov_b32_e32 v7, 0
	v_add_co_u32_e32 v3, vcc, s6, v3
	v_addc_co_u32_e32 v4, vcc, v42, v4, vcc
	global_load_dwordx2 v[13:14], v[3:4], off
	v_mov_b32_e32 v3, 0
	v_mov_b32_e32 v8, 0
	;; [unrolled: 1-line block ×3, first 2 shown]
	v_cmp_gt_u32_e64 s[0:1], s25, v40
	s_and_saveexec_b64 s[2:3], s[0:1]
	s_cbranch_execz .LBB171_7
; %bb.6:                                ;   in Loop: Header=BB171_5 Depth=1
	v_add_u32_e32 v3, v39, v40
	v_ashrrev_i32_e32 v4, 31, v3
	v_lshlrev_b64 v[3:4], 3, v[3:4]
	v_mov_b32_e32 v1, s13
	v_add_co_u32_e32 v3, vcc, s12, v3
	v_addc_co_u32_e32 v4, vcc, v1, v4, vcc
	global_load_dwordx2 v[3:4], v[3:4], off
.LBB171_7:                              ;   in Loop: Header=BB171_5 Depth=1
	s_or_b64 exec, exec, s[2:3]
	s_and_saveexec_b64 s[2:3], s[0:1]
	s_cbranch_execz .LBB171_9
; %bb.8:                                ;   in Loop: Header=BB171_5 Depth=1
	v_add_u32_e32 v7, v39, v40
	v_ashrrev_i32_e32 v8, 31, v7
	v_lshlrev_b64 v[7:8], 3, v[7:8]
	v_mov_b32_e32 v1, s15
	v_add_co_u32_e32 v7, vcc, s14, v7
	v_addc_co_u32_e32 v8, vcc, v1, v8, vcc
	global_load_dwordx2 v[7:8], v[7:8], off
.LBB171_9:                              ;   in Loop: Header=BB171_5 Depth=1
	s_or_b64 exec, exec, s[2:3]
	v_mov_b32_e32 v11, 0
	v_mov_b32_e32 v9, 0
	;; [unrolled: 1-line block ×4, first 2 shown]
	s_and_saveexec_b64 s[2:3], s[0:1]
	s_cbranch_execz .LBB171_11
; %bb.10:                               ;   in Loop: Header=BB171_5 Depth=1
	v_add_u32_e32 v9, v39, v40
	v_ashrrev_i32_e32 v10, 31, v9
	v_lshlrev_b64 v[9:10], 3, v[9:10]
	v_mov_b32_e32 v1, s7
	v_add_co_u32_e32 v9, vcc, s6, v9
	v_addc_co_u32_e32 v10, vcc, v1, v10, vcc
	global_load_dwordx2 v[9:10], v[9:10], off
.LBB171_11:                             ;   in Loop: Header=BB171_5 Depth=1
	s_or_b64 exec, exec, s[2:3]
	v_cmp_gt_u32_e64 s[2:3], s26, v40
	s_and_saveexec_b64 s[4:5], s[2:3]
	s_cbranch_execz .LBB171_13
; %bb.12:                               ;   in Loop: Header=BB171_5 Depth=1
	v_add_u32_e32 v11, v41, v40
	v_ashrrev_i32_e32 v12, 31, v11
	v_lshlrev_b64 v[11:12], 3, v[11:12]
	v_mov_b32_e32 v1, s13
	v_add_co_u32_e32 v11, vcc, s12, v11
	v_addc_co_u32_e32 v12, vcc, v1, v12, vcc
	global_load_dwordx2 v[11:12], v[11:12], off
.LBB171_13:                             ;   in Loop: Header=BB171_5 Depth=1
	s_or_b64 exec, exec, s[4:5]
	v_lshlrev_b64 v[16:17], 2, v[15:16]
	v_mov_b32_e32 v1, s17
	v_add_co_u32_e32 v16, vcc, s16, v16
	v_addc_co_u32_e32 v17, vcc, v1, v17, vcc
	global_load_dword v1, v[16:17], off
	v_cmp_ne_u32_e64 s[4:5], s25, v40
	s_waitcnt vmcnt(2)
	v_mov_b32_e32 v27, s9
	s_waitcnt vmcnt(1)
	v_mul_f64 v[29:30], v[13:14], v[3:4]
	s_waitcnt vmcnt(0)
	v_cmp_ne_u32_e32 vcc, 1, v1
	v_add_u32_e32 v1, s28, v15
	v_lshlrev_b64 v[16:17], 3, v[1:2]
	s_and_b64 s[4:5], s[4:5], vcc
	v_add_co_u32_e32 v21, vcc, s8, v16
	v_add_u32_e32 v1, s29, v15
	v_addc_co_u32_e32 v22, vcc, v27, v17, vcc
	v_lshlrev_b64 v[17:18], 3, v[1:2]
	v_add_u32_e32 v1, s30, v15
	v_add_co_u32_e32 v17, vcc, s8, v17
	v_lshlrev_b64 v[19:20], 3, v[1:2]
	v_addc_co_u32_e32 v18, vcc, v27, v18, vcc
	v_add_u32_e32 v1, s31, v15
	v_add_co_u32_e32 v19, vcc, s8, v19
	v_lshlrev_b64 v[15:16], 3, v[1:2]
	v_addc_co_u32_e32 v20, vcc, v27, v20, vcc
	v_add_co_u32_e32 v15, vcc, s8, v15
	v_addc_co_u32_e32 v16, vcc, v27, v16, vcc
	global_load_dwordx2 v[31:32], v[21:22], off
	global_load_dwordx2 v[23:24], v[17:18], off
	;; [unrolled: 1-line block ×4, first 2 shown]
	s_and_saveexec_b64 s[20:21], s[4:5]
	s_xor_b64 s[4:5], exec, s[20:21]
	s_cbranch_execz .LBB171_17
; %bb.14:                               ;   in Loop: Header=BB171_5 Depth=1
	v_fma_f64 v[29:30], v[5:6], v[7:8], -v[29:30]
	v_div_scale_f64 v[33:34], s[20:21], v[29:30], v[29:30], 1.0
	v_rcp_f64_e32 v[35:36], v[33:34]
	v_fma_f64 v[37:38], -v[33:34], v[35:36], 1.0
	v_fma_f64 v[35:36], v[35:36], v[37:38], v[35:36]
	v_fma_f64 v[37:38], -v[33:34], v[35:36], 1.0
	v_fma_f64 v[35:36], v[35:36], v[37:38], v[35:36]
	v_div_scale_f64 v[37:38], vcc, 1.0, v[29:30], 1.0
	v_mul_f64 v[43:44], v[37:38], v[35:36]
	v_fma_f64 v[33:34], -v[33:34], v[43:44], v[37:38]
	v_add_u32_e32 v37, v39, v40
	v_add_u32_e32 v1, s28, v37
	v_mov_b32_e32 v38, s9
	v_div_fmas_f64 v[33:34], v[33:34], v[35:36], v[43:44]
	v_lshlrev_b64 v[35:36], 3, v[1:2]
	v_add_u32_e32 v1, s29, v37
	v_add_co_u32_e32 v43, vcc, s8, v35
	v_addc_co_u32_e32 v44, vcc, v38, v36, vcc
	v_lshlrev_b64 v[35:36], 3, v[1:2]
	v_add_u32_e32 v1, s30, v37
	v_add_co_u32_e32 v45, vcc, s8, v35
	v_addc_co_u32_e32 v46, vcc, v38, v36, vcc
	v_lshlrev_b64 v[35:36], 3, v[1:2]
	v_add_u32_e32 v1, s31, v37
	v_add_co_u32_e32 v47, vcc, s8, v35
	v_div_fixup_f64 v[29:30], v[33:34], v[29:30], 1.0
	global_load_dwordx2 v[33:34], v[43:44], off
	v_addc_co_u32_e32 v48, vcc, v38, v36, vcc
	v_lshlrev_b64 v[35:36], 3, v[1:2]
	v_add_co_u32_e32 v49, vcc, s8, v35
	v_addc_co_u32_e32 v50, vcc, v38, v36, vcc
	global_load_dwordx2 v[37:38], v[45:46], off
	global_load_dwordx2 v[51:52], v[47:48], off
	;; [unrolled: 1-line block ×3, first 2 shown]
	s_waitcnt vmcnt(7)
	v_mul_f64 v[31:32], v[29:30], v[31:32]
	s_waitcnt vmcnt(3)
	v_mul_f64 v[35:36], v[29:30], v[33:34]
	;; [unrolled: 2-line block ×3, first 2 shown]
	v_mul_f64 v[33:34], v[13:14], v[35:36]
	v_fma_f64 v[33:34], v[7:8], v[31:32], -v[33:34]
	global_store_dwordx2 v[21:22], v[33:34], off
	v_mul_f64 v[33:34], v[29:30], v[23:24]
	v_mul_f64 v[21:22], v[13:14], v[37:38]
	v_fma_f64 v[21:22], v[7:8], v[33:34], -v[21:22]
	global_store_dwordx2 v[17:18], v[21:22], off
	s_waitcnt vmcnt(3)
	v_mul_f64 v[21:22], v[29:30], v[51:52]
	v_mul_f64 v[17:18], v[29:30], v[25:26]
	;; [unrolled: 1-line block ×3, first 2 shown]
	v_fma_f64 v[23:24], v[7:8], v[17:18], -v[23:24]
	global_store_dwordx2 v[19:20], v[23:24], off
	s_waitcnt vmcnt(3)
	v_mul_f64 v[19:20], v[29:30], v[53:54]
	v_mul_f64 v[23:24], v[29:30], v[27:28]
	;; [unrolled: 1-line block ×3, first 2 shown]
	v_fma_f64 v[7:8], v[7:8], v[23:24], -v[13:14]
	v_mul_f64 v[13:14], v[3:4], v[17:18]
	global_store_dwordx2 v[15:16], v[7:8], off
	v_mul_f64 v[7:8], v[3:4], v[31:32]
	v_fma_f64 v[13:14], v[5:6], v[21:22], -v[13:14]
	v_fma_f64 v[7:8], v[5:6], v[35:36], -v[7:8]
	global_store_dwordx2 v[43:44], v[7:8], off
	v_mul_f64 v[7:8], v[3:4], v[33:34]
	v_fma_f64 v[7:8], v[5:6], v[37:38], -v[7:8]
	global_store_dwordx2 v[45:46], v[7:8], off
	v_mul_f64 v[7:8], v[3:4], v[23:24]
	v_fma_f64 v[15:16], v[5:6], v[19:20], -v[7:8]
	v_mov_b32_e32 v7, 0
	v_mov_b32_e32 v8, 0
	global_store_dwordx2 v[47:48], v[13:14], off
	global_store_dwordx2 v[49:50], v[15:16], off
	s_and_saveexec_b64 s[20:21], s[2:3]
	s_cbranch_execz .LBB171_16
; %bb.15:                               ;   in Loop: Header=BB171_5 Depth=1
	v_add_u32_e32 v7, v41, v40
	v_add_u32_e32 v1, s28, v7
	v_lshlrev_b64 v[13:14], 3, v[1:2]
	v_add_u32_e32 v1, s29, v7
	v_mov_b32_e32 v43, s9
	v_add_co_u32_e32 v13, vcc, s8, v13
	v_lshlrev_b64 v[15:16], 3, v[1:2]
	v_addc_co_u32_e32 v14, vcc, v43, v14, vcc
	v_add_co_u32_e32 v15, vcc, s8, v15
	v_addc_co_u32_e32 v16, vcc, v43, v16, vcc
	global_load_dwordx2 v[25:26], v[13:14], off
	global_load_dwordx2 v[27:28], v[15:16], off
	v_mul_f64 v[5:6], v[5:6], v[11:12]
	v_mul_f64 v[3:4], v[3:4], v[11:12]
	v_add_u32_e32 v1, s30, v7
	v_ashrrev_i32_e32 v8, 31, v7
	v_mul_f64 v[11:12], v[5:6], v[35:36]
	v_mul_f64 v[35:36], v[5:6], v[37:38]
	v_mov_b32_e32 v37, s15
	v_mul_f64 v[19:20], v[5:6], v[19:20]
	v_fma_f64 v[11:12], v[3:4], v[31:32], -v[11:12]
	v_fma_f64 v[31:32], v[3:4], v[33:34], -v[35:36]
	v_lshlrev_b64 v[35:36], 3, v[1:2]
	v_add_u32_e32 v1, s31, v7
	v_lshlrev_b64 v[33:34], 3, v[7:8]
	v_lshlrev_b64 v[7:8], 3, v[1:2]
	s_waitcnt vmcnt(1)
	v_add_f64 v[11:12], v[11:12], v[25:26]
	s_waitcnt vmcnt(0)
	v_add_f64 v[25:26], v[31:32], v[27:28]
	v_add_co_u32_e32 v27, vcc, s8, v35
	v_addc_co_u32_e32 v28, vcc, v43, v36, vcc
	v_add_co_u32_e32 v31, vcc, s8, v7
	v_addc_co_u32_e32 v32, vcc, v43, v8, vcc
	global_store_dwordx2 v[13:14], v[11:12], off
	global_store_dwordx2 v[15:16], v[25:26], off
	v_add_co_u32_e32 v13, vcc, s14, v33
	v_addc_co_u32_e32 v14, vcc, v37, v34, vcc
	global_load_dwordx2 v[7:8], v[27:28], off
	global_load_dwordx2 v[11:12], v[31:32], off
	v_mul_f64 v[15:16], v[5:6], v[21:22]
	global_load_dwordx2 v[13:14], v[13:14], off
	v_mul_f64 v[5:6], v[9:10], v[5:6]
	v_fma_f64 v[15:16], v[3:4], v[17:18], -v[15:16]
	v_fma_f64 v[3:4], v[3:4], v[23:24], -v[19:20]
	s_waitcnt vmcnt(2)
	v_add_f64 v[9:10], v[15:16], v[7:8]
	s_waitcnt vmcnt(1)
	v_add_f64 v[3:4], v[3:4], v[11:12]
	global_store_dwordx2 v[27:28], v[9:10], off
	global_store_dwordx2 v[31:32], v[3:4], off
	s_waitcnt vmcnt(2)
	v_fma_f64 v[7:8], -v[29:30], v[5:6], v[13:14]
.LBB171_16:                             ;   in Loop: Header=BB171_5 Depth=1
	s_or_b64 exec, exec, s[20:21]
	v_mov_b32_e32 v5, v7
	v_mov_b32_e32 v6, v8
                                        ; implicit-def: $vgpr3_vgpr4
                                        ; implicit-def: $vgpr7_vgpr8
                                        ; implicit-def: $vgpr29_vgpr30
                                        ; implicit-def: $vgpr21_vgpr22
                                        ; implicit-def: $vgpr31_vgpr32
                                        ; implicit-def: $vgpr17_vgpr18
                                        ; implicit-def: $vgpr23_vgpr24
                                        ; implicit-def: $vgpr19_vgpr20
                                        ; implicit-def: $vgpr25_vgpr26
                                        ; implicit-def: $vgpr15_vgpr16
                                        ; implicit-def: $vgpr27_vgpr28
.LBB171_17:                             ;   in Loop: Header=BB171_5 Depth=1
	s_or_saveexec_b64 s[2:3], s[4:5]
	v_mov_b32_e32 v1, s27
	s_xor_b64 exec, exec, s[2:3]
	s_cbranch_execz .LBB171_4
; %bb.18:                               ;   in Loop: Header=BB171_5 Depth=1
	v_div_scale_f64 v[9:10], s[4:5], v[5:6], v[5:6], 1.0
	v_rcp_f64_e32 v[11:12], v[9:10]
	v_fma_f64 v[13:14], -v[9:10], v[11:12], 1.0
	v_fma_f64 v[11:12], v[11:12], v[13:14], v[11:12]
	v_div_scale_f64 v[13:14], vcc, 1.0, v[5:6], 1.0
	v_fma_f64 v[33:34], -v[9:10], v[11:12], 1.0
	v_fma_f64 v[11:12], v[11:12], v[33:34], v[11:12]
	v_mul_f64 v[33:34], v[13:14], v[11:12]
	v_fma_f64 v[9:10], -v[9:10], v[33:34], v[13:14]
	v_div_fmas_f64 v[9:10], v[9:10], v[11:12], v[33:34]
	v_div_fixup_f64 v[5:6], v[9:10], v[5:6], 1.0
	s_waitcnt vmcnt(3)
	v_mul_f64 v[13:14], v[5:6], v[31:32]
	s_waitcnt vmcnt(2)
	v_mul_f64 v[23:24], v[5:6], v[23:24]
	;; [unrolled: 2-line block ×4, first 2 shown]
	global_store_dwordx2 v[21:22], v[13:14], off
	global_store_dwordx2 v[17:18], v[23:24], off
	;; [unrolled: 1-line block ×4, first 2 shown]
	s_and_saveexec_b64 s[4:5], s[0:1]
	s_cbranch_execz .LBB171_3
; %bb.19:                               ;   in Loop: Header=BB171_5 Depth=1
	v_add_u32_e32 v27, v39, v40
	v_add_u32_e32 v1, s28, v27
	v_lshlrev_b64 v[15:16], 3, v[1:2]
	v_add_u32_e32 v1, s29, v27
	v_mov_b32_e32 v31, s9
	v_add_co_u32_e32 v15, vcc, s8, v15
	v_lshlrev_b64 v[17:18], 3, v[1:2]
	v_addc_co_u32_e32 v16, vcc, v31, v16, vcc
	v_add_co_u32_e32 v17, vcc, s8, v17
	v_addc_co_u32_e32 v18, vcc, v31, v18, vcc
	global_load_dwordx2 v[19:20], v[15:16], off
	global_load_dwordx2 v[21:22], v[17:18], off
	v_add_u32_e32 v1, s30, v27
	v_lshlrev_b64 v[25:26], 3, v[1:2]
	v_add_u32_e32 v1, s31, v27
	v_lshlrev_b64 v[27:28], 3, v[1:2]
	s_waitcnt vmcnt(1)
	v_fma_f64 v[13:14], -v[3:4], v[13:14], v[19:20]
	s_waitcnt vmcnt(0)
	v_fma_f64 v[19:20], -v[3:4], v[23:24], v[21:22]
	v_add_co_u32_e32 v21, vcc, s8, v25
	v_addc_co_u32_e32 v22, vcc, v31, v26, vcc
	v_add_co_u32_e32 v23, vcc, s8, v27
	global_store_dwordx2 v[15:16], v[13:14], off
	global_store_dwordx2 v[17:18], v[19:20], off
	v_addc_co_u32_e32 v24, vcc, v31, v28, vcc
	global_load_dwordx2 v[13:14], v[21:22], off
	global_load_dwordx2 v[15:16], v[23:24], off
	s_waitcnt vmcnt(1)
	v_fma_f64 v[9:10], -v[3:4], v[9:10], v[13:14]
	s_waitcnt vmcnt(0)
	v_fma_f64 v[3:4], -v[3:4], v[11:12], v[15:16]
	global_store_dwordx2 v[21:22], v[9:10], off
	global_store_dwordx2 v[23:24], v[3:4], off
	s_branch .LBB171_3
.LBB171_20:
	s_or_b64 exec, exec, s[18:19]
	s_branch .LBB171_22
.LBB171_21:
	v_mov_b32_e32 v40, 0
.LBB171_22:
	v_subrev_u32_e32 v3, s22, v40
	v_add_u32_e32 v1, v3, v0
	v_ashrrev_i32_e32 v2, 31, v1
	v_lshlrev_b64 v[1:2], 2, v[1:2]
	s_waitcnt lgkmcnt(0)
	v_mov_b32_e32 v4, s17
	v_add_co_u32_e32 v1, vcc, s16, v1
	v_addc_co_u32_e32 v2, vcc, v4, v2, vcc
	s_waitcnt vmcnt(0)
	buffer_wbinvl1_vol
	global_load_dword v1, v[1:2], off
	s_waitcnt vmcnt(0)
	v_mul_lo_u32 v1, v1, s22
	v_sub_u32_e32 v7, v3, v1
	v_cmp_lt_i32_e32 vcc, -1, v7
	s_and_b64 exec, exec, vcc
	s_cbranch_execz .LBB171_29
; %bb.23:
	s_lshl_b32 s4, s24, 2
	s_add_i32 s5, s4, s23
	s_add_i32 s6, s5, s23
	s_add_i32 s7, s6, s23
	s_lshl_b32 s12, s22, 1
	s_mov_b64 s[0:1], 0
	v_mov_b32_e32 v8, s17
	v_mov_b32_e32 v9, s11
	;; [unrolled: 1-line block ×3, first 2 shown]
	s_branch .LBB171_25
.LBB171_24:                             ;   in Loop: Header=BB171_25 Depth=1
	s_or_b64 exec, exec, s[2:3]
	v_sub_u32_e32 v7, v7, v1
	v_cmp_gt_i32_e32 vcc, 0, v7
	s_or_b64 s[0:1], vcc, s[0:1]
	s_andn2_b64 exec, exec, s[0:1]
	s_cbranch_execz .LBB171_29
.LBB171_25:                             ; =>This Inner Loop Header: Depth=1
	v_add_u32_e32 v5, v7, v0
	v_ashrrev_i32_e32 v6, 31, v5
	s_waitcnt vmcnt(0)
	v_lshlrev_b64 v[3:4], 2, v[5:6]
	v_add_co_u32_e32 v3, vcc, s16, v3
	v_addc_co_u32_e32 v4, vcc, v8, v4, vcc
	global_load_dword v1, v[3:4], off
	v_lshlrev_b64 v[3:4], 3, v[5:6]
	v_add_co_u32_e32 v3, vcc, s10, v3
	v_addc_co_u32_e32 v4, vcc, v9, v4, vcc
	global_load_dwordx2 v[3:4], v[3:4], off
	s_waitcnt vmcnt(1)
	v_cmp_ne_u32_e32 vcc, 1, v1
	s_and_saveexec_b64 s[2:3], vcc
	s_xor_b64 s[2:3], exec, s[2:3]
	s_cbranch_execz .LBB171_27
; %bb.26:                               ;   in Loop: Header=BB171_25 Depth=1
	v_add_u32_e32 v6, v39, v7
	v_add_u32_e32 v1, s4, v6
	v_lshlrev_b64 v[10:11], 3, v[1:2]
	v_mov_b32_e32 v1, s9
	v_add_co_u32_e32 v10, vcc, s8, v10
	v_addc_co_u32_e32 v11, vcc, v1, v11, vcc
	v_add_u32_e32 v1, s5, v6
	v_lshlrev_b64 v[12:13], 3, v[1:2]
	v_add_u32_e32 v1, s6, v6
	v_lshlrev_b64 v[14:15], 3, v[1:2]
	;; [unrolled: 2-line block ×4, first 2 shown]
	v_mov_b32_e32 v1, s9
	v_add_co_u32_e32 v18, vcc, s8, v18
	v_addc_co_u32_e32 v19, vcc, v1, v19, vcc
	global_load_dwordx2 v[10:11], v[10:11], off
	v_add_co_u32_e32 v12, vcc, s8, v12
	global_load_dwordx2 v[20:21], v[18:19], off
	v_addc_co_u32_e32 v13, vcc, v1, v13, vcc
	v_mov_b32_e32 v6, s9
	v_add_co_u32_e32 v14, vcc, s8, v14
	v_addc_co_u32_e32 v15, vcc, v6, v15, vcc
	v_mov_b32_e32 v22, s9
	v_add_co_u32_e32 v16, vcc, s8, v16
	v_addc_co_u32_e32 v17, vcc, v22, v17, vcc
	global_load_dwordx2 v[22:23], v[12:13], off
	global_load_dwordx2 v[24:25], v[14:15], off
	;; [unrolled: 1-line block ×3, first 2 shown]
	v_add_u32_e32 v1, s5, v5
	v_lshlrev_b64 v[14:15], 3, v[1:2]
	v_add_u32_e32 v1, s6, v5
	v_add_co_u32_e32 v14, vcc, s8, v14
	v_addc_co_u32_e32 v15, vcc, v6, v15, vcc
	v_lshlrev_b64 v[16:17], 3, v[1:2]
	v_add_u32_e32 v1, s7, v5
	v_add_co_u32_e32 v16, vcc, s8, v16
	v_addc_co_u32_e32 v17, vcc, v6, v17, vcc
	v_lshlrev_b64 v[5:6], 3, v[1:2]
	v_subrev_u32_e32 v1, s22, v7
	v_add_co_u32_e32 v5, vcc, s8, v5
	s_waitcnt vmcnt(3)
	v_fma_f64 v[12:13], -v[3:4], v[10:11], v[20:21]
	global_store_dwordx2 v[18:19], v[12:13], off
	global_load_dwordx2 v[12:13], v[14:15], off
	s_waitcnt vmcnt(0)
	v_fma_f64 v[12:13], -v[3:4], v[22:23], v[12:13]
	global_store_dwordx2 v[14:15], v[12:13], off
	global_load_dwordx2 v[12:13], v[16:17], off
	v_mov_b32_e32 v14, s9
	v_addc_co_u32_e32 v6, vcc, v14, v6, vcc
	v_add_u32_e32 v14, v1, v0
	v_ashrrev_i32_e32 v15, 31, v14
	v_add_u32_e32 v1, s4, v14
	s_waitcnt vmcnt(0)
	v_fma_f64 v[12:13], -v[3:4], v[24:25], v[12:13]
	global_store_dwordx2 v[16:17], v[12:13], off
	global_load_dwordx2 v[12:13], v[5:6], off
	v_lshlrev_b64 v[15:16], 3, v[14:15]
	v_mov_b32_e32 v17, s9
	v_add_co_u32_e32 v15, vcc, s10, v15
	v_addc_co_u32_e32 v16, vcc, v9, v16, vcc
	s_waitcnt vmcnt(0)
	v_fma_f64 v[3:4], -v[3:4], v[26:27], v[12:13]
	global_load_dwordx2 v[12:13], v[15:16], off
	v_lshlrev_b64 v[15:16], 3, v[1:2]
	v_add_u32_e32 v1, s5, v14
	v_add_co_u32_e32 v15, vcc, s8, v15
	v_addc_co_u32_e32 v16, vcc, v17, v16, vcc
	global_store_dwordx2 v[5:6], v[3:4], off
	global_load_dwordx2 v[3:4], v[15:16], off
	v_lshlrev_b64 v[5:6], 3, v[1:2]
	v_add_u32_e32 v1, s6, v14
	v_add_co_u32_e32 v5, vcc, s8, v5
	s_waitcnt vmcnt(0)
	v_fma_f64 v[3:4], -v[12:13], v[10:11], v[3:4]
	v_mov_b32_e32 v10, s9
	v_addc_co_u32_e32 v6, vcc, v10, v6, vcc
	v_lshlrev_b64 v[10:11], 3, v[1:2]
	v_add_u32_e32 v1, s7, v14
	v_add_co_u32_e32 v10, vcc, s8, v10
	global_store_dwordx2 v[15:16], v[3:4], off
	global_load_dwordx2 v[3:4], v[5:6], off
	v_mov_b32_e32 v15, s9
	v_addc_co_u32_e32 v11, vcc, v15, v11, vcc
	s_waitcnt vmcnt(0)
	v_fma_f64 v[3:4], -v[12:13], v[22:23], v[3:4]
	global_store_dwordx2 v[5:6], v[3:4], off
	global_load_dwordx2 v[3:4], v[10:11], off
	v_lshlrev_b64 v[5:6], 3, v[1:2]
	s_waitcnt vmcnt(0)
	v_fma_f64 v[3:4], -v[12:13], v[24:25], v[3:4]
	global_store_dwordx2 v[10:11], v[3:4], off
	v_add_co_u32_e32 v3, vcc, s8, v5
	v_addc_co_u32_e32 v4, vcc, v15, v6, vcc
	global_load_dwordx2 v[5:6], v[3:4], off
	s_waitcnt vmcnt(0)
	v_fma_f64 v[5:6], -v[12:13], v[26:27], v[5:6]
	global_store_dwordx2 v[3:4], v[5:6], off
                                        ; implicit-def: $vgpr5
                                        ; implicit-def: $vgpr3_vgpr4
.LBB171_27:                             ;   in Loop: Header=BB171_25 Depth=1
	s_or_saveexec_b64 s[2:3], s[2:3]
	v_mov_b32_e32 v1, s12
	s_xor_b64 exec, exec, s[2:3]
	s_cbranch_execz .LBB171_24
; %bb.28:                               ;   in Loop: Header=BB171_25 Depth=1
	v_add_u32_e32 v6, v39, v7
	v_add_u32_e32 v1, s4, v6
	v_lshlrev_b64 v[10:11], 3, v[1:2]
	v_mov_b32_e32 v1, s9
	v_add_co_u32_e32 v10, vcc, s8, v10
	v_addc_co_u32_e32 v11, vcc, v1, v11, vcc
	v_add_u32_e32 v1, s4, v5
	v_lshlrev_b64 v[12:13], 3, v[1:2]
	v_mov_b32_e32 v1, s9
	v_add_co_u32_e32 v12, vcc, s8, v12
	v_addc_co_u32_e32 v13, vcc, v1, v13, vcc
	global_load_dwordx2 v[14:15], v[10:11], off
	global_load_dwordx2 v[16:17], v[12:13], off
	v_add_u32_e32 v1, s5, v6
	v_lshlrev_b64 v[10:11], 3, v[1:2]
	v_add_u32_e32 v1, s5, v5
	v_mov_b32_e32 v20, s9
	v_lshlrev_b64 v[18:19], 3, v[1:2]
	v_add_co_u32_e32 v10, vcc, s8, v10
	v_addc_co_u32_e32 v11, vcc, v20, v11, vcc
	v_mov_b32_e32 v21, s9
	v_add_u32_e32 v1, s6, v6
	s_waitcnt vmcnt(0)
	v_fma_f64 v[14:15], -v[3:4], v[14:15], v[16:17]
	v_add_co_u32_e32 v16, vcc, s8, v18
	v_addc_co_u32_e32 v17, vcc, v21, v19, vcc
	global_store_dwordx2 v[12:13], v[14:15], off
	global_load_dwordx2 v[12:13], v[10:11], off
	s_nop 0
	global_load_dwordx2 v[14:15], v[16:17], off
	v_lshlrev_b64 v[10:11], 3, v[1:2]
	v_add_u32_e32 v1, s6, v5
	v_lshlrev_b64 v[18:19], 3, v[1:2]
	v_add_co_u32_e32 v10, vcc, s8, v10
	v_addc_co_u32_e32 v11, vcc, v20, v11, vcc
	v_add_u32_e32 v1, s7, v6
	s_waitcnt vmcnt(0)
	v_fma_f64 v[12:13], -v[3:4], v[12:13], v[14:15]
	v_add_co_u32_e32 v14, vcc, s8, v18
	v_addc_co_u32_e32 v15, vcc, v21, v19, vcc
	v_mov_b32_e32 v18, s9
	v_mov_b32_e32 v19, s9
	global_store_dwordx2 v[16:17], v[12:13], off
	global_load_dwordx2 v[12:13], v[10:11], off
	s_nop 0
	global_load_dwordx2 v[16:17], v[14:15], off
	v_lshlrev_b64 v[10:11], 3, v[1:2]
	v_add_u32_e32 v1, s7, v5
	v_lshlrev_b64 v[5:6], 3, v[1:2]
	v_add_co_u32_e32 v10, vcc, s8, v10
	v_addc_co_u32_e32 v11, vcc, v18, v11, vcc
	v_add_co_u32_e32 v5, vcc, s8, v5
	v_addc_co_u32_e32 v6, vcc, v19, v6, vcc
	v_mov_b32_e32 v1, s22
	s_waitcnt vmcnt(0)
	v_fma_f64 v[12:13], -v[3:4], v[12:13], v[16:17]
	global_store_dwordx2 v[14:15], v[12:13], off
	global_load_dwordx2 v[12:13], v[10:11], off
	s_nop 0
	global_load_dwordx2 v[14:15], v[5:6], off
	s_waitcnt vmcnt(0)
	v_fma_f64 v[3:4], -v[3:4], v[12:13], v[14:15]
	global_store_dwordx2 v[5:6], v[3:4], off
	s_branch .LBB171_24
.LBB171_29:
	s_endpgm
	.section	.rodata,"a",@progbits
	.p2align	6, 0x0
	.amdhsa_kernel _ZN9rocsparseL19gtsv_LBM_rhs_kernelILj256ELj256ELj4EdEEviiiPKT2_S3_S3_PS1_S3_PKi
		.amdhsa_group_segment_fixed_size 0
		.amdhsa_private_segment_fixed_size 0
		.amdhsa_kernarg_size 64
		.amdhsa_user_sgpr_count 6
		.amdhsa_user_sgpr_private_segment_buffer 1
		.amdhsa_user_sgpr_dispatch_ptr 0
		.amdhsa_user_sgpr_queue_ptr 0
		.amdhsa_user_sgpr_kernarg_segment_ptr 1
		.amdhsa_user_sgpr_dispatch_id 0
		.amdhsa_user_sgpr_flat_scratch_init 0
		.amdhsa_user_sgpr_private_segment_size 0
		.amdhsa_uses_dynamic_stack 0
		.amdhsa_system_sgpr_private_segment_wavefront_offset 0
		.amdhsa_system_sgpr_workgroup_id_x 1
		.amdhsa_system_sgpr_workgroup_id_y 1
		.amdhsa_system_sgpr_workgroup_id_z 0
		.amdhsa_system_sgpr_workgroup_info 0
		.amdhsa_system_vgpr_workitem_id 0
		.amdhsa_next_free_vgpr 55
		.amdhsa_next_free_sgpr 32
		.amdhsa_reserve_vcc 1
		.amdhsa_reserve_flat_scratch 0
		.amdhsa_float_round_mode_32 0
		.amdhsa_float_round_mode_16_64 0
		.amdhsa_float_denorm_mode_32 3
		.amdhsa_float_denorm_mode_16_64 3
		.amdhsa_dx10_clamp 1
		.amdhsa_ieee_mode 1
		.amdhsa_fp16_overflow 0
		.amdhsa_exception_fp_ieee_invalid_op 0
		.amdhsa_exception_fp_denorm_src 0
		.amdhsa_exception_fp_ieee_div_zero 0
		.amdhsa_exception_fp_ieee_overflow 0
		.amdhsa_exception_fp_ieee_underflow 0
		.amdhsa_exception_fp_ieee_inexact 0
		.amdhsa_exception_int_div_zero 0
	.end_amdhsa_kernel
	.section	.text._ZN9rocsparseL19gtsv_LBM_rhs_kernelILj256ELj256ELj4EdEEviiiPKT2_S3_S3_PS1_S3_PKi,"axG",@progbits,_ZN9rocsparseL19gtsv_LBM_rhs_kernelILj256ELj256ELj4EdEEviiiPKT2_S3_S3_PS1_S3_PKi,comdat
.Lfunc_end171:
	.size	_ZN9rocsparseL19gtsv_LBM_rhs_kernelILj256ELj256ELj4EdEEviiiPKT2_S3_S3_PS1_S3_PKi, .Lfunc_end171-_ZN9rocsparseL19gtsv_LBM_rhs_kernelILj256ELj256ELj4EdEEviiiPKT2_S3_S3_PS1_S3_PKi
                                        ; -- End function
	.set _ZN9rocsparseL19gtsv_LBM_rhs_kernelILj256ELj256ELj4EdEEviiiPKT2_S3_S3_PS1_S3_PKi.num_vgpr, 55
	.set _ZN9rocsparseL19gtsv_LBM_rhs_kernelILj256ELj256ELj4EdEEviiiPKT2_S3_S3_PS1_S3_PKi.num_agpr, 0
	.set _ZN9rocsparseL19gtsv_LBM_rhs_kernelILj256ELj256ELj4EdEEviiiPKT2_S3_S3_PS1_S3_PKi.numbered_sgpr, 32
	.set _ZN9rocsparseL19gtsv_LBM_rhs_kernelILj256ELj256ELj4EdEEviiiPKT2_S3_S3_PS1_S3_PKi.num_named_barrier, 0
	.set _ZN9rocsparseL19gtsv_LBM_rhs_kernelILj256ELj256ELj4EdEEviiiPKT2_S3_S3_PS1_S3_PKi.private_seg_size, 0
	.set _ZN9rocsparseL19gtsv_LBM_rhs_kernelILj256ELj256ELj4EdEEviiiPKT2_S3_S3_PS1_S3_PKi.uses_vcc, 1
	.set _ZN9rocsparseL19gtsv_LBM_rhs_kernelILj256ELj256ELj4EdEEviiiPKT2_S3_S3_PS1_S3_PKi.uses_flat_scratch, 0
	.set _ZN9rocsparseL19gtsv_LBM_rhs_kernelILj256ELj256ELj4EdEEviiiPKT2_S3_S3_PS1_S3_PKi.has_dyn_sized_stack, 0
	.set _ZN9rocsparseL19gtsv_LBM_rhs_kernelILj256ELj256ELj4EdEEviiiPKT2_S3_S3_PS1_S3_PKi.has_recursion, 0
	.set _ZN9rocsparseL19gtsv_LBM_rhs_kernelILj256ELj256ELj4EdEEviiiPKT2_S3_S3_PS1_S3_PKi.has_indirect_call, 0
	.section	.AMDGPU.csdata,"",@progbits
; Kernel info:
; codeLenInByte = 3104
; TotalNumSgprs: 36
; NumVgprs: 55
; ScratchSize: 0
; MemoryBound: 0
; FloatMode: 240
; IeeeMode: 1
; LDSByteSize: 0 bytes/workgroup (compile time only)
; SGPRBlocks: 4
; VGPRBlocks: 13
; NumSGPRsForWavesPerEU: 36
; NumVGPRsForWavesPerEU: 55
; Occupancy: 4
; WaveLimiterHint : 0
; COMPUTE_PGM_RSRC2:SCRATCH_EN: 0
; COMPUTE_PGM_RSRC2:USER_SGPR: 6
; COMPUTE_PGM_RSRC2:TRAP_HANDLER: 0
; COMPUTE_PGM_RSRC2:TGID_X_EN: 1
; COMPUTE_PGM_RSRC2:TGID_Y_EN: 1
; COMPUTE_PGM_RSRC2:TGID_Z_EN: 0
; COMPUTE_PGM_RSRC2:TIDIG_COMP_CNT: 0
	.section	.text._ZN9rocsparseL19gtsv_LBM_rhs_kernelILj256ELj256ELj2EdEEviiiPKT2_S3_S3_PS1_S3_PKi,"axG",@progbits,_ZN9rocsparseL19gtsv_LBM_rhs_kernelILj256ELj256ELj2EdEEviiiPKT2_S3_S3_PS1_S3_PKi,comdat
	.globl	_ZN9rocsparseL19gtsv_LBM_rhs_kernelILj256ELj256ELj2EdEEviiiPKT2_S3_S3_PS1_S3_PKi ; -- Begin function _ZN9rocsparseL19gtsv_LBM_rhs_kernelILj256ELj256ELj2EdEEviiiPKT2_S3_S3_PS1_S3_PKi
	.p2align	8
	.type	_ZN9rocsparseL19gtsv_LBM_rhs_kernelILj256ELj256ELj2EdEEviiiPKT2_S3_S3_PS1_S3_PKi,@function
_ZN9rocsparseL19gtsv_LBM_rhs_kernelILj256ELj256ELj2EdEEviiiPKT2_S3_S3_PS1_S3_PKi: ; @_ZN9rocsparseL19gtsv_LBM_rhs_kernelILj256ELj256ELj2EdEEviiiPKT2_S3_S3_PS1_S3_PKi
; %bb.0:
	s_load_dword s23, s[4:5], 0x0
	v_lshl_or_b32 v0, s6, 8, v0
	s_waitcnt lgkmcnt(0)
	s_lshr_b32 s22, s23, 8
	v_cmp_gt_i32_e32 vcc, s22, v0
	s_and_saveexec_b64 s[0:1], vcc
	s_cbranch_execz .LBB172_29
; %bb.1:
	s_load_dwordx4 s[8:11], s[4:5], 0x28
	s_load_dwordx2 s[16:17], s[4:5], 0x38
	s_cmp_lt_i32 s23, 1
	v_add_u32_e32 v29, s22, v0
	s_mul_i32 s24, s7, s23
	s_cbranch_scc1 .LBB172_21
; %bb.2:
	s_load_dwordx4 s[12:15], s[4:5], 0x10
	s_load_dwordx2 s[6:7], s[4:5], 0x20
	v_ashrrev_i32_e32 v1, 31, v0
	v_lshlrev_b64 v[1:2], 3, v[0:1]
	s_lshl_b32 s28, s24, 1
	s_waitcnt lgkmcnt(0)
	v_mov_b32_e32 v3, s15
	v_add_co_u32_e32 v1, vcc, s14, v1
	v_addc_co_u32_e32 v2, vcc, v3, v2, vcc
	global_load_dwordx2 v[3:4], v[1:2], off
	s_mul_i32 s25, s22, 0xff
	s_mul_i32 s26, s22, 0xfe
	s_lshl_b32 s27, s22, 1
	v_add_u32_e32 v31, s22, v29
	s_add_i32 s29, s28, s23
	v_mov_b32_e32 v2, 0
	s_mov_b64 s[18:19], 0
	v_mov_b32_e32 v32, s7
	v_mov_b32_e32 v30, 0
	s_branch .LBB172_5
.LBB172_3:                              ;   in Loop: Header=BB172_5 Depth=1
	s_or_b64 exec, exec, s[4:5]
	v_fma_f64 v[3:4], -v[3:4], v[21:22], v[7:8]
	v_mov_b32_e32 v1, s22
.LBB172_4:                              ;   in Loop: Header=BB172_5 Depth=1
	s_or_b64 exec, exec, s[2:3]
	v_add_u32_e32 v30, v1, v30
	v_cmp_le_i32_e32 vcc, s23, v30
	s_or_b64 s[18:19], vcc, s[18:19]
	s_andn2_b64 exec, exec, s[18:19]
	s_cbranch_execz .LBB172_20
.LBB172_5:                              ; =>This Inner Loop Header: Depth=1
	v_add_u32_e32 v17, v30, v0
	v_ashrrev_i32_e32 v18, 31, v17
	v_lshlrev_b64 v[5:6], 3, v[17:18]
	v_mov_b32_e32 v7, 0
	v_add_co_u32_e32 v5, vcc, s6, v5
	v_addc_co_u32_e32 v6, vcc, v32, v6, vcc
	global_load_dwordx2 v[13:14], v[5:6], off
	v_mov_b32_e32 v5, 0
	v_mov_b32_e32 v8, 0
	;; [unrolled: 1-line block ×3, first 2 shown]
	v_cmp_gt_u32_e64 s[0:1], s25, v30
	s_and_saveexec_b64 s[2:3], s[0:1]
	s_cbranch_execz .LBB172_7
; %bb.6:                                ;   in Loop: Header=BB172_5 Depth=1
	v_add_u32_e32 v5, v29, v30
	v_ashrrev_i32_e32 v6, 31, v5
	v_lshlrev_b64 v[5:6], 3, v[5:6]
	v_mov_b32_e32 v1, s13
	v_add_co_u32_e32 v5, vcc, s12, v5
	v_addc_co_u32_e32 v6, vcc, v1, v6, vcc
	global_load_dwordx2 v[5:6], v[5:6], off
.LBB172_7:                              ;   in Loop: Header=BB172_5 Depth=1
	s_or_b64 exec, exec, s[2:3]
	s_and_saveexec_b64 s[2:3], s[0:1]
	s_cbranch_execz .LBB172_9
; %bb.8:                                ;   in Loop: Header=BB172_5 Depth=1
	v_add_u32_e32 v7, v29, v30
	v_ashrrev_i32_e32 v8, 31, v7
	v_lshlrev_b64 v[7:8], 3, v[7:8]
	v_mov_b32_e32 v1, s15
	v_add_co_u32_e32 v7, vcc, s14, v7
	v_addc_co_u32_e32 v8, vcc, v1, v8, vcc
	global_load_dwordx2 v[7:8], v[7:8], off
.LBB172_9:                              ;   in Loop: Header=BB172_5 Depth=1
	s_or_b64 exec, exec, s[2:3]
	v_mov_b32_e32 v11, 0
	v_mov_b32_e32 v9, 0
	v_mov_b32_e32 v12, 0
	v_mov_b32_e32 v10, 0
	s_and_saveexec_b64 s[2:3], s[0:1]
	s_cbranch_execz .LBB172_11
; %bb.10:                               ;   in Loop: Header=BB172_5 Depth=1
	v_add_u32_e32 v9, v29, v30
	v_ashrrev_i32_e32 v10, 31, v9
	v_lshlrev_b64 v[9:10], 3, v[9:10]
	v_mov_b32_e32 v1, s7
	v_add_co_u32_e32 v9, vcc, s6, v9
	v_addc_co_u32_e32 v10, vcc, v1, v10, vcc
	global_load_dwordx2 v[9:10], v[9:10], off
.LBB172_11:                             ;   in Loop: Header=BB172_5 Depth=1
	s_or_b64 exec, exec, s[2:3]
	v_cmp_gt_u32_e64 s[2:3], s26, v30
	s_and_saveexec_b64 s[4:5], s[2:3]
	s_cbranch_execz .LBB172_13
; %bb.12:                               ;   in Loop: Header=BB172_5 Depth=1
	v_add_u32_e32 v11, v31, v30
	v_ashrrev_i32_e32 v12, 31, v11
	v_lshlrev_b64 v[11:12], 3, v[11:12]
	v_mov_b32_e32 v1, s13
	v_add_co_u32_e32 v11, vcc, s12, v11
	v_addc_co_u32_e32 v12, vcc, v1, v12, vcc
	global_load_dwordx2 v[11:12], v[11:12], off
.LBB172_13:                             ;   in Loop: Header=BB172_5 Depth=1
	s_or_b64 exec, exec, s[4:5]
	v_lshlrev_b64 v[15:16], 2, v[17:18]
	v_mov_b32_e32 v1, s17
	v_add_co_u32_e32 v15, vcc, s16, v15
	v_addc_co_u32_e32 v16, vcc, v1, v16, vcc
	global_load_dword v1, v[15:16], off
	v_cmp_ne_u32_e64 s[4:5], s25, v30
	s_waitcnt vmcnt(2)
	v_mov_b32_e32 v19, s9
	s_waitcnt vmcnt(1)
	v_mul_f64 v[21:22], v[13:14], v[5:6]
	s_waitcnt vmcnt(0)
	v_cmp_ne_u32_e32 vcc, 1, v1
	v_add_u32_e32 v1, s28, v17
	v_lshlrev_b64 v[15:16], 3, v[1:2]
	v_add_u32_e32 v1, s29, v17
	s_and_b64 s[4:5], s[4:5], vcc
	v_add_co_u32_e32 v15, vcc, s8, v15
	v_lshlrev_b64 v[17:18], 3, v[1:2]
	v_addc_co_u32_e32 v16, vcc, v19, v16, vcc
	v_add_co_u32_e32 v17, vcc, s8, v17
	v_addc_co_u32_e32 v18, vcc, v19, v18, vcc
	global_load_dwordx2 v[23:24], v[15:16], off
	global_load_dwordx2 v[19:20], v[17:18], off
	s_and_saveexec_b64 s[20:21], s[4:5]
	s_xor_b64 s[4:5], exec, s[20:21]
	s_cbranch_execz .LBB172_17
; %bb.14:                               ;   in Loop: Header=BB172_5 Depth=1
	v_fma_f64 v[21:22], v[3:4], v[7:8], -v[21:22]
	v_div_scale_f64 v[25:26], s[20:21], v[21:22], v[21:22], 1.0
	v_rcp_f64_e32 v[27:28], v[25:26]
	v_fma_f64 v[33:34], -v[25:26], v[27:28], 1.0
	v_fma_f64 v[27:28], v[27:28], v[33:34], v[27:28]
	v_fma_f64 v[33:34], -v[25:26], v[27:28], 1.0
	v_fma_f64 v[27:28], v[27:28], v[33:34], v[27:28]
	v_div_scale_f64 v[33:34], vcc, 1.0, v[21:22], 1.0
	v_mul_f64 v[35:36], v[33:34], v[27:28]
	v_fma_f64 v[25:26], -v[25:26], v[35:36], v[33:34]
	s_nop 1
	v_div_fmas_f64 v[25:26], v[25:26], v[27:28], v[35:36]
	v_add_u32_e32 v35, v29, v30
	v_add_u32_e32 v1, s28, v35
	v_lshlrev_b64 v[27:28], 3, v[1:2]
	v_mov_b32_e32 v36, s9
	v_add_co_u32_e32 v33, vcc, s8, v27
	v_addc_co_u32_e32 v34, vcc, v36, v28, vcc
	v_add_u32_e32 v1, s29, v35
	v_lshlrev_b64 v[27:28], 3, v[1:2]
	v_add_co_u32_e32 v35, vcc, s8, v27
	v_addc_co_u32_e32 v36, vcc, v36, v28, vcc
	v_div_fixup_f64 v[21:22], v[25:26], v[21:22], 1.0
	global_load_dwordx2 v[25:26], v[33:34], off
	global_load_dwordx2 v[37:38], v[35:36], off
	s_waitcnt vmcnt(3)
	v_mul_f64 v[23:24], v[21:22], v[23:24]
	s_waitcnt vmcnt(1)
	v_mul_f64 v[25:26], v[21:22], v[25:26]
	v_mul_f64 v[27:28], v[13:14], v[25:26]
	v_fma_f64 v[27:28], v[7:8], v[23:24], -v[27:28]
	global_store_dwordx2 v[15:16], v[27:28], off
	s_waitcnt vmcnt(1)
	v_mul_f64 v[27:28], v[21:22], v[37:38]
	v_mul_f64 v[15:16], v[21:22], v[19:20]
	;; [unrolled: 1-line block ×3, first 2 shown]
	v_fma_f64 v[7:8], v[7:8], v[15:16], -v[13:14]
	global_store_dwordx2 v[17:18], v[7:8], off
	v_mul_f64 v[7:8], v[5:6], v[23:24]
	v_fma_f64 v[7:8], v[3:4], v[25:26], -v[7:8]
	global_store_dwordx2 v[33:34], v[7:8], off
	v_mul_f64 v[7:8], v[5:6], v[15:16]
	v_fma_f64 v[13:14], v[3:4], v[27:28], -v[7:8]
	v_mov_b32_e32 v7, 0
	v_mov_b32_e32 v8, 0
	global_store_dwordx2 v[35:36], v[13:14], off
	s_and_saveexec_b64 s[20:21], s[2:3]
	s_cbranch_execz .LBB172_16
; %bb.15:                               ;   in Loop: Header=BB172_5 Depth=1
	v_add_u32_e32 v7, v31, v30
	v_add_u32_e32 v1, s28, v7
	v_lshlrev_b64 v[13:14], 3, v[1:2]
	v_add_u32_e32 v1, s29, v7
	v_mov_b32_e32 v8, s9
	v_add_co_u32_e32 v13, vcc, s8, v13
	v_lshlrev_b64 v[17:18], 3, v[1:2]
	v_addc_co_u32_e32 v14, vcc, v8, v14, vcc
	v_add_co_u32_e32 v17, vcc, s8, v17
	v_addc_co_u32_e32 v18, vcc, v8, v18, vcc
	v_ashrrev_i32_e32 v8, 31, v7
	v_lshlrev_b64 v[7:8], 3, v[7:8]
	v_mov_b32_e32 v1, s15
	v_add_co_u32_e32 v7, vcc, s14, v7
	v_addc_co_u32_e32 v8, vcc, v1, v8, vcc
	global_load_dwordx2 v[19:20], v[13:14], off
	global_load_dwordx2 v[33:34], v[17:18], off
	v_mul_f64 v[3:4], v[3:4], v[11:12]
	global_load_dwordx2 v[7:8], v[7:8], off
	v_mul_f64 v[5:6], v[5:6], v[11:12]
	v_mul_f64 v[11:12], v[3:4], v[25:26]
	;; [unrolled: 1-line block ×4, first 2 shown]
	v_fma_f64 v[11:12], v[5:6], v[23:24], -v[11:12]
	v_fma_f64 v[5:6], v[5:6], v[15:16], -v[25:26]
	s_waitcnt vmcnt(2)
	v_add_f64 v[9:10], v[11:12], v[19:20]
	s_waitcnt vmcnt(1)
	v_add_f64 v[5:6], v[5:6], v[33:34]
	global_store_dwordx2 v[13:14], v[9:10], off
	global_store_dwordx2 v[17:18], v[5:6], off
	s_waitcnt vmcnt(2)
	v_fma_f64 v[7:8], -v[21:22], v[3:4], v[7:8]
.LBB172_16:                             ;   in Loop: Header=BB172_5 Depth=1
	s_or_b64 exec, exec, s[20:21]
	v_mov_b32_e32 v3, v7
	v_mov_b32_e32 v4, v8
                                        ; implicit-def: $vgpr21_vgpr22
                                        ; implicit-def: $vgpr7_vgpr8
                                        ; implicit-def: $vgpr23_vgpr24
                                        ; implicit-def: $vgpr19_vgpr20
                                        ; implicit-def: $vgpr15_vgpr16
                                        ; implicit-def: $vgpr17_vgpr18
                                        ; implicit-def: $vgpr5_vgpr6
.LBB172_17:                             ;   in Loop: Header=BB172_5 Depth=1
	s_or_saveexec_b64 s[2:3], s[4:5]
	v_mov_b32_e32 v1, s27
	s_xor_b64 exec, exec, s[2:3]
	s_cbranch_execz .LBB172_4
; %bb.18:                               ;   in Loop: Header=BB172_5 Depth=1
	v_div_scale_f64 v[9:10], s[4:5], v[3:4], v[3:4], 1.0
	v_rcp_f64_e32 v[11:12], v[9:10]
	v_fma_f64 v[13:14], -v[9:10], v[11:12], 1.0
	v_fma_f64 v[11:12], v[11:12], v[13:14], v[11:12]
	v_div_scale_f64 v[13:14], vcc, 1.0, v[3:4], 1.0
	v_fma_f64 v[25:26], -v[9:10], v[11:12], 1.0
	v_fma_f64 v[11:12], v[11:12], v[25:26], v[11:12]
	v_mul_f64 v[25:26], v[13:14], v[11:12]
	v_fma_f64 v[9:10], -v[9:10], v[25:26], v[13:14]
	v_div_fmas_f64 v[9:10], v[9:10], v[11:12], v[25:26]
	v_div_fixup_f64 v[3:4], v[9:10], v[3:4], 1.0
	s_waitcnt vmcnt(1)
	v_mul_f64 v[9:10], v[3:4], v[23:24]
	s_waitcnt vmcnt(0)
	v_mul_f64 v[11:12], v[3:4], v[19:20]
	global_store_dwordx2 v[15:16], v[9:10], off
	global_store_dwordx2 v[17:18], v[11:12], off
	s_and_saveexec_b64 s[4:5], s[0:1]
	s_cbranch_execz .LBB172_3
; %bb.19:                               ;   in Loop: Header=BB172_5 Depth=1
	v_add_u32_e32 v15, v29, v30
	v_add_u32_e32 v1, s28, v15
	v_lshlrev_b64 v[13:14], 3, v[1:2]
	v_add_u32_e32 v1, s29, v15
	v_mov_b32_e32 v17, s9
	v_add_co_u32_e32 v13, vcc, s8, v13
	v_lshlrev_b64 v[15:16], 3, v[1:2]
	v_addc_co_u32_e32 v14, vcc, v17, v14, vcc
	v_add_co_u32_e32 v15, vcc, s8, v15
	v_addc_co_u32_e32 v16, vcc, v17, v16, vcc
	global_load_dwordx2 v[17:18], v[13:14], off
	global_load_dwordx2 v[19:20], v[15:16], off
	s_waitcnt vmcnt(1)
	v_fma_f64 v[9:10], -v[5:6], v[9:10], v[17:18]
	s_waitcnt vmcnt(0)
	v_fma_f64 v[5:6], -v[5:6], v[11:12], v[19:20]
	global_store_dwordx2 v[13:14], v[9:10], off
	global_store_dwordx2 v[15:16], v[5:6], off
	s_branch .LBB172_3
.LBB172_20:
	s_or_b64 exec, exec, s[18:19]
	s_branch .LBB172_22
.LBB172_21:
	v_mov_b32_e32 v30, 0
.LBB172_22:
	v_subrev_u32_e32 v3, s22, v30
	v_add_u32_e32 v1, v3, v0
	v_ashrrev_i32_e32 v2, 31, v1
	v_lshlrev_b64 v[1:2], 2, v[1:2]
	s_waitcnt lgkmcnt(0)
	v_mov_b32_e32 v4, s17
	v_add_co_u32_e32 v1, vcc, s16, v1
	v_addc_co_u32_e32 v2, vcc, v4, v2, vcc
	s_waitcnt vmcnt(0)
	buffer_wbinvl1_vol
	global_load_dword v1, v[1:2], off
	s_waitcnt vmcnt(0)
	v_mul_lo_u32 v1, v1, s22
	v_sub_u32_e32 v7, v3, v1
	v_cmp_lt_i32_e32 vcc, -1, v7
	s_and_b64 exec, exec, vcc
	s_cbranch_execz .LBB172_29
; %bb.23:
	s_lshl_b32 s4, s24, 1
	s_add_i32 s5, s4, s23
	s_lshl_b32 s6, s22, 1
	s_mov_b64 s[0:1], 0
	v_mov_b32_e32 v8, s17
	v_mov_b32_e32 v9, s11
	;; [unrolled: 1-line block ×3, first 2 shown]
	s_branch .LBB172_25
.LBB172_24:                             ;   in Loop: Header=BB172_25 Depth=1
	s_or_b64 exec, exec, s[2:3]
	v_sub_u32_e32 v7, v7, v1
	v_cmp_gt_i32_e32 vcc, 0, v7
	s_or_b64 s[0:1], vcc, s[0:1]
	s_andn2_b64 exec, exec, s[0:1]
	s_cbranch_execz .LBB172_29
.LBB172_25:                             ; =>This Inner Loop Header: Depth=1
	v_add_u32_e32 v5, v7, v0
	v_ashrrev_i32_e32 v6, 31, v5
	s_waitcnt vmcnt(0)
	v_lshlrev_b64 v[3:4], 2, v[5:6]
	v_add_co_u32_e32 v3, vcc, s16, v3
	v_addc_co_u32_e32 v4, vcc, v8, v4, vcc
	global_load_dword v1, v[3:4], off
	v_lshlrev_b64 v[3:4], 3, v[5:6]
	v_add_co_u32_e32 v3, vcc, s10, v3
	v_addc_co_u32_e32 v4, vcc, v9, v4, vcc
	global_load_dwordx2 v[3:4], v[3:4], off
	s_waitcnt vmcnt(1)
	v_cmp_ne_u32_e32 vcc, 1, v1
	s_and_saveexec_b64 s[2:3], vcc
	s_xor_b64 s[2:3], exec, s[2:3]
	s_cbranch_execz .LBB172_27
; %bb.26:                               ;   in Loop: Header=BB172_25 Depth=1
	v_add_u32_e32 v6, v29, v7
	v_add_u32_e32 v1, s4, v6
	v_lshlrev_b64 v[10:11], 3, v[1:2]
	v_mov_b32_e32 v1, s9
	v_add_co_u32_e32 v10, vcc, s8, v10
	v_addc_co_u32_e32 v11, vcc, v1, v11, vcc
	v_add_u32_e32 v1, s5, v6
	v_lshlrev_b64 v[12:13], 3, v[1:2]
	v_add_u32_e32 v1, s4, v5
	v_lshlrev_b64 v[14:15], 3, v[1:2]
	v_mov_b32_e32 v1, s9
	v_add_co_u32_e32 v14, vcc, s8, v14
	v_addc_co_u32_e32 v15, vcc, v1, v15, vcc
	global_load_dwordx2 v[16:17], v[10:11], off
	global_load_dwordx2 v[18:19], v[14:15], off
	v_add_co_u32_e32 v10, vcc, s8, v12
	v_addc_co_u32_e32 v11, vcc, v1, v13, vcc
	v_add_u32_e32 v1, s5, v5
	v_lshlrev_b64 v[5:6], 3, v[1:2]
	global_load_dwordx2 v[10:11], v[10:11], off
	v_add_co_u32_e32 v5, vcc, s8, v5
	v_subrev_u32_e32 v1, s22, v7
	v_mov_b32_e32 v20, s9
	s_waitcnt vmcnt(1)
	v_fma_f64 v[12:13], -v[3:4], v[16:17], v[18:19]
	v_mov_b32_e32 v18, s9
	v_addc_co_u32_e32 v6, vcc, v18, v6, vcc
	global_store_dwordx2 v[14:15], v[12:13], off
	global_load_dwordx2 v[12:13], v[5:6], off
	v_add_u32_e32 v14, v1, v0
	v_ashrrev_i32_e32 v15, 31, v14
	v_lshlrev_b64 v[18:19], 3, v[14:15]
	v_add_u32_e32 v1, s4, v14
	v_add_co_u32_e32 v18, vcc, s10, v18
	v_addc_co_u32_e32 v19, vcc, v9, v19, vcc
	v_mov_b32_e32 v15, s9
	s_waitcnt vmcnt(0)
	v_fma_f64 v[3:4], -v[3:4], v[10:11], v[12:13]
	global_load_dwordx2 v[12:13], v[18:19], off
	v_lshlrev_b64 v[18:19], 3, v[1:2]
	v_add_u32_e32 v1, s5, v14
	v_add_co_u32_e32 v18, vcc, s8, v18
	v_addc_co_u32_e32 v19, vcc, v20, v19, vcc
	global_store_dwordx2 v[5:6], v[3:4], off
	global_load_dwordx2 v[3:4], v[18:19], off
	v_lshlrev_b64 v[5:6], 3, v[1:2]
	s_waitcnt vmcnt(0)
	v_fma_f64 v[3:4], -v[12:13], v[16:17], v[3:4]
	global_store_dwordx2 v[18:19], v[3:4], off
	v_add_co_u32_e32 v3, vcc, s8, v5
	v_addc_co_u32_e32 v4, vcc, v15, v6, vcc
	global_load_dwordx2 v[5:6], v[3:4], off
	s_waitcnt vmcnt(0)
	v_fma_f64 v[5:6], -v[12:13], v[10:11], v[5:6]
	global_store_dwordx2 v[3:4], v[5:6], off
                                        ; implicit-def: $vgpr5
                                        ; implicit-def: $vgpr3_vgpr4
.LBB172_27:                             ;   in Loop: Header=BB172_25 Depth=1
	s_or_saveexec_b64 s[2:3], s[2:3]
	v_mov_b32_e32 v1, s6
	s_xor_b64 exec, exec, s[2:3]
	s_cbranch_execz .LBB172_24
; %bb.28:                               ;   in Loop: Header=BB172_25 Depth=1
	v_add_u32_e32 v6, v29, v7
	v_add_u32_e32 v1, s4, v6
	v_lshlrev_b64 v[10:11], 3, v[1:2]
	v_mov_b32_e32 v1, s9
	v_add_co_u32_e32 v10, vcc, s8, v10
	v_addc_co_u32_e32 v11, vcc, v1, v11, vcc
	v_add_u32_e32 v1, s4, v5
	v_lshlrev_b64 v[12:13], 3, v[1:2]
	v_mov_b32_e32 v1, s9
	v_add_co_u32_e32 v12, vcc, s8, v12
	v_addc_co_u32_e32 v13, vcc, v1, v13, vcc
	global_load_dwordx2 v[14:15], v[10:11], off
	global_load_dwordx2 v[16:17], v[12:13], off
	v_add_u32_e32 v1, s5, v6
	v_lshlrev_b64 v[10:11], 3, v[1:2]
	v_add_u32_e32 v1, s5, v5
	v_mov_b32_e32 v18, s9
	v_lshlrev_b64 v[5:6], 3, v[1:2]
	v_add_co_u32_e32 v10, vcc, s8, v10
	v_addc_co_u32_e32 v11, vcc, v18, v11, vcc
	v_mov_b32_e32 v19, s9
	v_add_co_u32_e32 v5, vcc, s8, v5
	v_addc_co_u32_e32 v6, vcc, v19, v6, vcc
	v_mov_b32_e32 v1, s22
	s_waitcnt vmcnt(0)
	v_fma_f64 v[14:15], -v[3:4], v[14:15], v[16:17]
	global_store_dwordx2 v[12:13], v[14:15], off
	global_load_dwordx2 v[12:13], v[10:11], off
	s_nop 0
	global_load_dwordx2 v[14:15], v[5:6], off
	s_waitcnt vmcnt(0)
	v_fma_f64 v[3:4], -v[3:4], v[12:13], v[14:15]
	global_store_dwordx2 v[5:6], v[3:4], off
	s_branch .LBB172_24
.LBB172_29:
	s_endpgm
	.section	.rodata,"a",@progbits
	.p2align	6, 0x0
	.amdhsa_kernel _ZN9rocsparseL19gtsv_LBM_rhs_kernelILj256ELj256ELj2EdEEviiiPKT2_S3_S3_PS1_S3_PKi
		.amdhsa_group_segment_fixed_size 0
		.amdhsa_private_segment_fixed_size 0
		.amdhsa_kernarg_size 64
		.amdhsa_user_sgpr_count 6
		.amdhsa_user_sgpr_private_segment_buffer 1
		.amdhsa_user_sgpr_dispatch_ptr 0
		.amdhsa_user_sgpr_queue_ptr 0
		.amdhsa_user_sgpr_kernarg_segment_ptr 1
		.amdhsa_user_sgpr_dispatch_id 0
		.amdhsa_user_sgpr_flat_scratch_init 0
		.amdhsa_user_sgpr_private_segment_size 0
		.amdhsa_uses_dynamic_stack 0
		.amdhsa_system_sgpr_private_segment_wavefront_offset 0
		.amdhsa_system_sgpr_workgroup_id_x 1
		.amdhsa_system_sgpr_workgroup_id_y 1
		.amdhsa_system_sgpr_workgroup_id_z 0
		.amdhsa_system_sgpr_workgroup_info 0
		.amdhsa_system_vgpr_workitem_id 0
		.amdhsa_next_free_vgpr 39
		.amdhsa_next_free_sgpr 30
		.amdhsa_reserve_vcc 1
		.amdhsa_reserve_flat_scratch 0
		.amdhsa_float_round_mode_32 0
		.amdhsa_float_round_mode_16_64 0
		.amdhsa_float_denorm_mode_32 3
		.amdhsa_float_denorm_mode_16_64 3
		.amdhsa_dx10_clamp 1
		.amdhsa_ieee_mode 1
		.amdhsa_fp16_overflow 0
		.amdhsa_exception_fp_ieee_invalid_op 0
		.amdhsa_exception_fp_denorm_src 0
		.amdhsa_exception_fp_ieee_div_zero 0
		.amdhsa_exception_fp_ieee_overflow 0
		.amdhsa_exception_fp_ieee_underflow 0
		.amdhsa_exception_fp_ieee_inexact 0
		.amdhsa_exception_int_div_zero 0
	.end_amdhsa_kernel
	.section	.text._ZN9rocsparseL19gtsv_LBM_rhs_kernelILj256ELj256ELj2EdEEviiiPKT2_S3_S3_PS1_S3_PKi,"axG",@progbits,_ZN9rocsparseL19gtsv_LBM_rhs_kernelILj256ELj256ELj2EdEEviiiPKT2_S3_S3_PS1_S3_PKi,comdat
.Lfunc_end172:
	.size	_ZN9rocsparseL19gtsv_LBM_rhs_kernelILj256ELj256ELj2EdEEviiiPKT2_S3_S3_PS1_S3_PKi, .Lfunc_end172-_ZN9rocsparseL19gtsv_LBM_rhs_kernelILj256ELj256ELj2EdEEviiiPKT2_S3_S3_PS1_S3_PKi
                                        ; -- End function
	.set _ZN9rocsparseL19gtsv_LBM_rhs_kernelILj256ELj256ELj2EdEEviiiPKT2_S3_S3_PS1_S3_PKi.num_vgpr, 39
	.set _ZN9rocsparseL19gtsv_LBM_rhs_kernelILj256ELj256ELj2EdEEviiiPKT2_S3_S3_PS1_S3_PKi.num_agpr, 0
	.set _ZN9rocsparseL19gtsv_LBM_rhs_kernelILj256ELj256ELj2EdEEviiiPKT2_S3_S3_PS1_S3_PKi.numbered_sgpr, 30
	.set _ZN9rocsparseL19gtsv_LBM_rhs_kernelILj256ELj256ELj2EdEEviiiPKT2_S3_S3_PS1_S3_PKi.num_named_barrier, 0
	.set _ZN9rocsparseL19gtsv_LBM_rhs_kernelILj256ELj256ELj2EdEEviiiPKT2_S3_S3_PS1_S3_PKi.private_seg_size, 0
	.set _ZN9rocsparseL19gtsv_LBM_rhs_kernelILj256ELj256ELj2EdEEviiiPKT2_S3_S3_PS1_S3_PKi.uses_vcc, 1
	.set _ZN9rocsparseL19gtsv_LBM_rhs_kernelILj256ELj256ELj2EdEEviiiPKT2_S3_S3_PS1_S3_PKi.uses_flat_scratch, 0
	.set _ZN9rocsparseL19gtsv_LBM_rhs_kernelILj256ELj256ELj2EdEEviiiPKT2_S3_S3_PS1_S3_PKi.has_dyn_sized_stack, 0
	.set _ZN9rocsparseL19gtsv_LBM_rhs_kernelILj256ELj256ELj2EdEEviiiPKT2_S3_S3_PS1_S3_PKi.has_recursion, 0
	.set _ZN9rocsparseL19gtsv_LBM_rhs_kernelILj256ELj256ELj2EdEEviiiPKT2_S3_S3_PS1_S3_PKi.has_indirect_call, 0
	.section	.AMDGPU.csdata,"",@progbits
; Kernel info:
; codeLenInByte = 2152
; TotalNumSgprs: 34
; NumVgprs: 39
; ScratchSize: 0
; MemoryBound: 0
; FloatMode: 240
; IeeeMode: 1
; LDSByteSize: 0 bytes/workgroup (compile time only)
; SGPRBlocks: 4
; VGPRBlocks: 9
; NumSGPRsForWavesPerEU: 34
; NumVGPRsForWavesPerEU: 39
; Occupancy: 6
; WaveLimiterHint : 0
; COMPUTE_PGM_RSRC2:SCRATCH_EN: 0
; COMPUTE_PGM_RSRC2:USER_SGPR: 6
; COMPUTE_PGM_RSRC2:TRAP_HANDLER: 0
; COMPUTE_PGM_RSRC2:TGID_X_EN: 1
; COMPUTE_PGM_RSRC2:TGID_Y_EN: 1
; COMPUTE_PGM_RSRC2:TGID_Z_EN: 0
; COMPUTE_PGM_RSRC2:TIDIG_COMP_CNT: 0
	.section	.text._ZN9rocsparseL19gtsv_LBM_rhs_kernelILj256ELj256ELj1EdEEviiiPKT2_S3_S3_PS1_S3_PKi,"axG",@progbits,_ZN9rocsparseL19gtsv_LBM_rhs_kernelILj256ELj256ELj1EdEEviiiPKT2_S3_S3_PS1_S3_PKi,comdat
	.globl	_ZN9rocsparseL19gtsv_LBM_rhs_kernelILj256ELj256ELj1EdEEviiiPKT2_S3_S3_PS1_S3_PKi ; -- Begin function _ZN9rocsparseL19gtsv_LBM_rhs_kernelILj256ELj256ELj1EdEEviiiPKT2_S3_S3_PS1_S3_PKi
	.p2align	8
	.type	_ZN9rocsparseL19gtsv_LBM_rhs_kernelILj256ELj256ELj1EdEEviiiPKT2_S3_S3_PS1_S3_PKi,@function
_ZN9rocsparseL19gtsv_LBM_rhs_kernelILj256ELj256ELj1EdEEviiiPKT2_S3_S3_PS1_S3_PKi: ; @_ZN9rocsparseL19gtsv_LBM_rhs_kernelILj256ELj256ELj1EdEEviiiPKT2_S3_S3_PS1_S3_PKi
; %bb.0:
	s_load_dword s24, s[4:5], 0x0
	v_lshl_or_b32 v0, s6, 8, v0
	s_waitcnt lgkmcnt(0)
	s_lshr_b32 s22, s24, 8
	v_cmp_gt_i32_e32 vcc, s22, v0
	s_and_saveexec_b64 s[0:1], vcc
	s_cbranch_execz .LBB173_29
; %bb.1:
	s_load_dwordx4 s[8:11], s[4:5], 0x28
	s_load_dwordx2 s[16:17], s[4:5], 0x38
	s_cmp_lt_i32 s24, 1
	s_mul_i32 s23, s24, s7
	s_cbranch_scc1 .LBB173_21
; %bb.2:
	s_load_dwordx4 s[12:15], s[4:5], 0x10
	s_load_dwordx2 s[6:7], s[4:5], 0x20
	v_ashrrev_i32_e32 v1, 31, v0
	v_lshlrev_b64 v[1:2], 3, v[0:1]
	v_add_u32_e32 v24, s22, v0
	s_waitcnt lgkmcnt(0)
	v_mov_b32_e32 v3, s15
	v_add_co_u32_e32 v1, vcc, s14, v1
	v_addc_co_u32_e32 v2, vcc, v3, v2, vcc
	global_load_dwordx2 v[3:4], v[1:2], off
	s_mul_i32 s25, s22, 0xff
	s_mul_i32 s26, s22, 0xfe
	s_lshl_b32 s27, s22, 1
	v_add_u32_e32 v25, s22, v24
	v_add_u32_e32 v26, s23, v24
	v_mov_b32_e32 v2, 0
	s_mov_b64 s[18:19], 0
	v_mov_b32_e32 v27, s7
	v_mov_b32_e32 v23, 0
	s_branch .LBB173_5
.LBB173_3:                              ;   in Loop: Header=BB173_5 Depth=1
	s_or_b64 exec, exec, s[4:5]
	v_fma_f64 v[3:4], -v[3:4], v[19:20], v[7:8]
	v_mov_b32_e32 v1, s22
.LBB173_4:                              ;   in Loop: Header=BB173_5 Depth=1
	s_or_b64 exec, exec, s[2:3]
	v_add_u32_e32 v23, v1, v23
	v_cmp_le_i32_e32 vcc, s24, v23
	s_or_b64 s[18:19], vcc, s[18:19]
	s_andn2_b64 exec, exec, s[18:19]
	s_cbranch_execz .LBB173_20
.LBB173_5:                              ; =>This Inner Loop Header: Depth=1
	v_add_u32_e32 v15, v23, v0
	v_ashrrev_i32_e32 v16, 31, v15
	v_lshlrev_b64 v[5:6], 3, v[15:16]
	v_mov_b32_e32 v7, 0
	v_add_co_u32_e32 v5, vcc, s6, v5
	v_addc_co_u32_e32 v6, vcc, v27, v6, vcc
	global_load_dwordx2 v[9:10], v[5:6], off
	v_mov_b32_e32 v5, 0
	v_cmp_gt_u32_e64 s[0:1], s25, v23
	v_mov_b32_e32 v8, 0
	v_mov_b32_e32 v6, 0
	s_waitcnt vmcnt(1)
	v_add_u32_e32 v17, v24, v23
	s_and_saveexec_b64 s[2:3], s[0:1]
	s_cbranch_execz .LBB173_7
; %bb.6:                                ;   in Loop: Header=BB173_5 Depth=1
	v_ashrrev_i32_e32 v18, 31, v17
	v_lshlrev_b64 v[5:6], 3, v[17:18]
	v_mov_b32_e32 v1, s13
	v_add_co_u32_e32 v5, vcc, s12, v5
	v_addc_co_u32_e32 v6, vcc, v1, v6, vcc
	global_load_dwordx2 v[5:6], v[5:6], off
.LBB173_7:                              ;   in Loop: Header=BB173_5 Depth=1
	s_or_b64 exec, exec, s[2:3]
	s_and_saveexec_b64 s[2:3], s[0:1]
	s_cbranch_execz .LBB173_9
; %bb.8:                                ;   in Loop: Header=BB173_5 Depth=1
	v_ashrrev_i32_e32 v18, 31, v17
	v_lshlrev_b64 v[7:8], 3, v[17:18]
	v_mov_b32_e32 v1, s15
	v_add_co_u32_e32 v7, vcc, s14, v7
	v_addc_co_u32_e32 v8, vcc, v1, v8, vcc
	global_load_dwordx2 v[7:8], v[7:8], off
.LBB173_9:                              ;   in Loop: Header=BB173_5 Depth=1
	s_or_b64 exec, exec, s[2:3]
	v_mov_b32_e32 v13, 0
	v_mov_b32_e32 v11, 0
	;; [unrolled: 1-line block ×4, first 2 shown]
	s_and_saveexec_b64 s[2:3], s[0:1]
	s_cbranch_execz .LBB173_11
; %bb.10:                               ;   in Loop: Header=BB173_5 Depth=1
	v_ashrrev_i32_e32 v18, 31, v17
	v_lshlrev_b64 v[11:12], 3, v[17:18]
	v_mov_b32_e32 v1, s7
	v_add_co_u32_e32 v11, vcc, s6, v11
	v_addc_co_u32_e32 v12, vcc, v1, v12, vcc
	global_load_dwordx2 v[11:12], v[11:12], off
.LBB173_11:                             ;   in Loop: Header=BB173_5 Depth=1
	s_or_b64 exec, exec, s[2:3]
	v_cmp_gt_u32_e64 s[2:3], s26, v23
	s_and_saveexec_b64 s[4:5], s[2:3]
	s_cbranch_execz .LBB173_13
; %bb.12:                               ;   in Loop: Header=BB173_5 Depth=1
	v_add_u32_e32 v13, v25, v23
	v_ashrrev_i32_e32 v14, 31, v13
	v_lshlrev_b64 v[13:14], 3, v[13:14]
	v_mov_b32_e32 v1, s13
	v_add_co_u32_e32 v13, vcc, s12, v13
	v_addc_co_u32_e32 v14, vcc, v1, v14, vcc
	global_load_dwordx2 v[13:14], v[13:14], off
.LBB173_13:                             ;   in Loop: Header=BB173_5 Depth=1
	s_or_b64 exec, exec, s[4:5]
	v_lshlrev_b64 v[16:17], 2, v[15:16]
	v_mov_b32_e32 v1, s17
	v_add_co_u32_e32 v16, vcc, s16, v16
	v_addc_co_u32_e32 v17, vcc, v1, v17, vcc
	v_add_u32_e32 v1, s23, v15
	global_load_dword v21, v[16:17], off
	v_lshlrev_b64 v[15:16], 3, v[1:2]
	v_mov_b32_e32 v1, s9
	v_add_co_u32_e32 v15, vcc, s8, v15
	v_addc_co_u32_e32 v16, vcc, v1, v16, vcc
	global_load_dwordx2 v[17:18], v[15:16], off
	s_waitcnt vmcnt(2)
	v_mul_f64 v[19:20], v[9:10], v[5:6]
	v_cmp_ne_u32_e64 s[4:5], s25, v23
	s_waitcnt vmcnt(1)
	v_cmp_ne_u32_e32 vcc, 1, v21
	s_and_b64 s[4:5], s[4:5], vcc
	s_and_saveexec_b64 s[20:21], s[4:5]
	s_xor_b64 s[4:5], exec, s[20:21]
	s_cbranch_execz .LBB173_17
; %bb.14:                               ;   in Loop: Header=BB173_5 Depth=1
	v_fma_f64 v[19:20], v[3:4], v[7:8], -v[19:20]
	v_add_u32_e32 v1, v26, v23
	v_div_scale_f64 v[21:22], s[20:21], v[19:20], v[19:20], 1.0
	v_rcp_f64_e32 v[28:29], v[21:22]
	v_fma_f64 v[30:31], -v[21:22], v[28:29], 1.0
	v_fma_f64 v[28:29], v[28:29], v[30:31], v[28:29]
	v_fma_f64 v[30:31], -v[21:22], v[28:29], 1.0
	v_fma_f64 v[28:29], v[28:29], v[30:31], v[28:29]
	v_div_scale_f64 v[30:31], vcc, 1.0, v[19:20], 1.0
	v_mul_f64 v[32:33], v[30:31], v[28:29]
	v_fma_f64 v[21:22], -v[21:22], v[32:33], v[30:31]
	v_mov_b32_e32 v30, s9
	s_nop 0
	v_div_fmas_f64 v[21:22], v[21:22], v[28:29], v[32:33]
	v_lshlrev_b64 v[28:29], 3, v[1:2]
	v_add_co_u32_e32 v28, vcc, s8, v28
	v_addc_co_u32_e32 v29, vcc, v30, v29, vcc
	v_div_fixup_f64 v[19:20], v[21:22], v[19:20], 1.0
	global_load_dwordx2 v[21:22], v[28:29], off
	s_waitcnt vmcnt(1)
	v_mul_f64 v[17:18], v[19:20], v[17:18]
	s_waitcnt vmcnt(0)
	v_mul_f64 v[21:22], v[19:20], v[21:22]
	v_mul_f64 v[9:10], v[9:10], v[21:22]
	v_fma_f64 v[7:8], v[7:8], v[17:18], -v[9:10]
	global_store_dwordx2 v[15:16], v[7:8], off
	v_mul_f64 v[7:8], v[5:6], v[17:18]
	v_fma_f64 v[9:10], v[3:4], v[21:22], -v[7:8]
	v_mov_b32_e32 v7, 0
	v_mov_b32_e32 v8, 0
	global_store_dwordx2 v[28:29], v[9:10], off
	s_and_saveexec_b64 s[20:21], s[2:3]
	s_cbranch_execz .LBB173_16
; %bb.15:                               ;   in Loop: Header=BB173_5 Depth=1
	v_add_u32_e32 v7, v25, v23
	v_add_u32_e32 v1, s23, v7
	v_lshlrev_b64 v[8:9], 3, v[1:2]
	v_mov_b32_e32 v1, s9
	v_add_co_u32_e32 v15, vcc, s8, v8
	v_ashrrev_i32_e32 v8, 31, v7
	v_lshlrev_b64 v[7:8], 3, v[7:8]
	v_addc_co_u32_e32 v16, vcc, v1, v9, vcc
	v_mov_b32_e32 v1, s15
	v_add_co_u32_e32 v7, vcc, s14, v7
	v_addc_co_u32_e32 v8, vcc, v1, v8, vcc
	global_load_dwordx2 v[9:10], v[15:16], off
	v_mul_f64 v[3:4], v[3:4], v[13:14]
	global_load_dwordx2 v[7:8], v[7:8], off
	v_mul_f64 v[5:6], v[5:6], v[13:14]
	v_mul_f64 v[13:14], v[3:4], v[21:22]
	;; [unrolled: 1-line block ×3, first 2 shown]
	v_fma_f64 v[5:6], v[5:6], v[17:18], -v[13:14]
	s_waitcnt vmcnt(1)
	v_add_f64 v[5:6], v[5:6], v[9:10]
	s_waitcnt vmcnt(0)
	v_fma_f64 v[7:8], -v[19:20], v[3:4], v[7:8]
	global_store_dwordx2 v[15:16], v[5:6], off
.LBB173_16:                             ;   in Loop: Header=BB173_5 Depth=1
	s_or_b64 exec, exec, s[20:21]
	v_mov_b32_e32 v3, v7
	v_mov_b32_e32 v4, v8
                                        ; implicit-def: $vgpr19_vgpr20
                                        ; implicit-def: $vgpr7_vgpr8
                                        ; implicit-def: $vgpr17_vgpr18
                                        ; implicit-def: $vgpr15_vgpr16
                                        ; implicit-def: $vgpr5_vgpr6
.LBB173_17:                             ;   in Loop: Header=BB173_5 Depth=1
	s_or_saveexec_b64 s[2:3], s[4:5]
	v_mov_b32_e32 v1, s27
	s_xor_b64 exec, exec, s[2:3]
	s_cbranch_execz .LBB173_4
; %bb.18:                               ;   in Loop: Header=BB173_5 Depth=1
	v_div_scale_f64 v[9:10], s[4:5], v[3:4], v[3:4], 1.0
	v_div_scale_f64 v[21:22], vcc, 1.0, v[3:4], 1.0
	v_rcp_f64_e32 v[11:12], v[9:10]
	v_fma_f64 v[13:14], -v[9:10], v[11:12], 1.0
	v_fma_f64 v[11:12], v[11:12], v[13:14], v[11:12]
	v_fma_f64 v[13:14], -v[9:10], v[11:12], 1.0
	v_fma_f64 v[11:12], v[11:12], v[13:14], v[11:12]
	v_mul_f64 v[13:14], v[21:22], v[11:12]
	v_fma_f64 v[9:10], -v[9:10], v[13:14], v[21:22]
	v_div_fmas_f64 v[9:10], v[9:10], v[11:12], v[13:14]
	v_div_fixup_f64 v[3:4], v[9:10], v[3:4], 1.0
	s_waitcnt vmcnt(0)
	v_mul_f64 v[9:10], v[3:4], v[17:18]
	global_store_dwordx2 v[15:16], v[9:10], off
	s_and_saveexec_b64 s[4:5], s[0:1]
	s_cbranch_execz .LBB173_3
; %bb.19:                               ;   in Loop: Header=BB173_5 Depth=1
	v_add_u32_e32 v1, v26, v23
	v_lshlrev_b64 v[11:12], 3, v[1:2]
	v_mov_b32_e32 v1, s9
	v_add_co_u32_e32 v11, vcc, s8, v11
	v_addc_co_u32_e32 v12, vcc, v1, v12, vcc
	global_load_dwordx2 v[13:14], v[11:12], off
	s_waitcnt vmcnt(0)
	v_fma_f64 v[5:6], -v[5:6], v[9:10], v[13:14]
	global_store_dwordx2 v[11:12], v[5:6], off
	s_branch .LBB173_3
.LBB173_20:
	s_or_b64 exec, exec, s[18:19]
	s_branch .LBB173_22
.LBB173_21:
	v_mov_b32_e32 v23, 0
.LBB173_22:
	v_subrev_u32_e32 v3, s22, v23
	v_add_u32_e32 v1, v3, v0
	v_ashrrev_i32_e32 v2, 31, v1
	v_lshlrev_b64 v[1:2], 2, v[1:2]
	s_waitcnt lgkmcnt(0)
	v_mov_b32_e32 v4, s17
	v_add_co_u32_e32 v1, vcc, s16, v1
	v_addc_co_u32_e32 v2, vcc, v4, v2, vcc
	s_waitcnt vmcnt(0)
	buffer_wbinvl1_vol
	global_load_dword v1, v[1:2], off
	s_waitcnt vmcnt(0)
	v_mul_lo_u32 v1, v1, s22
	v_sub_u32_e32 v7, v3, v1
	v_cmp_lt_i32_e32 vcc, -1, v7
	s_and_b64 exec, exec, vcc
	s_cbranch_execz .LBB173_29
; %bb.23:
	s_add_i32 s0, s23, s22
	v_add_u32_e32 v8, s0, v0
	s_lshl_b32 s4, s22, 1
	s_mov_b64 s[0:1], 0
	v_mov_b32_e32 v9, s17
	v_mov_b32_e32 v10, s11
	;; [unrolled: 1-line block ×3, first 2 shown]
	s_branch .LBB173_25
.LBB173_24:                             ;   in Loop: Header=BB173_25 Depth=1
	s_or_b64 exec, exec, s[2:3]
	v_sub_u32_e32 v7, v7, v1
	v_cmp_gt_i32_e32 vcc, 0, v7
	s_or_b64 s[0:1], vcc, s[0:1]
	s_andn2_b64 exec, exec, s[0:1]
	s_cbranch_execz .LBB173_29
.LBB173_25:                             ; =>This Inner Loop Header: Depth=1
	v_add_u32_e32 v5, v7, v0
	v_ashrrev_i32_e32 v6, 31, v5
	s_waitcnt vmcnt(0)
	v_lshlrev_b64 v[3:4], 2, v[5:6]
	v_add_co_u32_e32 v3, vcc, s16, v3
	v_addc_co_u32_e32 v4, vcc, v9, v4, vcc
	global_load_dword v1, v[3:4], off
	v_lshlrev_b64 v[3:4], 3, v[5:6]
	v_add_co_u32_e32 v3, vcc, s10, v3
	v_addc_co_u32_e32 v4, vcc, v10, v4, vcc
	global_load_dwordx2 v[3:4], v[3:4], off
	s_waitcnt vmcnt(1)
	v_cmp_ne_u32_e32 vcc, 1, v1
	s_and_saveexec_b64 s[2:3], vcc
	s_xor_b64 s[2:3], exec, s[2:3]
	s_cbranch_execz .LBB173_27
; %bb.26:                               ;   in Loop: Header=BB173_25 Depth=1
	v_add_u32_e32 v1, v8, v7
	v_lshlrev_b64 v[11:12], 3, v[1:2]
	v_mov_b32_e32 v1, s9
	v_add_co_u32_e32 v11, vcc, s8, v11
	v_addc_co_u32_e32 v12, vcc, v1, v12, vcc
	v_add_u32_e32 v1, s23, v5
	v_lshlrev_b64 v[5:6], 3, v[1:2]
	v_mov_b32_e32 v1, s9
	v_add_co_u32_e32 v5, vcc, s8, v5
	v_addc_co_u32_e32 v6, vcc, v1, v6, vcc
	global_load_dwordx2 v[13:14], v[11:12], off
	global_load_dwordx2 v[15:16], v[5:6], off
	v_subrev_u32_e32 v1, s22, v7
	v_add_u32_e32 v11, v1, v0
	v_ashrrev_i32_e32 v12, 31, v11
	v_add_u32_e32 v1, s23, v11
	v_lshlrev_b64 v[11:12], 3, v[11:12]
	v_mov_b32_e32 v17, s9
	v_add_co_u32_e32 v11, vcc, s10, v11
	v_addc_co_u32_e32 v12, vcc, v10, v12, vcc
	global_load_dwordx2 v[11:12], v[11:12], off
	s_waitcnt vmcnt(1)
	v_fma_f64 v[3:4], -v[3:4], v[13:14], v[15:16]
	v_lshlrev_b64 v[15:16], 3, v[1:2]
	global_store_dwordx2 v[5:6], v[3:4], off
	v_add_co_u32_e32 v3, vcc, s8, v15
	v_addc_co_u32_e32 v4, vcc, v17, v16, vcc
	global_load_dwordx2 v[5:6], v[3:4], off
	s_waitcnt vmcnt(0)
	v_fma_f64 v[5:6], -v[11:12], v[13:14], v[5:6]
	global_store_dwordx2 v[3:4], v[5:6], off
                                        ; implicit-def: $vgpr5
                                        ; implicit-def: $vgpr3_vgpr4
.LBB173_27:                             ;   in Loop: Header=BB173_25 Depth=1
	s_or_saveexec_b64 s[2:3], s[2:3]
	v_mov_b32_e32 v1, s4
	s_xor_b64 exec, exec, s[2:3]
	s_cbranch_execz .LBB173_24
; %bb.28:                               ;   in Loop: Header=BB173_25 Depth=1
	v_add_u32_e32 v1, v8, v7
	v_lshlrev_b64 v[11:12], 3, v[1:2]
	v_mov_b32_e32 v1, s9
	v_add_co_u32_e32 v11, vcc, s8, v11
	v_addc_co_u32_e32 v12, vcc, v1, v12, vcc
	v_add_u32_e32 v1, s23, v5
	v_lshlrev_b64 v[5:6], 3, v[1:2]
	v_mov_b32_e32 v1, s9
	v_add_co_u32_e32 v5, vcc, s8, v5
	v_addc_co_u32_e32 v6, vcc, v1, v6, vcc
	global_load_dwordx2 v[13:14], v[11:12], off
	global_load_dwordx2 v[15:16], v[5:6], off
	v_mov_b32_e32 v1, s22
	s_waitcnt vmcnt(0)
	v_fma_f64 v[3:4], -v[3:4], v[13:14], v[15:16]
	global_store_dwordx2 v[5:6], v[3:4], off
	s_branch .LBB173_24
.LBB173_29:
	s_endpgm
	.section	.rodata,"a",@progbits
	.p2align	6, 0x0
	.amdhsa_kernel _ZN9rocsparseL19gtsv_LBM_rhs_kernelILj256ELj256ELj1EdEEviiiPKT2_S3_S3_PS1_S3_PKi
		.amdhsa_group_segment_fixed_size 0
		.amdhsa_private_segment_fixed_size 0
		.amdhsa_kernarg_size 64
		.amdhsa_user_sgpr_count 6
		.amdhsa_user_sgpr_private_segment_buffer 1
		.amdhsa_user_sgpr_dispatch_ptr 0
		.amdhsa_user_sgpr_queue_ptr 0
		.amdhsa_user_sgpr_kernarg_segment_ptr 1
		.amdhsa_user_sgpr_dispatch_id 0
		.amdhsa_user_sgpr_flat_scratch_init 0
		.amdhsa_user_sgpr_private_segment_size 0
		.amdhsa_uses_dynamic_stack 0
		.amdhsa_system_sgpr_private_segment_wavefront_offset 0
		.amdhsa_system_sgpr_workgroup_id_x 1
		.amdhsa_system_sgpr_workgroup_id_y 1
		.amdhsa_system_sgpr_workgroup_id_z 0
		.amdhsa_system_sgpr_workgroup_info 0
		.amdhsa_system_vgpr_workitem_id 0
		.amdhsa_next_free_vgpr 34
		.amdhsa_next_free_sgpr 28
		.amdhsa_reserve_vcc 1
		.amdhsa_reserve_flat_scratch 0
		.amdhsa_float_round_mode_32 0
		.amdhsa_float_round_mode_16_64 0
		.amdhsa_float_denorm_mode_32 3
		.amdhsa_float_denorm_mode_16_64 3
		.amdhsa_dx10_clamp 1
		.amdhsa_ieee_mode 1
		.amdhsa_fp16_overflow 0
		.amdhsa_exception_fp_ieee_invalid_op 0
		.amdhsa_exception_fp_denorm_src 0
		.amdhsa_exception_fp_ieee_div_zero 0
		.amdhsa_exception_fp_ieee_overflow 0
		.amdhsa_exception_fp_ieee_underflow 0
		.amdhsa_exception_fp_ieee_inexact 0
		.amdhsa_exception_int_div_zero 0
	.end_amdhsa_kernel
	.section	.text._ZN9rocsparseL19gtsv_LBM_rhs_kernelILj256ELj256ELj1EdEEviiiPKT2_S3_S3_PS1_S3_PKi,"axG",@progbits,_ZN9rocsparseL19gtsv_LBM_rhs_kernelILj256ELj256ELj1EdEEviiiPKT2_S3_S3_PS1_S3_PKi,comdat
.Lfunc_end173:
	.size	_ZN9rocsparseL19gtsv_LBM_rhs_kernelILj256ELj256ELj1EdEEviiiPKT2_S3_S3_PS1_S3_PKi, .Lfunc_end173-_ZN9rocsparseL19gtsv_LBM_rhs_kernelILj256ELj256ELj1EdEEviiiPKT2_S3_S3_PS1_S3_PKi
                                        ; -- End function
	.set _ZN9rocsparseL19gtsv_LBM_rhs_kernelILj256ELj256ELj1EdEEviiiPKT2_S3_S3_PS1_S3_PKi.num_vgpr, 34
	.set _ZN9rocsparseL19gtsv_LBM_rhs_kernelILj256ELj256ELj1EdEEviiiPKT2_S3_S3_PS1_S3_PKi.num_agpr, 0
	.set _ZN9rocsparseL19gtsv_LBM_rhs_kernelILj256ELj256ELj1EdEEviiiPKT2_S3_S3_PS1_S3_PKi.numbered_sgpr, 28
	.set _ZN9rocsparseL19gtsv_LBM_rhs_kernelILj256ELj256ELj1EdEEviiiPKT2_S3_S3_PS1_S3_PKi.num_named_barrier, 0
	.set _ZN9rocsparseL19gtsv_LBM_rhs_kernelILj256ELj256ELj1EdEEviiiPKT2_S3_S3_PS1_S3_PKi.private_seg_size, 0
	.set _ZN9rocsparseL19gtsv_LBM_rhs_kernelILj256ELj256ELj1EdEEviiiPKT2_S3_S3_PS1_S3_PKi.uses_vcc, 1
	.set _ZN9rocsparseL19gtsv_LBM_rhs_kernelILj256ELj256ELj1EdEEviiiPKT2_S3_S3_PS1_S3_PKi.uses_flat_scratch, 0
	.set _ZN9rocsparseL19gtsv_LBM_rhs_kernelILj256ELj256ELj1EdEEviiiPKT2_S3_S3_PS1_S3_PKi.has_dyn_sized_stack, 0
	.set _ZN9rocsparseL19gtsv_LBM_rhs_kernelILj256ELj256ELj1EdEEviiiPKT2_S3_S3_PS1_S3_PKi.has_recursion, 0
	.set _ZN9rocsparseL19gtsv_LBM_rhs_kernelILj256ELj256ELj1EdEEviiiPKT2_S3_S3_PS1_S3_PKi.has_indirect_call, 0
	.section	.AMDGPU.csdata,"",@progbits
; Kernel info:
; codeLenInByte = 1648
; TotalNumSgprs: 32
; NumVgprs: 34
; ScratchSize: 0
; MemoryBound: 0
; FloatMode: 240
; IeeeMode: 1
; LDSByteSize: 0 bytes/workgroup (compile time only)
; SGPRBlocks: 3
; VGPRBlocks: 8
; NumSGPRsForWavesPerEU: 32
; NumVGPRsForWavesPerEU: 34
; Occupancy: 7
; WaveLimiterHint : 0
; COMPUTE_PGM_RSRC2:SCRATCH_EN: 0
; COMPUTE_PGM_RSRC2:USER_SGPR: 6
; COMPUTE_PGM_RSRC2:TRAP_HANDLER: 0
; COMPUTE_PGM_RSRC2:TGID_X_EN: 1
; COMPUTE_PGM_RSRC2:TGID_Y_EN: 1
; COMPUTE_PGM_RSRC2:TGID_Z_EN: 0
; COMPUTE_PGM_RSRC2:TIDIG_COMP_CNT: 0
	.section	.text._ZN9rocsparseL29gtsv_spike_block_level_kernelILj256ELj256EdEEviiiPT1_PKS1_S4_S2_S2_S2_S2_S2_,"axG",@progbits,_ZN9rocsparseL29gtsv_spike_block_level_kernelILj256ELj256EdEEviiiPT1_PKS1_S4_S2_S2_S2_S2_S2_,comdat
	.globl	_ZN9rocsparseL29gtsv_spike_block_level_kernelILj256ELj256EdEEviiiPT1_PKS1_S4_S2_S2_S2_S2_S2_ ; -- Begin function _ZN9rocsparseL29gtsv_spike_block_level_kernelILj256ELj256EdEEviiiPT1_PKS1_S4_S2_S2_S2_S2_S2_
	.p2align	8
	.type	_ZN9rocsparseL29gtsv_spike_block_level_kernelILj256ELj256EdEEviiiPT1_PKS1_S4_S2_S2_S2_S2_S2_,@function
_ZN9rocsparseL29gtsv_spike_block_level_kernelILj256ELj256EdEEviiiPT1_PKS1_S4_S2_S2_S2_S2_S2_: ; @_ZN9rocsparseL29gtsv_spike_block_level_kernelILj256ELj256EdEEviiiPT1_PKS1_S4_S2_S2_S2_S2_S2_
; %bb.0:
	s_load_dword s14, s[4:5], 0x0
	s_load_dwordx2 s[8:9], s[4:5], 0x18
	v_lshl_or_b32 v1, s6, 8, v0
	v_mov_b32_e32 v3, 0
	v_mov_b32_e32 v5, 0
	s_waitcnt lgkmcnt(0)
	s_lshr_b32 s19, s14, 8
	v_mov_b32_e32 v4, 0
	v_mov_b32_e32 v6, 0
	v_cmp_gt_i32_e64 s[0:1], s19, v1
	s_and_saveexec_b64 s[2:3], s[0:1]
	s_cbranch_execz .LBB174_2
; %bb.1:
	v_ashrrev_i32_e32 v2, 31, v1
	v_lshlrev_b64 v[5:6], 3, v[1:2]
	v_mov_b32_e32 v2, s9
	v_add_co_u32_e32 v5, vcc, s8, v5
	v_addc_co_u32_e32 v6, vcc, v2, v6, vcc
	global_load_dwordx2 v[5:6], v[5:6], off
.LBB174_2:
	s_or_b64 exec, exec, s[2:3]
	s_load_dwordx2 s[2:3], s[4:5], 0x20
	v_lshlrev_b32_e32 v9, 3, v0
	v_or_b32_e32 v10, 0x1000, v9
	s_mul_i32 s18, s19, 0xff
	s_waitcnt vmcnt(0)
	ds_write_b64 v9, v[5:6] offset:4096
	s_and_saveexec_b64 s[10:11], s[0:1]
	s_cbranch_execz .LBB174_4
; %bb.3:
	s_mul_i32 s12, s19, 0xff
	v_add_u32_e32 v2, s12, v1
	v_mov_b32_e32 v3, 0
	v_lshlrev_b64 v[2:3], 3, v[2:3]
	v_mov_b32_e32 v4, s9
	v_add_co_u32_e32 v2, vcc, s8, v2
	v_addc_co_u32_e32 v3, vcc, v4, v3, vcc
	global_load_dwordx2 v[3:4], v[2:3], off
.LBB174_4:
	s_or_b64 exec, exec, s[10:11]
	v_mov_b32_e32 v5, 0
	v_mov_b32_e32 v7, 0
	v_mov_b32_e32 v6, 0
	v_mov_b32_e32 v8, 0
	s_waitcnt vmcnt(0)
	ds_write_b64 v10, v[3:4] offset:2048
	s_and_saveexec_b64 s[8:9], s[0:1]
	s_cbranch_execz .LBB174_6
; %bb.5:
	v_ashrrev_i32_e32 v2, 31, v1
	v_lshlrev_b64 v[2:3], 3, v[1:2]
	s_waitcnt lgkmcnt(0)
	v_mov_b32_e32 v4, s3
	v_add_co_u32_e32 v2, vcc, s2, v2
	v_addc_co_u32_e32 v3, vcc, v4, v3, vcc
	global_load_dwordx2 v[7:8], v[2:3], off
.LBB174_6:
	s_or_b64 exec, exec, s[8:9]
	s_load_dwordx2 s[12:13], s[4:5], 0x10
	s_waitcnt vmcnt(0)
	ds_write_b64 v9, v[7:8]
	s_and_saveexec_b64 s[8:9], s[0:1]
	s_cbranch_execz .LBB174_8
; %bb.7:
	s_mul_i32 s10, s19, 0xff
	v_add_u32_e32 v2, s10, v1
	v_mov_b32_e32 v3, 0
	v_lshlrev_b64 v[2:3], 3, v[2:3]
	s_waitcnt lgkmcnt(0)
	v_mov_b32_e32 v4, s3
	v_add_co_u32_e32 v2, vcc, s2, v2
	v_addc_co_u32_e32 v3, vcc, v4, v3, vcc
	global_load_dwordx2 v[5:6], v[2:3], off
.LBB174_8:
	s_or_b64 exec, exec, s[8:9]
	s_waitcnt vmcnt(0)
	ds_write_b64 v9, v[5:6] offset:2048
	v_mov_b32_e32 v5, 0
	s_mul_i32 s14, s14, s7
	v_mov_b32_e32 v7, 0
	v_mov_b32_e32 v6, 0
	;; [unrolled: 1-line block ×3, first 2 shown]
	v_add_u32_e32 v3, s14, v1
	s_waitcnt lgkmcnt(0)
	s_and_saveexec_b64 s[2:3], s[0:1]
	s_cbranch_execz .LBB174_10
; %bb.9:
	v_ashrrev_i32_e32 v4, 31, v3
	v_lshlrev_b64 v[7:8], 3, v[3:4]
	v_mov_b32_e32 v2, s13
	v_add_co_u32_e32 v7, vcc, s12, v7
	v_addc_co_u32_e32 v8, vcc, v2, v8, vcc
	global_load_dwordx2 v[7:8], v[7:8], off
.LBB174_10:
	s_or_b64 exec, exec, s[2:3]
	v_or_b32_e32 v4, 0x2000, v9
	s_waitcnt vmcnt(0)
	ds_write_b64 v9, v[7:8] offset:8192
	s_and_saveexec_b64 s[2:3], s[0:1]
	s_cbranch_execz .LBB174_12
; %bb.11:
	s_mul_i32 s8, s19, 0xff
	s_add_i32 s8, s8, s14
	v_add_u32_e32 v5, s8, v1
	v_mov_b32_e32 v6, 0
	v_lshlrev_b64 v[5:6], 3, v[5:6]
	v_mov_b32_e32 v2, s13
	v_add_co_u32_e32 v5, vcc, s12, v5
	v_addc_co_u32_e32 v6, vcc, v2, v6, vcc
	global_load_dwordx2 v[5:6], v[5:6], off
.LBB174_12:
	s_or_b64 exec, exec, s[2:3]
	s_movk_i32 s2, 0x80
	v_cmp_gt_u32_e32 vcc, s2, v0
	s_waitcnt vmcnt(0)
	ds_write_b64 v4, v[5:6] offset:2048
	s_waitcnt lgkmcnt(0)
	s_barrier
	s_and_saveexec_b64 s[2:3], vcc
	s_cbranch_execz .LBB174_14
; %bb.13:
	v_add_u32_e32 v2, v10, v9
	ds_read_b128 v[5:8], v2
	v_add_u32_e32 v37, v9, v9
	ds_read_b128 v[11:14], v37 offset:2048
	ds_read_b128 v[15:18], v37
	ds_read_b128 v[19:22], v2 offset:2048
	v_add_u32_e32 v38, v4, v9
	s_waitcnt lgkmcnt(2)
	v_fma_f64 v[31:32], -v[7:8], v[11:12], 1.0
	v_div_scale_f64 v[23:24], s[8:9], v[31:32], v[31:32], 1.0
	v_rcp_f64_e32 v[25:26], v[23:24]
	v_fma_f64 v[27:28], -v[23:24], v[25:26], 1.0
	v_fma_f64 v[25:26], v[25:26], v[27:28], v[25:26]
	v_div_scale_f64 v[27:28], vcc, 1.0, v[31:32], 1.0
	v_fma_f64 v[29:30], -v[23:24], v[25:26], 1.0
	v_fma_f64 v[25:26], v[25:26], v[29:30], v[25:26]
	v_mul_f64 v[29:30], v[27:28], v[25:26]
	v_fma_f64 v[23:24], -v[23:24], v[29:30], v[27:28]
	v_div_fmas_f64 v[33:34], v[23:24], v[25:26], v[29:30]
	ds_read_b128 v[23:26], v38 offset:2048
	ds_read_b128 v[27:30], v38
	s_waitcnt lgkmcnt(0)
	v_fma_f64 v[35:36], -v[7:8], v[23:24], v[29:30]
	v_fma_f64 v[23:24], -v[11:12], v[29:30], v[23:24]
	v_mul_f64 v[7:8], v[7:8], v[19:20]
	v_mul_f64 v[11:12], v[11:12], v[17:18]
	v_div_fixup_f64 v[31:32], v[33:34], v[31:32], 1.0
	v_mul_f64 v[29:30], v[35:36], v[31:32]
	v_mul_f64 v[23:24], v[31:32], v[23:24]
	v_mul_f64 v[7:8], v[7:8], -v[31:32]
	v_mul_f64 v[17:18], v[31:32], v[17:18]
	v_mul_f64 v[11:12], v[11:12], -v[31:32]
	v_mul_f64 v[19:20], v[31:32], v[19:20]
	v_fma_f64 v[27:28], -v[29:30], v[15:16], v[27:28]
	v_fma_f64 v[25:26], -v[21:22], v[23:24], v[25:26]
	;; [unrolled: 1-line block ×3, first 2 shown]
	v_mul_f64 v[15:16], v[17:18], -v[15:16]
	v_fma_f64 v[13:14], -v[11:12], v[21:22], v[13:14]
	v_mul_f64 v[21:22], v[19:20], -v[21:22]
	ds_write_b128 v38, v[27:30]
	ds_write_b128 v38, v[23:26] offset:2048
	ds_write_b128 v2, v[5:8]
	ds_write_b128 v37, v[15:18]
	ds_write_b128 v37, v[11:14] offset:2048
	ds_write_b128 v2, v[19:22] offset:2048
.LBB174_14:
	s_or_b64 exec, exec, s[2:3]
	v_cmp_gt_u32_e32 vcc, 64, v0
	s_waitcnt lgkmcnt(0)
	s_barrier
	s_and_saveexec_b64 s[2:3], vcc
	s_cbranch_execz .LBB174_16
; %bb.15:
	v_lshlrev_b32_e32 v2, 5, v0
	v_add_u32_e32 v37, 0x1000, v2
	v_add_u32_e32 v38, 0x800, v2
	ds_read2_b64 v[5:8], v37 offset1:2
	ds_read2_b64 v[11:14], v38 offset0:1 offset1:3
	v_mad_u32_u24 v39, v0, 24, v4
	v_add_u32_e32 v40, 0x800, v39
	v_add_u32_e32 v41, 0x1800, v2
	s_waitcnt lgkmcnt(0)
	v_fma_f64 v[31:32], -v[7:8], v[11:12], 1.0
	v_div_scale_f64 v[15:16], s[8:9], v[31:32], v[31:32], 1.0
	v_rcp_f64_e32 v[17:18], v[15:16]
	v_fma_f64 v[19:20], -v[15:16], v[17:18], 1.0
	v_fma_f64 v[17:18], v[17:18], v[19:20], v[17:18]
	v_div_scale_f64 v[19:20], vcc, 1.0, v[31:32], 1.0
	v_fma_f64 v[21:22], -v[15:16], v[17:18], 1.0
	v_fma_f64 v[17:18], v[17:18], v[21:22], v[17:18]
	v_mul_f64 v[21:22], v[19:20], v[17:18]
	v_fma_f64 v[15:16], -v[15:16], v[21:22], v[19:20]
	v_div_fmas_f64 v[33:34], v[15:16], v[17:18], v[21:22]
	ds_read2_b64 v[15:18], v39 offset1:2
	ds_read2_b64 v[19:22], v40 offset0:1 offset1:3
	ds_read2_b64 v[23:26], v41 offset0:1 offset1:3
	ds_read2_b64 v[27:30], v2 offset1:2
	s_waitcnt lgkmcnt(2)
	v_fma_f64 v[35:36], -v[7:8], v[19:20], v[17:18]
	v_fma_f64 v[17:18], -v[11:12], v[17:18], v[19:20]
	s_waitcnt lgkmcnt(1)
	v_mul_f64 v[7:8], v[7:8], v[23:24]
	s_waitcnt lgkmcnt(0)
	v_mul_f64 v[11:12], v[11:12], v[29:30]
	v_div_fixup_f64 v[31:32], v[33:34], v[31:32], 1.0
	v_mul_f64 v[19:20], v[35:36], v[31:32]
	v_mul_f64 v[17:18], v[31:32], v[17:18]
	v_mul_f64 v[7:8], v[7:8], -v[31:32]
	v_mul_f64 v[29:30], v[31:32], v[29:30]
	v_mul_f64 v[11:12], v[11:12], -v[31:32]
	v_mul_f64 v[23:24], v[31:32], v[23:24]
	v_fma_f64 v[15:16], -v[19:20], v[27:28], v[15:16]
	v_fma_f64 v[21:22], -v[25:26], v[17:18], v[21:22]
	;; [unrolled: 1-line block ×3, first 2 shown]
	v_mul_f64 v[27:28], v[29:30], -v[27:28]
	v_fma_f64 v[13:14], -v[11:12], v[25:26], v[13:14]
	v_mul_f64 v[25:26], v[23:24], -v[25:26]
	ds_write2_b64 v39, v[15:16], v[19:20] offset1:2
	ds_write2_b64 v40, v[17:18], v[21:22] offset0:1 offset1:3
	ds_write2_b64 v37, v[5:6], v[7:8] offset1:2
	ds_write2_b64 v2, v[27:28], v[29:30] offset1:2
	ds_write2_b64 v38, v[11:12], v[13:14] offset0:1 offset1:3
	ds_write2_b64 v41, v[23:24], v[25:26] offset0:1 offset1:3
.LBB174_16:
	s_or_b64 exec, exec, s[2:3]
	v_cmp_gt_u32_e32 vcc, 32, v0
	s_waitcnt lgkmcnt(0)
	s_barrier
	s_and_saveexec_b64 s[2:3], vcc
	s_cbranch_execz .LBB174_18
; %bb.17:
	v_lshlrev_b32_e32 v2, 6, v0
	v_add_u32_e32 v37, 0x1000, v2
	v_add_u32_e32 v38, 0x800, v2
	ds_read2_b64 v[5:8], v37 offset1:4
	ds_read2_b64 v[11:14], v38 offset0:3 offset1:7
	v_add_u32_e32 v39, 0x2800, v2
	v_add_u32_e32 v40, 0x2000, v2
	v_add_u32_e32 v41, 0x1800, v2
	s_waitcnt lgkmcnt(0)
	v_fma_f64 v[31:32], -v[7:8], v[11:12], 1.0
	v_div_scale_f64 v[15:16], s[8:9], v[31:32], v[31:32], 1.0
	v_rcp_f64_e32 v[17:18], v[15:16]
	v_fma_f64 v[19:20], -v[15:16], v[17:18], 1.0
	v_fma_f64 v[17:18], v[17:18], v[19:20], v[17:18]
	v_div_scale_f64 v[19:20], vcc, 1.0, v[31:32], 1.0
	v_fma_f64 v[21:22], -v[15:16], v[17:18], 1.0
	v_fma_f64 v[17:18], v[17:18], v[21:22], v[17:18]
	v_mul_f64 v[21:22], v[19:20], v[17:18]
	v_fma_f64 v[15:16], -v[15:16], v[21:22], v[19:20]
	v_div_fmas_f64 v[33:34], v[15:16], v[17:18], v[21:22]
	ds_read2_b64 v[15:18], v39 offset0:3 offset1:7
	ds_read2_b64 v[19:22], v40 offset1:4
	ds_read2_b64 v[23:26], v41 offset0:3 offset1:7
	ds_read2_b64 v[27:30], v2 offset1:4
	s_waitcnt lgkmcnt(2)
	v_fma_f64 v[35:36], -v[7:8], v[15:16], v[21:22]
	v_fma_f64 v[15:16], -v[11:12], v[21:22], v[15:16]
	s_waitcnt lgkmcnt(1)
	v_mul_f64 v[7:8], v[7:8], v[23:24]
	s_waitcnt lgkmcnt(0)
	v_mul_f64 v[11:12], v[11:12], v[29:30]
	v_div_fixup_f64 v[31:32], v[33:34], v[31:32], 1.0
	v_mul_f64 v[21:22], v[35:36], v[31:32]
	v_mul_f64 v[15:16], v[31:32], v[15:16]
	v_mul_f64 v[7:8], v[7:8], -v[31:32]
	v_mul_f64 v[29:30], v[31:32], v[29:30]
	v_mul_f64 v[11:12], v[11:12], -v[31:32]
	v_mul_f64 v[23:24], v[31:32], v[23:24]
	v_fma_f64 v[19:20], -v[21:22], v[27:28], v[19:20]
	v_fma_f64 v[17:18], -v[25:26], v[15:16], v[17:18]
	v_fma_f64 v[5:6], -v[7:8], v[27:28], v[5:6]
	v_mul_f64 v[27:28], v[29:30], -v[27:28]
	v_fma_f64 v[13:14], -v[11:12], v[25:26], v[13:14]
	v_mul_f64 v[25:26], v[23:24], -v[25:26]
	ds_write2_b64 v40, v[19:20], v[21:22] offset1:4
	ds_write2_b64 v39, v[15:16], v[17:18] offset0:3 offset1:7
	ds_write2_b64 v37, v[5:6], v[7:8] offset1:4
	ds_write2_b64 v2, v[27:28], v[29:30] offset1:4
	ds_write2_b64 v38, v[11:12], v[13:14] offset0:3 offset1:7
	ds_write2_b64 v41, v[23:24], v[25:26] offset0:3 offset1:7
.LBB174_18:
	s_or_b64 exec, exec, s[2:3]
	v_cmp_gt_u32_e32 vcc, 16, v0
	s_waitcnt lgkmcnt(0)
	s_barrier
	s_and_saveexec_b64 s[2:3], vcc
	s_cbranch_execz .LBB174_20
; %bb.19:
	v_lshlrev_b32_e32 v2, 7, v0
	v_add_u32_e32 v37, 0x1000, v2
	v_add_u32_e32 v38, 0x800, v2
	ds_read2_b64 v[5:8], v37 offset1:8
	ds_read2_b64 v[11:14], v38 offset0:7 offset1:15
	v_add_u32_e32 v39, 0x2800, v2
	v_add_u32_e32 v40, 0x2000, v2
	v_add_u32_e32 v41, 0x1800, v2
	s_waitcnt lgkmcnt(0)
	v_fma_f64 v[31:32], -v[7:8], v[11:12], 1.0
	v_div_scale_f64 v[15:16], s[8:9], v[31:32], v[31:32], 1.0
	v_rcp_f64_e32 v[17:18], v[15:16]
	v_fma_f64 v[19:20], -v[15:16], v[17:18], 1.0
	v_fma_f64 v[17:18], v[17:18], v[19:20], v[17:18]
	v_div_scale_f64 v[19:20], vcc, 1.0, v[31:32], 1.0
	v_fma_f64 v[21:22], -v[15:16], v[17:18], 1.0
	v_fma_f64 v[17:18], v[17:18], v[21:22], v[17:18]
	v_mul_f64 v[21:22], v[19:20], v[17:18]
	v_fma_f64 v[15:16], -v[15:16], v[21:22], v[19:20]
	v_div_fmas_f64 v[33:34], v[15:16], v[17:18], v[21:22]
	ds_read2_b64 v[15:18], v39 offset0:7 offset1:15
	ds_read2_b64 v[19:22], v40 offset1:8
	ds_read2_b64 v[23:26], v41 offset0:7 offset1:15
	ds_read2_b64 v[27:30], v2 offset1:8
	s_waitcnt lgkmcnt(2)
	v_fma_f64 v[35:36], -v[7:8], v[15:16], v[21:22]
	v_fma_f64 v[15:16], -v[11:12], v[21:22], v[15:16]
	s_waitcnt lgkmcnt(1)
	v_mul_f64 v[7:8], v[7:8], v[23:24]
	s_waitcnt lgkmcnt(0)
	v_mul_f64 v[11:12], v[11:12], v[29:30]
	v_div_fixup_f64 v[31:32], v[33:34], v[31:32], 1.0
	v_mul_f64 v[21:22], v[35:36], v[31:32]
	v_mul_f64 v[15:16], v[31:32], v[15:16]
	v_mul_f64 v[7:8], v[7:8], -v[31:32]
	v_mul_f64 v[29:30], v[31:32], v[29:30]
	v_mul_f64 v[11:12], v[11:12], -v[31:32]
	v_mul_f64 v[23:24], v[31:32], v[23:24]
	v_fma_f64 v[19:20], -v[21:22], v[27:28], v[19:20]
	v_fma_f64 v[17:18], -v[25:26], v[15:16], v[17:18]
	v_fma_f64 v[5:6], -v[7:8], v[27:28], v[5:6]
	v_mul_f64 v[27:28], v[29:30], -v[27:28]
	v_fma_f64 v[13:14], -v[11:12], v[25:26], v[13:14]
	v_mul_f64 v[25:26], v[23:24], -v[25:26]
	ds_write2_b64 v40, v[19:20], v[21:22] offset1:8
	ds_write2_b64 v39, v[15:16], v[17:18] offset0:7 offset1:15
	ds_write2_b64 v37, v[5:6], v[7:8] offset1:8
	ds_write2_b64 v2, v[27:28], v[29:30] offset1:8
	ds_write2_b64 v38, v[11:12], v[13:14] offset0:7 offset1:15
	ds_write2_b64 v41, v[23:24], v[25:26] offset0:7 offset1:15
.LBB174_20:
	;; [unrolled: 58-line block ×4, first 2 shown]
	s_or_b64 exec, exec, s[2:3]
	v_cmp_gt_u32_e32 vcc, 2, v0
	s_waitcnt lgkmcnt(0)
	s_barrier
	s_and_saveexec_b64 s[2:3], vcc
	s_cbranch_execz .LBB174_26
; %bb.25:
	v_lshlrev_b32_e32 v2, 10, v0
	v_add_u32_e32 v37, 0x1f8, v2
	ds_read2st64_b64 v[5:8], v37 offset0:4 offset1:5
	ds_read2st64_b64 v[11:14], v2 offset0:8 offset1:9
	ds_read2st64_b64 v[15:18], v2 offset1:1
	ds_read2st64_b64 v[19:22], v37 offset0:12 offset1:13
	s_waitcnt lgkmcnt(2)
	v_fma_f64 v[31:32], -v[13:14], v[5:6], 1.0
	v_div_scale_f64 v[23:24], s[8:9], v[31:32], v[31:32], 1.0
	v_rcp_f64_e32 v[25:26], v[23:24]
	v_fma_f64 v[27:28], -v[23:24], v[25:26], 1.0
	v_fma_f64 v[25:26], v[25:26], v[27:28], v[25:26]
	v_div_scale_f64 v[27:28], vcc, 1.0, v[31:32], 1.0
	v_fma_f64 v[29:30], -v[23:24], v[25:26], 1.0
	v_fma_f64 v[25:26], v[25:26], v[29:30], v[25:26]
	v_mul_f64 v[29:30], v[27:28], v[25:26]
	v_fma_f64 v[23:24], -v[23:24], v[29:30], v[27:28]
	v_div_fmas_f64 v[33:34], v[23:24], v[25:26], v[29:30]
	ds_read2st64_b64 v[23:26], v2 offset0:16 offset1:17
	ds_read2st64_b64 v[27:30], v37 offset0:20 offset1:21
	s_waitcnt lgkmcnt(0)
	v_fma_f64 v[35:36], -v[13:14], v[27:28], v[25:26]
	v_fma_f64 v[25:26], -v[5:6], v[25:26], v[27:28]
	v_mul_f64 v[13:14], v[13:14], v[19:20]
	v_mul_f64 v[5:6], v[5:6], v[17:18]
	v_div_fixup_f64 v[31:32], v[33:34], v[31:32], 1.0
	v_mul_f64 v[27:28], v[35:36], v[31:32]
	v_mul_f64 v[25:26], v[31:32], v[25:26]
	v_mul_f64 v[13:14], v[13:14], -v[31:32]
	v_mul_f64 v[17:18], v[31:32], v[17:18]
	v_mul_f64 v[5:6], v[5:6], -v[31:32]
	v_mul_f64 v[19:20], v[31:32], v[19:20]
	v_fma_f64 v[23:24], -v[27:28], v[15:16], v[23:24]
	v_fma_f64 v[29:30], -v[21:22], v[25:26], v[29:30]
	;; [unrolled: 1-line block ×3, first 2 shown]
	v_mul_f64 v[15:16], v[17:18], -v[15:16]
	v_fma_f64 v[7:8], -v[5:6], v[21:22], v[7:8]
	v_mul_f64 v[21:22], v[19:20], -v[21:22]
	ds_write2st64_b64 v2, v[23:24], v[27:28] offset0:16 offset1:17
	ds_write2st64_b64 v37, v[25:26], v[29:30] offset0:20 offset1:21
	;; [unrolled: 1-line block ×3, first 2 shown]
	ds_write2st64_b64 v2, v[15:16], v[17:18] offset1:1
	ds_write2st64_b64 v37, v[5:6], v[7:8] offset0:4 offset1:5
	ds_write2st64_b64 v37, v[19:20], v[21:22] offset0:12 offset1:13
.LBB174_26:
	s_or_b64 exec, exec, s[2:3]
	v_cmp_eq_u32_e64 s[2:3], 0, v0
	s_waitcnt lgkmcnt(0)
	s_barrier
	s_and_saveexec_b64 s[8:9], s[2:3]
	s_cbranch_execz .LBB174_28
; %bb.27:
	s_movk_i32 s10, 0x1400
	v_add_u32_e64 v2, s10, 0
	v_mov_b32_e32 v0, 0
	ds_read2_b64 v[5:8], v2 offset1:255
	ds_read_b64 v[19:20], v0 offset:3064
	ds_read_b64 v[21:22], v0 offset:12280
	v_mov_b32_e32 v32, 0x1ff8
	v_mov_b32_e32 v33, 0xff8
	s_waitcnt lgkmcnt(1)
	v_fma_f64 v[23:24], -v[5:6], v[19:20], 1.0
	v_div_scale_f64 v[11:12], s[10:11], v[23:24], v[23:24], 1.0
	s_movk_i32 s10, 0x2400
	v_add_u32_e64 v31, s10, 0
	v_rcp_f64_e32 v[13:14], v[11:12]
	v_fma_f64 v[15:16], -v[11:12], v[13:14], 1.0
	v_fma_f64 v[13:14], v[13:14], v[15:16], v[13:14]
	v_div_scale_f64 v[15:16], vcc, 1.0, v[23:24], 1.0
	v_fma_f64 v[17:18], -v[11:12], v[13:14], 1.0
	v_fma_f64 v[13:14], v[13:14], v[17:18], v[13:14]
	v_mul_f64 v[17:18], v[15:16], v[13:14]
	v_fma_f64 v[11:12], -v[11:12], v[17:18], v[15:16]
	v_div_fmas_f64 v[25:26], v[11:12], v[13:14], v[17:18]
	ds_read2_b64 v[11:14], v31 offset1:255
	ds_read2st64_b64 v[15:18], v0 offset1:2
	s_waitcnt lgkmcnt(1)
	v_fma_f64 v[27:28], -v[19:20], v[11:12], v[13:14]
	s_waitcnt lgkmcnt(0)
	v_mul_f64 v[19:20], v[19:20], v[17:18]
	v_div_fixup_f64 v[23:24], v[25:26], v[23:24], 1.0
	v_fma_f64 v[25:26], -v[5:6], v[13:14], v[11:12]
	v_mul_f64 v[5:6], v[5:6], v[7:8]
	ds_read2_b64 v[11:14], v32 offset1:1
	v_mul_f64 v[27:28], v[23:24], v[27:28]
	v_mul_f64 v[25:26], v[25:26], v[23:24]
	v_mul_f64 v[29:30], v[5:6], -v[23:24]
	v_mul_f64 v[17:18], v[23:24], v[17:18]
	v_mul_f64 v[19:20], v[19:20], -v[23:24]
	v_mul_f64 v[23:24], v[23:24], v[7:8]
	ds_read2_b64 v[5:8], v33 offset1:1
	s_waitcnt lgkmcnt(1)
	v_fma_f64 v[21:22], -v[11:12], v[27:28], v[21:22]
	v_fma_f64 v[13:14], -v[25:26], v[15:16], v[13:14]
	s_waitcnt lgkmcnt(0)
	v_fma_f64 v[7:8], -v[29:30], v[15:16], v[7:8]
	v_mul_f64 v[15:16], v[17:18], -v[15:16]
	v_fma_f64 v[5:6], -v[19:20], v[11:12], v[5:6]
	v_mul_f64 v[11:12], v[23:24], -v[11:12]
	ds_write2_b64 v31, v[25:26], v[27:28] offset1:255
	ds_write_b64 v0, v[19:20] offset:3064
	ds_write2_b64 v2, v[29:30], v[23:24] offset1:255
	ds_write_b64 v0, v[21:22] offset:12280
	ds_write2st64_b64 v0, v[15:16], v[17:18] offset1:2
	ds_write2_b64 v33, v[5:6], v[7:8] offset1:1
	ds_write2_b64 v32, v[11:12], v[13:14] offset1:1
.LBB174_28:
	s_or_b64 exec, exec, s[8:9]
	s_load_dwordx2 s[14:15], s[4:5], 0x48
	s_load_dwordx4 s[8:11], s[4:5], 0x38
	s_waitcnt lgkmcnt(0)
	s_barrier
	s_and_saveexec_b64 s[16:17], s[0:1]
	s_cbranch_execnz .LBB174_31
; %bb.29:
	s_or_b64 exec, exec, s[16:17]
	s_and_saveexec_b64 s[0:1], s[2:3]
	s_cbranch_execnz .LBB174_35
.LBB174_30:
	s_endpgm
.LBB174_31:
	s_cmp_eq_u32 s7, 0
	s_cbranch_scc1 .LBB174_39
; %bb.32:
	s_mulk_i32 s19, 0xff
	s_cbranch_execnz .LBB174_34
.LBB174_33:
	s_load_dwordx4 s[20:23], s[4:5], 0x28
	v_ashrrev_i32_e32 v2, 31, v1
	ds_read2st64_b64 v[5:8], v10 offset1:4
	v_lshlrev_b64 v[10:11], 3, v[1:2]
	s_mov_b32 s19, s18
	s_waitcnt lgkmcnt(0)
	v_mov_b32_e32 v0, s21
	v_add_co_u32_e32 v12, vcc, s20, v10
	v_addc_co_u32_e32 v13, vcc, v0, v11, vcc
	v_add_u32_e32 v0, s18, v1
	v_mov_b32_e32 v1, 0
	v_lshlrev_b64 v[0:1], 3, v[0:1]
	global_store_dwordx2 v[12:13], v[5:6], off
	v_mov_b32_e32 v2, s21
	v_add_co_u32_e32 v5, vcc, s20, v0
	v_addc_co_u32_e32 v6, vcc, v2, v1, vcc
	global_store_dwordx2 v[5:6], v[7:8], off
	ds_read2st64_b64 v[5:8], v9 offset1:4
	v_mov_b32_e32 v2, s23
	v_add_co_u32_e32 v9, vcc, s22, v10
	v_addc_co_u32_e32 v10, vcc, v2, v11, vcc
	v_add_co_u32_e32 v0, vcc, s22, v0
	v_addc_co_u32_e32 v1, vcc, v2, v1, vcc
	s_waitcnt lgkmcnt(0)
	global_store_dwordx2 v[9:10], v[5:6], off
	global_store_dwordx2 v[0:1], v[7:8], off
.LBB174_34:
	ds_read2st64_b64 v[5:8], v4 offset1:4
	v_ashrrev_i32_e32 v4, 31, v3
	v_lshlrev_b64 v[0:1], 3, v[3:4]
	v_mov_b32_e32 v2, s13
	v_add_co_u32_e32 v0, vcc, s12, v0
	v_addc_co_u32_e32 v1, vcc, v2, v1, vcc
	s_waitcnt lgkmcnt(0)
	global_store_dwordx2 v[0:1], v[5:6], off
	v_add_u32_e32 v0, s19, v3
	v_mov_b32_e32 v1, 0
	v_lshlrev_b64 v[0:1], 3, v[0:1]
	v_add_co_u32_e32 v0, vcc, s12, v0
	v_addc_co_u32_e32 v1, vcc, v2, v1, vcc
	global_store_dwordx2 v[0:1], v[7:8], off
	s_or_b64 exec, exec, s[16:17]
	s_and_saveexec_b64 s[0:1], s[2:3]
	s_cbranch_execz .LBB174_30
.LBB174_35:
	s_cmp_eq_u32 s7, 0
	s_cbranch_scc1 .LBB174_40
; %bb.36:
	s_load_dword s2, s[4:5], 0x50
	s_cbranch_execnz .LBB174_38
.LBB174_37:
	v_mov_b32_e32 v0, 0xff8
	ds_read2_b64 v[0:3], v0 offset1:1
	s_mov_b32 s0, s7
	s_ashr_i32 s7, s6, 31
	s_waitcnt lgkmcnt(0)
	s_load_dword s2, s[4:5], 0x50
	s_lshl_b64 s[12:13], s[6:7], 3
	s_mov_b32 s7, s0
	s_add_u32 s0, s10, s12
	s_addc_u32 s1, s11, s13
	v_mov_b32_e32 v6, 0
	ds_read_b64 v[4:5], v6
	global_store_dwordx2 v6, v[2:3], s[0:1]
	ds_read_b64 v[2:3], v6 offset:8184
	s_waitcnt lgkmcnt(0)
	s_add_i32 s0, s2, s6
	s_mov_b32 s1, 0
	s_lshl_b64 s[0:1], s[0:1], 3
	s_add_u32 s4, s10, s0
	s_addc_u32 s5, s11, s1
	global_store_dwordx2 v6, v[2:3], s[4:5]
	s_add_u32 s4, s14, s12
	s_addc_u32 s5, s15, s13
	s_add_u32 s0, s14, s0
	s_addc_u32 s1, s15, s1
	global_store_dwordx2 v6, v[4:5], s[4:5]
	global_store_dwordx2 v6, v[0:1], s[0:1]
.LBB174_38:
	s_waitcnt lgkmcnt(0)
	s_mul_i32 s0, s2, s7
	s_lshl_b32 s0, s0, 1
	s_add_i32 s0, s0, s6
	s_mov_b32 s1, 0
	v_mov_b32_e32 v4, 0
	s_lshl_b64 s[4:5], s[0:1], 3
	ds_read_b64 v[0:1], v4 offset:8192
	ds_read_b64 v[2:3], v4 offset:12280
	s_add_u32 s4, s8, s4
	s_addc_u32 s5, s9, s5
	s_add_i32 s0, s0, s2
	s_lshl_b64 s[0:1], s[0:1], 3
	s_add_u32 s0, s8, s0
	s_addc_u32 s1, s9, s1
	s_waitcnt lgkmcnt(1)
	global_store_dwordx2 v4, v[0:1], s[4:5]
	s_waitcnt lgkmcnt(0)
	global_store_dwordx2 v4, v[2:3], s[0:1]
	s_endpgm
.LBB174_39:
                                        ; implicit-def: $sgpr19
	s_branch .LBB174_33
.LBB174_40:
                                        ; implicit-def: $sgpr2
	s_branch .LBB174_37
	.section	.rodata,"a",@progbits
	.p2align	6, 0x0
	.amdhsa_kernel _ZN9rocsparseL29gtsv_spike_block_level_kernelILj256ELj256EdEEviiiPT1_PKS1_S4_S2_S2_S2_S2_S2_
		.amdhsa_group_segment_fixed_size 12288
		.amdhsa_private_segment_fixed_size 0
		.amdhsa_kernarg_size 336
		.amdhsa_user_sgpr_count 6
		.amdhsa_user_sgpr_private_segment_buffer 1
		.amdhsa_user_sgpr_dispatch_ptr 0
		.amdhsa_user_sgpr_queue_ptr 0
		.amdhsa_user_sgpr_kernarg_segment_ptr 1
		.amdhsa_user_sgpr_dispatch_id 0
		.amdhsa_user_sgpr_flat_scratch_init 0
		.amdhsa_user_sgpr_private_segment_size 0
		.amdhsa_uses_dynamic_stack 0
		.amdhsa_system_sgpr_private_segment_wavefront_offset 0
		.amdhsa_system_sgpr_workgroup_id_x 1
		.amdhsa_system_sgpr_workgroup_id_y 1
		.amdhsa_system_sgpr_workgroup_id_z 0
		.amdhsa_system_sgpr_workgroup_info 0
		.amdhsa_system_vgpr_workitem_id 0
		.amdhsa_next_free_vgpr 42
		.amdhsa_next_free_sgpr 98
		.amdhsa_reserve_vcc 1
		.amdhsa_reserve_flat_scratch 0
		.amdhsa_float_round_mode_32 0
		.amdhsa_float_round_mode_16_64 0
		.amdhsa_float_denorm_mode_32 3
		.amdhsa_float_denorm_mode_16_64 3
		.amdhsa_dx10_clamp 1
		.amdhsa_ieee_mode 1
		.amdhsa_fp16_overflow 0
		.amdhsa_exception_fp_ieee_invalid_op 0
		.amdhsa_exception_fp_denorm_src 0
		.amdhsa_exception_fp_ieee_div_zero 0
		.amdhsa_exception_fp_ieee_overflow 0
		.amdhsa_exception_fp_ieee_underflow 0
		.amdhsa_exception_fp_ieee_inexact 0
		.amdhsa_exception_int_div_zero 0
	.end_amdhsa_kernel
	.section	.text._ZN9rocsparseL29gtsv_spike_block_level_kernelILj256ELj256EdEEviiiPT1_PKS1_S4_S2_S2_S2_S2_S2_,"axG",@progbits,_ZN9rocsparseL29gtsv_spike_block_level_kernelILj256ELj256EdEEviiiPT1_PKS1_S4_S2_S2_S2_S2_S2_,comdat
.Lfunc_end174:
	.size	_ZN9rocsparseL29gtsv_spike_block_level_kernelILj256ELj256EdEEviiiPT1_PKS1_S4_S2_S2_S2_S2_S2_, .Lfunc_end174-_ZN9rocsparseL29gtsv_spike_block_level_kernelILj256ELj256EdEEviiiPT1_PKS1_S4_S2_S2_S2_S2_S2_
                                        ; -- End function
	.set _ZN9rocsparseL29gtsv_spike_block_level_kernelILj256ELj256EdEEviiiPT1_PKS1_S4_S2_S2_S2_S2_S2_.num_vgpr, 42
	.set _ZN9rocsparseL29gtsv_spike_block_level_kernelILj256ELj256EdEEviiiPT1_PKS1_S4_S2_S2_S2_S2_S2_.num_agpr, 0
	.set _ZN9rocsparseL29gtsv_spike_block_level_kernelILj256ELj256EdEEviiiPT1_PKS1_S4_S2_S2_S2_S2_S2_.numbered_sgpr, 24
	.set _ZN9rocsparseL29gtsv_spike_block_level_kernelILj256ELj256EdEEviiiPT1_PKS1_S4_S2_S2_S2_S2_S2_.num_named_barrier, 0
	.set _ZN9rocsparseL29gtsv_spike_block_level_kernelILj256ELj256EdEEviiiPT1_PKS1_S4_S2_S2_S2_S2_S2_.private_seg_size, 0
	.set _ZN9rocsparseL29gtsv_spike_block_level_kernelILj256ELj256EdEEviiiPT1_PKS1_S4_S2_S2_S2_S2_S2_.uses_vcc, 1
	.set _ZN9rocsparseL29gtsv_spike_block_level_kernelILj256ELj256EdEEviiiPT1_PKS1_S4_S2_S2_S2_S2_S2_.uses_flat_scratch, 0
	.set _ZN9rocsparseL29gtsv_spike_block_level_kernelILj256ELj256EdEEviiiPT1_PKS1_S4_S2_S2_S2_S2_S2_.has_dyn_sized_stack, 0
	.set _ZN9rocsparseL29gtsv_spike_block_level_kernelILj256ELj256EdEEviiiPT1_PKS1_S4_S2_S2_S2_S2_S2_.has_recursion, 0
	.set _ZN9rocsparseL29gtsv_spike_block_level_kernelILj256ELj256EdEEviiiPT1_PKS1_S4_S2_S2_S2_S2_S2_.has_indirect_call, 0
	.section	.AMDGPU.csdata,"",@progbits
; Kernel info:
; codeLenInByte = 4236
; TotalNumSgprs: 28
; NumVgprs: 42
; ScratchSize: 0
; MemoryBound: 0
; FloatMode: 240
; IeeeMode: 1
; LDSByteSize: 12288 bytes/workgroup (compile time only)
; SGPRBlocks: 12
; VGPRBlocks: 10
; NumSGPRsForWavesPerEU: 102
; NumVGPRsForWavesPerEU: 42
; Occupancy: 5
; WaveLimiterHint : 0
; COMPUTE_PGM_RSRC2:SCRATCH_EN: 0
; COMPUTE_PGM_RSRC2:USER_SGPR: 6
; COMPUTE_PGM_RSRC2:TRAP_HANDLER: 0
; COMPUTE_PGM_RSRC2:TGID_X_EN: 1
; COMPUTE_PGM_RSRC2:TGID_Y_EN: 1
; COMPUTE_PGM_RSRC2:TGID_Z_EN: 0
; COMPUTE_PGM_RSRC2:TIDIG_COMP_CNT: 0
	.section	.text._ZN9rocsparseL33gtsv_solve_spike_propagate_kernelILj256ELj256EdEEviiiPT1_PKS1_S4_S4_,"axG",@progbits,_ZN9rocsparseL33gtsv_solve_spike_propagate_kernelILj256ELj256EdEEviiiPT1_PKS1_S4_S4_,comdat
	.globl	_ZN9rocsparseL33gtsv_solve_spike_propagate_kernelILj256ELj256EdEEviiiPT1_PKS1_S4_S4_ ; -- Begin function _ZN9rocsparseL33gtsv_solve_spike_propagate_kernelILj256ELj256EdEEviiiPT1_PKS1_S4_S4_
	.p2align	8
	.type	_ZN9rocsparseL33gtsv_solve_spike_propagate_kernelILj256ELj256EdEEviiiPT1_PKS1_S4_S4_,@function
_ZN9rocsparseL33gtsv_solve_spike_propagate_kernelILj256ELj256EdEEviiiPT1_PKS1_S4_S4_: ; @_ZN9rocsparseL33gtsv_solve_spike_propagate_kernelILj256ELj256EdEEviiiPT1_PKS1_S4_S4_
; %bb.0:
	s_load_dword s10, s[4:5], 0x0
	v_lshl_or_b32 v1, s6, 8, v0
	v_mov_b32_e32 v3, 0
	v_mov_b32_e32 v5, 0
	;; [unrolled: 1-line block ×3, first 2 shown]
	s_waitcnt lgkmcnt(0)
	s_lshr_b32 s14, s10, 8
	v_cmp_le_i32_e64 s[0:1], s14, v1
	v_cmp_gt_i32_e32 vcc, s14, v1
	v_ashrrev_i32_e32 v2, 31, v1
	v_mov_b32_e32 v6, 0
	s_mulk_i32 s14, 0xff
	s_and_saveexec_b64 s[8:9], vcc
	s_cbranch_execz .LBB175_2
; %bb.1:
	s_load_dwordx2 s[12:13], s[4:5], 0x18
	v_lshlrev_b64 v[3:4], 3, v[1:2]
	s_waitcnt lgkmcnt(0)
	v_mov_b32_e32 v5, s13
	v_add_co_u32_e64 v7, s[2:3], s12, v3
	v_addc_co_u32_e64 v8, s[2:3], v5, v4, s[2:3]
	v_add_u32_e32 v3, s14, v1
	v_mov_b32_e32 v4, 0
	v_lshlrev_b64 v[3:4], 3, v[3:4]
	v_add_co_u32_e64 v9, s[2:3], s12, v3
	v_addc_co_u32_e64 v10, s[2:3], v5, v4, s[2:3]
	global_load_dwordx2 v[3:4], v[7:8], off
	global_load_dwordx2 v[5:6], v[9:10], off
.LBB175_2:
	s_or_b64 exec, exec, s[8:9]
	s_load_dwordx2 s[2:3], s[4:5], 0x10
	v_lshlrev_b32_e32 v7, 3, v0
	v_add_u32_e32 v8, 16, v7
	s_waitcnt vmcnt(0)
	ds_write2st64_b64 v8, v[3:4], v[5:6] offset0:16 offset1:20
	s_and_saveexec_b64 s[8:9], s[0:1]
	s_xor_b64 s[0:1], exec, s[8:9]
; %bb.3:
	s_mov_b32 s8, 0
	s_mov_b32 s9, s8
	v_mov_b32_e32 v2, s8
	v_mov_b32_e32 v3, s9
	ds_write2st64_b64 v8, v[2:3], v[2:3] offset0:8 offset1:12
; %bb.4:
	s_or_saveexec_b64 s[8:9], s[0:1]
	v_mov_b32_e32 v3, 0
	v_mov_b32_e32 v5, 0
	;; [unrolled: 1-line block ×4, first 2 shown]
	s_mul_i32 s10, s10, s7
	s_xor_b64 exec, exec, s[8:9]
	s_cbranch_execz .LBB175_6
; %bb.5:
	s_load_dwordx2 s[12:13], s[4:5], 0x20
	v_lshlrev_b64 v[5:6], 3, v[1:2]
	v_add_u32_e32 v8, s14, v1
	v_mov_b32_e32 v9, 0
	v_lshlrev_b64 v[10:11], 3, v[8:9]
	s_waitcnt lgkmcnt(0)
	v_mov_b32_e32 v2, s13
	v_add_co_u32_e64 v5, s[0:1], s12, v5
	v_addc_co_u32_e64 v6, s[0:1], v2, v6, s[0:1]
	v_add_co_u32_e64 v10, s[0:1], s12, v10
	v_add_u32_e32 v8, s10, v8
	v_addc_co_u32_e64 v11, s[0:1], v2, v11, s[0:1]
	global_load_dwordx2 v[12:13], v[5:6], off
	global_load_dwordx2 v[14:15], v[10:11], off
	v_lshlrev_b64 v[5:6], 3, v[8:9]
	v_mov_b32_e32 v2, s3
	v_add_co_u32_e64 v5, s[0:1], s2, v5
	v_addc_co_u32_e64 v6, s[0:1], v2, v6, s[0:1]
	global_load_dwordx2 v[5:6], v[5:6], off
	v_add_u32_e32 v2, 16, v7
	s_waitcnt vmcnt(1)
	ds_write2st64_b64 v2, v[12:13], v[14:15] offset0:8 offset1:12
.LBB175_6:
	s_or_b64 exec, exec, s[8:9]
	v_add_u32_e32 v1, s10, v1
	s_waitcnt vmcnt(0)
	ds_write_b64 v7, v[5:6] offset:8
	s_and_saveexec_b64 s[8:9], vcc
	s_cbranch_execz .LBB175_8
; %bb.7:
	v_ashrrev_i32_e32 v2, 31, v1
	v_lshlrev_b64 v[2:3], 3, v[1:2]
	s_waitcnt lgkmcnt(0)
	v_mov_b32_e32 v4, s3
	v_add_co_u32_e64 v2, s[0:1], s2, v2
	v_addc_co_u32_e64 v3, s[0:1], v4, v3, s[0:1]
	global_load_dwordx2 v[3:4], v[2:3], off
.LBB175_8:
	s_or_b64 exec, exec, s[8:9]
	v_cmp_eq_u32_e64 s[0:1], 0, v0
	s_waitcnt vmcnt(0)
	ds_write_b64 v7, v[3:4] offset:2056
	s_waitcnt lgkmcnt(0)
	s_barrier
	s_and_saveexec_b64 s[8:9], s[0:1]
	s_cbranch_execz .LBB175_14
; %bb.9:
	s_load_dword s15, s[4:5], 0x30
	s_load_dwordx2 s[10:11], s[4:5], 0x28
	s_cmp_lt_i32 s6, 1
	s_mov_b64 s[4:5], 0
	s_mov_b64 s[12:13], 0
	s_waitcnt lgkmcnt(0)
	s_mul_i32 s7, s7, s15
	s_cbranch_scc1 .LBB175_11
; %bb.10:
	s_lshl_b32 s12, s7, 1
	s_add_i32 s13, s6, s15
	s_add_i32 s12, s13, s12
	s_add_i32 s12, s12, -1
	s_mov_b32 s13, 0
	s_lshl_b64 s[12:13], s[12:13], 3
	s_add_u32 s12, s10, s12
	s_addc_u32 s13, s11, s13
	s_load_dwordx2 s[12:13], s[12:13], 0x0
.LBB175_11:
	s_waitcnt lgkmcnt(0)
	v_mov_b32_e32 v3, s12
	v_mov_b32_e32 v4, s13
	s_add_i32 s12, s15, -1
	v_mov_b32_e32 v2, 0
	s_cmp_ge_u32 s6, s12
	ds_write_b64 v2, v[3:4]
	s_cbranch_scc1 .LBB175_13
; %bb.12:
	s_lshl_b32 s4, s7, 1
	s_add_i32 s4, s6, s4
	s_add_i32 s4, s4, 1
	s_mov_b32 s5, 0
	s_lshl_b64 s[4:5], s[4:5], 3
	s_add_u32 s4, s10, s4
	s_addc_u32 s5, s11, s5
	s_load_dwordx2 s[4:5], s[4:5], 0x0
.LBB175_13:
	s_lshl_b32 s7, s7, 1
	s_add_i32 s6, s7, s6
	s_mov_b32 s7, 0
	s_lshl_b64 s[12:13], s[6:7], 3
	s_add_u32 s12, s10, s12
	s_addc_u32 s13, s11, s13
	s_add_i32 s6, s6, s15
	s_lshl_b64 s[6:7], s[6:7], 3
	s_add_u32 s6, s10, s6
	s_addc_u32 s7, s11, s7
	s_load_dwordx2 s[10:11], s[6:7], 0x0
	s_load_dwordx2 s[16:17], s[12:13], 0x0
	s_waitcnt lgkmcnt(0)
	v_mov_b32_e32 v3, s4
	v_mov_b32_e32 v4, s5
	ds_write_b64 v2, v[3:4] offset:4104
	v_mov_b32_e32 v3, s10
	v_mov_b32_e32 v4, s11
	;; [unrolled: 1-line block ×4, first 2 shown]
	ds_write_b128 v2, v[3:6] offset:2048
.LBB175_14:
	s_or_b64 exec, exec, s[8:9]
	s_waitcnt lgkmcnt(0)
	s_barrier
	s_and_saveexec_b64 s[4:5], s[0:1]
	s_cbranch_execz .LBB175_16
; %bb.15:
	s_movk_i32 s0, 0x1410
	v_mov_b32_e32 v6, 0
	v_add_u32_e64 v12, s0, 0
	v_add_u32_e64 v8, 8, 0
	ds_read2st64_b64 v[2:5], v6 offset1:2
	ds_read2st64_b64 v[8:11], v8 offset0:6 offset1:8
	ds_read2_b64 v[12:15], v12 offset1:255
	s_movk_i32 s0, 0x2410
	s_waitcnt lgkmcnt(0)
	v_fma_f64 v[4:5], -v[14:15], v[10:11], v[4:5]
	v_fma_f64 v[12:13], -v[12:13], v[10:11], v[8:9]
	v_add_u32_e64 v8, s0, 0
	ds_read2_b64 v[8:11], v8 offset1:255
	s_waitcnt lgkmcnt(0)
	v_fma_f64 v[4:5], -v[10:11], v[2:3], v[4:5]
	v_fma_f64 v[2:3], -v[8:9], v[2:3], v[12:13]
	ds_write_b64 v6, v[4:5] offset:1024
	ds_write_b64 v6, v[2:3] offset:3080
.LBB175_16:
	s_or_b64 exec, exec, s[4:5]
	v_cmp_gt_u32_e64 s[0:1], 2, v0
	s_waitcnt lgkmcnt(0)
	s_barrier
	s_and_saveexec_b64 s[4:5], s[0:1]
	s_cbranch_execz .LBB175_18
; %bb.17:
	s_movk_i32 s0, 0x3f8
	v_mad_u32_u24 v6, v0, s0, v7
	v_lshlrev_b32_e32 v16, 10, v0
	v_add_u32_e32 v8, 0x1210, v16
	v_add_u32_e32 v12, 8, v6
	ds_read2st64_b64 v[2:5], v6 offset1:1
	ds_read2_b64 v[8:11], v8 offset1:255
	ds_read2st64_b64 v[12:15], v12 offset0:5 offset1:6
	s_waitcnt lgkmcnt(0)
	v_fma_f64 v[4:5], -v[10:11], v[14:15], v[4:5]
	v_fma_f64 v[12:13], -v[8:9], v[14:15], v[12:13]
	v_add_u32_e32 v8, 0x2210, v16
	ds_read2_b64 v[8:11], v8 offset1:255
	s_waitcnt lgkmcnt(0)
	v_fma_f64 v[4:5], -v[10:11], v[2:3], v[4:5]
	v_fma_f64 v[2:3], -v[8:9], v[2:3], v[12:13]
	ds_write_b64 v6, v[4:5] offset:512
	ds_write_b64 v6, v[2:3] offset:2568
.LBB175_18:
	s_or_b64 exec, exec, s[4:5]
	v_cmp_gt_u32_e64 s[0:1], 4, v0
	s_waitcnt lgkmcnt(0)
	s_barrier
	s_and_saveexec_b64 s[4:5], s[0:1]
	s_cbranch_execz .LBB175_20
; %bb.19:
	v_lshlrev_b32_e32 v6, 9, v0
	v_add_u32_e32 v8, 0x1110, v6
	v_add_u32_e32 v12, 0x800, v6
	ds_read2_b64 v[2:5], v6 offset1:32
	ds_read2_b64 v[8:11], v8 offset1:255
	ds_read2_b64 v[12:15], v12 offset0:33 offset1:65
	s_waitcnt lgkmcnt(0)
	v_fma_f64 v[4:5], -v[10:11], v[14:15], v[4:5]
	v_fma_f64 v[12:13], -v[8:9], v[14:15], v[12:13]
	v_add_u32_e32 v8, 0x2110, v6
	ds_read2_b64 v[8:11], v8 offset1:255
	s_waitcnt lgkmcnt(0)
	v_fma_f64 v[4:5], -v[10:11], v[2:3], v[4:5]
	v_fma_f64 v[2:3], -v[8:9], v[2:3], v[12:13]
	ds_write_b64 v6, v[4:5] offset:256
	ds_write_b64 v6, v[2:3] offset:2312
.LBB175_20:
	s_or_b64 exec, exec, s[4:5]
	v_cmp_gt_u32_e64 s[0:1], 8, v0
	s_waitcnt lgkmcnt(0)
	s_barrier
	s_and_saveexec_b64 s[4:5], s[0:1]
	s_cbranch_execz .LBB175_22
; %bb.21:
	v_lshlrev_b32_e32 v6, 8, v0
	v_add_u32_e32 v8, 0x1090, v6
	v_add_u32_e32 v12, 0x800, v6
	ds_read2_b64 v[2:5], v6 offset1:16
	ds_read2_b64 v[8:11], v8 offset1:255
	ds_read2_b64 v[12:15], v12 offset0:17 offset1:33
	s_waitcnt lgkmcnt(0)
	v_fma_f64 v[4:5], -v[10:11], v[14:15], v[4:5]
	v_fma_f64 v[12:13], -v[8:9], v[14:15], v[12:13]
	v_add_u32_e32 v8, 0x2090, v6
	ds_read2_b64 v[8:11], v8 offset1:255
	s_waitcnt lgkmcnt(0)
	v_fma_f64 v[4:5], -v[10:11], v[2:3], v[4:5]
	v_fma_f64 v[2:3], -v[8:9], v[2:3], v[12:13]
	ds_write_b64 v6, v[4:5] offset:128
	ds_write_b64 v6, v[2:3] offset:2184
.LBB175_22:
	;; [unrolled: 24-line block ×5, first 2 shown]
	s_or_b64 exec, exec, s[4:5]
	s_movk_i32 s0, 0x80
	v_cmp_gt_u32_e64 s[0:1], s0, v0
	s_waitcnt lgkmcnt(0)
	s_barrier
	s_and_saveexec_b64 s[4:5], s[0:1]
	s_cbranch_execz .LBB175_30
; %bb.29:
	v_lshlrev_b32_e32 v0, 4, v0
	v_add_u32_e32 v6, 0x1018, v0
	ds_read_b128 v[2:5], v0
	ds_read_b128 v[8:11], v0 offset:2064
	ds_read2_b64 v[12:15], v6 offset1:255
	v_add_u32_e32 v6, 0x2018, v0
	s_waitcnt lgkmcnt(0)
	v_fma_f64 v[4:5], -v[14:15], v[10:11], v[4:5]
	v_fma_f64 v[12:13], -v[12:13], v[10:11], v[8:9]
	ds_read2_b64 v[8:11], v6 offset1:255
	s_waitcnt lgkmcnt(0)
	v_fma_f64 v[4:5], -v[10:11], v[2:3], v[4:5]
	v_fma_f64 v[2:3], -v[8:9], v[2:3], v[12:13]
	ds_write_b64 v0, v[4:5] offset:8
	ds_write_b64 v0, v[2:3] offset:2064
.LBB175_30:
	s_or_b64 exec, exec, s[4:5]
	s_waitcnt lgkmcnt(0)
	s_barrier
	s_and_saveexec_b64 s[0:1], vcc
	s_cbranch_execz .LBB175_32
; %bb.31:
	v_ashrrev_i32_e32 v2, 31, v1
	v_add_u32_e32 v0, 8, v7
	v_lshlrev_b64 v[7:8], 3, v[1:2]
	ds_read2st64_b64 v[3:6], v0 offset1:4
	v_mov_b32_e32 v0, s3
	v_add_co_u32_e32 v7, vcc, s2, v7
	v_addc_co_u32_e32 v8, vcc, v0, v8, vcc
	v_add_u32_e32 v0, s14, v1
	v_mov_b32_e32 v1, 0
	v_lshlrev_b64 v[0:1], 3, v[0:1]
	v_mov_b32_e32 v2, s3
	v_add_co_u32_e32 v0, vcc, s2, v0
	v_addc_co_u32_e32 v1, vcc, v2, v1, vcc
	s_waitcnt lgkmcnt(0)
	global_store_dwordx2 v[7:8], v[5:6], off
	global_store_dwordx2 v[0:1], v[3:4], off
.LBB175_32:
	s_endpgm
	.section	.rodata,"a",@progbits
	.p2align	6, 0x0
	.amdhsa_kernel _ZN9rocsparseL33gtsv_solve_spike_propagate_kernelILj256ELj256EdEEviiiPT1_PKS1_S4_S4_
		.amdhsa_group_segment_fixed_size 12304
		.amdhsa_private_segment_fixed_size 0
		.amdhsa_kernarg_size 304
		.amdhsa_user_sgpr_count 6
		.amdhsa_user_sgpr_private_segment_buffer 1
		.amdhsa_user_sgpr_dispatch_ptr 0
		.amdhsa_user_sgpr_queue_ptr 0
		.amdhsa_user_sgpr_kernarg_segment_ptr 1
		.amdhsa_user_sgpr_dispatch_id 0
		.amdhsa_user_sgpr_flat_scratch_init 0
		.amdhsa_user_sgpr_private_segment_size 0
		.amdhsa_uses_dynamic_stack 0
		.amdhsa_system_sgpr_private_segment_wavefront_offset 0
		.amdhsa_system_sgpr_workgroup_id_x 1
		.amdhsa_system_sgpr_workgroup_id_y 1
		.amdhsa_system_sgpr_workgroup_id_z 0
		.amdhsa_system_sgpr_workgroup_info 0
		.amdhsa_system_vgpr_workitem_id 0
		.amdhsa_next_free_vgpr 41
		.amdhsa_next_free_sgpr 98
		.amdhsa_reserve_vcc 1
		.amdhsa_reserve_flat_scratch 0
		.amdhsa_float_round_mode_32 0
		.amdhsa_float_round_mode_16_64 0
		.amdhsa_float_denorm_mode_32 3
		.amdhsa_float_denorm_mode_16_64 3
		.amdhsa_dx10_clamp 1
		.amdhsa_ieee_mode 1
		.amdhsa_fp16_overflow 0
		.amdhsa_exception_fp_ieee_invalid_op 0
		.amdhsa_exception_fp_denorm_src 0
		.amdhsa_exception_fp_ieee_div_zero 0
		.amdhsa_exception_fp_ieee_overflow 0
		.amdhsa_exception_fp_ieee_underflow 0
		.amdhsa_exception_fp_ieee_inexact 0
		.amdhsa_exception_int_div_zero 0
	.end_amdhsa_kernel
	.section	.text._ZN9rocsparseL33gtsv_solve_spike_propagate_kernelILj256ELj256EdEEviiiPT1_PKS1_S4_S4_,"axG",@progbits,_ZN9rocsparseL33gtsv_solve_spike_propagate_kernelILj256ELj256EdEEviiiPT1_PKS1_S4_S4_,comdat
.Lfunc_end175:
	.size	_ZN9rocsparseL33gtsv_solve_spike_propagate_kernelILj256ELj256EdEEviiiPT1_PKS1_S4_S4_, .Lfunc_end175-_ZN9rocsparseL33gtsv_solve_spike_propagate_kernelILj256ELj256EdEEviiiPT1_PKS1_S4_S4_
                                        ; -- End function
	.set _ZN9rocsparseL33gtsv_solve_spike_propagate_kernelILj256ELj256EdEEviiiPT1_PKS1_S4_S4_.num_vgpr, 17
	.set _ZN9rocsparseL33gtsv_solve_spike_propagate_kernelILj256ELj256EdEEviiiPT1_PKS1_S4_S4_.num_agpr, 0
	.set _ZN9rocsparseL33gtsv_solve_spike_propagate_kernelILj256ELj256EdEEviiiPT1_PKS1_S4_S4_.numbered_sgpr, 18
	.set _ZN9rocsparseL33gtsv_solve_spike_propagate_kernelILj256ELj256EdEEviiiPT1_PKS1_S4_S4_.num_named_barrier, 0
	.set _ZN9rocsparseL33gtsv_solve_spike_propagate_kernelILj256ELj256EdEEviiiPT1_PKS1_S4_S4_.private_seg_size, 0
	.set _ZN9rocsparseL33gtsv_solve_spike_propagate_kernelILj256ELj256EdEEviiiPT1_PKS1_S4_S4_.uses_vcc, 1
	.set _ZN9rocsparseL33gtsv_solve_spike_propagate_kernelILj256ELj256EdEEviiiPT1_PKS1_S4_S4_.uses_flat_scratch, 0
	.set _ZN9rocsparseL33gtsv_solve_spike_propagate_kernelILj256ELj256EdEEviiiPT1_PKS1_S4_S4_.has_dyn_sized_stack, 0
	.set _ZN9rocsparseL33gtsv_solve_spike_propagate_kernelILj256ELj256EdEEviiiPT1_PKS1_S4_S4_.has_recursion, 0
	.set _ZN9rocsparseL33gtsv_solve_spike_propagate_kernelILj256ELj256EdEEviiiPT1_PKS1_S4_S4_.has_indirect_call, 0
	.section	.AMDGPU.csdata,"",@progbits
; Kernel info:
; codeLenInByte = 2024
; TotalNumSgprs: 22
; NumVgprs: 17
; ScratchSize: 0
; MemoryBound: 0
; FloatMode: 240
; IeeeMode: 1
; LDSByteSize: 12304 bytes/workgroup (compile time only)
; SGPRBlocks: 12
; VGPRBlocks: 10
; NumSGPRsForWavesPerEU: 102
; NumVGPRsForWavesPerEU: 41
; Occupancy: 5
; WaveLimiterHint : 0
; COMPUTE_PGM_RSRC2:SCRATCH_EN: 0
; COMPUTE_PGM_RSRC2:USER_SGPR: 6
; COMPUTE_PGM_RSRC2:TRAP_HANDLER: 0
; COMPUTE_PGM_RSRC2:TGID_X_EN: 1
; COMPUTE_PGM_RSRC2:TGID_Y_EN: 1
; COMPUTE_PGM_RSRC2:TGID_Z_EN: 0
; COMPUTE_PGM_RSRC2:TIDIG_COMP_CNT: 0
	.section	.text._ZN9rocsparseL39gtsv_spike_backward_substitution_kernelILj256ELj256EdEEviiiPT1_PKS1_S4_,"axG",@progbits,_ZN9rocsparseL39gtsv_spike_backward_substitution_kernelILj256ELj256EdEEviiiPT1_PKS1_S4_,comdat
	.globl	_ZN9rocsparseL39gtsv_spike_backward_substitution_kernelILj256ELj256EdEEviiiPT1_PKS1_S4_ ; -- Begin function _ZN9rocsparseL39gtsv_spike_backward_substitution_kernelILj256ELj256EdEEviiiPT1_PKS1_S4_
	.p2align	8
	.type	_ZN9rocsparseL39gtsv_spike_backward_substitution_kernelILj256ELj256EdEEviiiPT1_PKS1_S4_,@function
_ZN9rocsparseL39gtsv_spike_backward_substitution_kernelILj256ELj256EdEEviiiPT1_PKS1_S4_: ; @_ZN9rocsparseL39gtsv_spike_backward_substitution_kernelILj256ELj256EdEEviiiPT1_PKS1_S4_
; %bb.0:
	s_load_dword s12, s[4:5], 0x0
	s_lshl_b32 s6, s6, 8
	v_or_b32_e32 v5, s6, v0
	s_waitcnt lgkmcnt(0)
	s_lshr_b32 s10, s12, 8
	v_cmp_gt_i32_e32 vcc, s10, v5
	s_and_saveexec_b64 s[0:1], vcc
	s_cbranch_execz .LBB176_7
; %bb.1:
	s_load_dwordx2 s[8:9], s[4:5], 0x10
	v_mov_b32_e32 v1, 0
	v_cmp_lt_i32_e32 vcc, 0, v5
	v_mov_b32_e32 v2, 0
	s_mul_i32 s11, s12, s7
	s_and_saveexec_b64 s[0:1], vcc
	s_cbranch_execz .LBB176_3
; %bb.2:
	s_mul_i32 s2, s10, 0xff
	s_mul_i32 s3, s12, s7
	s_add_i32 s2, s2, s3
	v_add3_u32 v1, v5, s2, -1
	v_mov_b32_e32 v2, 0
	v_lshlrev_b64 v[1:2], 3, v[1:2]
	s_waitcnt lgkmcnt(0)
	v_mov_b32_e32 v3, s9
	v_add_co_u32_e32 v1, vcc, s8, v1
	v_addc_co_u32_e32 v2, vcc, v3, v2, vcc
	global_load_dwordx2 v[1:2], v[1:2], off
.LBB176_3:
	s_or_b64 exec, exec, s[0:1]
	s_load_dwordx4 s[0:3], s[4:5], 0x18
	v_add_u32_e32 v3, 0x100, v5
	v_cmp_le_u32_e32 vcc, s12, v3
	s_and_saveexec_b64 s[4:5], vcc
	s_xor_b64 s[4:5], exec, s[4:5]
	s_or_saveexec_b64 s[4:5], s[4:5]
	v_mov_b32_e32 v3, 0
	v_mov_b32_e32 v4, 0
	;; [unrolled: 1-line block ×3, first 2 shown]
	s_xor_b64 exec, exec, s[4:5]
	s_cbranch_execz .LBB176_5
; %bb.4:
	s_ashr_i32 s7, s11, 31
	v_ashrrev_i32_e32 v4, 31, v5
	v_mov_b32_e32 v6, s7
	v_add_co_u32_e32 v3, vcc, s11, v5
	v_addc_co_u32_e32 v4, vcc, v4, v6, vcc
	v_lshlrev_b64 v[3:4], 3, v[3:4]
	s_waitcnt lgkmcnt(0)
	v_mov_b32_e32 v6, s9
	v_add_co_u32_e32 v3, vcc, s8, v3
	v_addc_co_u32_e32 v4, vcc, v6, v4, vcc
	global_load_dwordx2 v[3:4], v[3:4], off offset:8
	v_mov_b32_e32 v9, s11
.LBB176_5:
	s_or_b64 exec, exec, s[4:5]
	s_lshl_b32 s4, s10, 1
	s_add_i32 s6, s6, s10
	v_add_u32_e32 v5, s4, v5
	v_add_u32_e32 v7, s6, v0
	s_movk_i32 s5, 0xfe
	s_waitcnt lgkmcnt(0)
	v_mov_b32_e32 v0, s9
	v_mov_b32_e32 v10, s1
	;; [unrolled: 1-line block ×3, first 2 shown]
.LBB176_6:                              ; =>This Inner Loop Header: Depth=1
	v_ashrrev_i32_e32 v8, 31, v7
	v_lshlrev_b64 v[14:15], 3, v[7:8]
	v_add_u32_e32 v12, v9, v7
	v_add_co_u32_e32 v16, vcc, s0, v14
	v_ashrrev_i32_e32 v13, 31, v12
	v_addc_co_u32_e32 v17, vcc, v10, v15, vcc
	v_lshlrev_b64 v[12:13], 3, v[12:13]
	v_add_co_u32_e32 v14, vcc, s2, v14
	v_addc_co_u32_e32 v15, vcc, v11, v15, vcc
	v_add_co_u32_e32 v12, vcc, s8, v12
	v_addc_co_u32_e32 v13, vcc, v0, v13, vcc
	global_load_dwordx2 v[18:19], v[16:17], off
	global_load_dwordx2 v[20:21], v[12:13], off
	;; [unrolled: 1-line block ×3, first 2 shown]
	v_ashrrev_i32_e32 v6, 31, v5
	v_add_u32_e32 v16, v9, v5
	v_ashrrev_i32_e32 v17, 31, v16
	v_lshlrev_b64 v[16:17], 3, v[16:17]
	s_add_i32 s5, s5, -2
	v_add_u32_e32 v7, s4, v7
	s_cmp_lg_u32 s5, 0
	s_waitcnt vmcnt(1)
	v_fma_f64 v[14:15], -v[1:2], v[18:19], v[20:21]
	v_lshlrev_b64 v[18:19], 3, v[5:6]
	v_add_u32_e32 v5, s4, v5
	s_waitcnt vmcnt(0)
	v_fma_f64 v[14:15], -v[3:4], v[22:23], v[14:15]
	global_store_dwordx2 v[12:13], v[14:15], off
	v_add_co_u32_e32 v12, vcc, s0, v18
	v_addc_co_u32_e32 v13, vcc, v10, v19, vcc
	v_add_co_u32_e32 v14, vcc, s2, v18
	v_addc_co_u32_e32 v15, vcc, v11, v19, vcc
	;; [unrolled: 2-line block ×3, first 2 shown]
	global_load_dwordx2 v[18:19], v[12:13], off
	global_load_dwordx2 v[20:21], v[16:17], off
	;; [unrolled: 1-line block ×3, first 2 shown]
	s_waitcnt vmcnt(1)
	v_fma_f64 v[12:13], -v[1:2], v[18:19], v[20:21]
	s_waitcnt vmcnt(0)
	v_fma_f64 v[12:13], -v[3:4], v[22:23], v[12:13]
	global_store_dwordx2 v[16:17], v[12:13], off
	s_cbranch_scc1 .LBB176_6
.LBB176_7:
	s_endpgm
	.section	.rodata,"a",@progbits
	.p2align	6, 0x0
	.amdhsa_kernel _ZN9rocsparseL39gtsv_spike_backward_substitution_kernelILj256ELj256EdEEviiiPT1_PKS1_S4_
		.amdhsa_group_segment_fixed_size 0
		.amdhsa_private_segment_fixed_size 0
		.amdhsa_kernarg_size 40
		.amdhsa_user_sgpr_count 6
		.amdhsa_user_sgpr_private_segment_buffer 1
		.amdhsa_user_sgpr_dispatch_ptr 0
		.amdhsa_user_sgpr_queue_ptr 0
		.amdhsa_user_sgpr_kernarg_segment_ptr 1
		.amdhsa_user_sgpr_dispatch_id 0
		.amdhsa_user_sgpr_flat_scratch_init 0
		.amdhsa_user_sgpr_private_segment_size 0
		.amdhsa_uses_dynamic_stack 0
		.amdhsa_system_sgpr_private_segment_wavefront_offset 0
		.amdhsa_system_sgpr_workgroup_id_x 1
		.amdhsa_system_sgpr_workgroup_id_y 1
		.amdhsa_system_sgpr_workgroup_id_z 0
		.amdhsa_system_sgpr_workgroup_info 0
		.amdhsa_system_vgpr_workitem_id 0
		.amdhsa_next_free_vgpr 24
		.amdhsa_next_free_sgpr 13
		.amdhsa_reserve_vcc 1
		.amdhsa_reserve_flat_scratch 0
		.amdhsa_float_round_mode_32 0
		.amdhsa_float_round_mode_16_64 0
		.amdhsa_float_denorm_mode_32 3
		.amdhsa_float_denorm_mode_16_64 3
		.amdhsa_dx10_clamp 1
		.amdhsa_ieee_mode 1
		.amdhsa_fp16_overflow 0
		.amdhsa_exception_fp_ieee_invalid_op 0
		.amdhsa_exception_fp_denorm_src 0
		.amdhsa_exception_fp_ieee_div_zero 0
		.amdhsa_exception_fp_ieee_overflow 0
		.amdhsa_exception_fp_ieee_underflow 0
		.amdhsa_exception_fp_ieee_inexact 0
		.amdhsa_exception_int_div_zero 0
	.end_amdhsa_kernel
	.section	.text._ZN9rocsparseL39gtsv_spike_backward_substitution_kernelILj256ELj256EdEEviiiPT1_PKS1_S4_,"axG",@progbits,_ZN9rocsparseL39gtsv_spike_backward_substitution_kernelILj256ELj256EdEEviiiPT1_PKS1_S4_,comdat
.Lfunc_end176:
	.size	_ZN9rocsparseL39gtsv_spike_backward_substitution_kernelILj256ELj256EdEEviiiPT1_PKS1_S4_, .Lfunc_end176-_ZN9rocsparseL39gtsv_spike_backward_substitution_kernelILj256ELj256EdEEviiiPT1_PKS1_S4_
                                        ; -- End function
	.set _ZN9rocsparseL39gtsv_spike_backward_substitution_kernelILj256ELj256EdEEviiiPT1_PKS1_S4_.num_vgpr, 24
	.set _ZN9rocsparseL39gtsv_spike_backward_substitution_kernelILj256ELj256EdEEviiiPT1_PKS1_S4_.num_agpr, 0
	.set _ZN9rocsparseL39gtsv_spike_backward_substitution_kernelILj256ELj256EdEEviiiPT1_PKS1_S4_.numbered_sgpr, 13
	.set _ZN9rocsparseL39gtsv_spike_backward_substitution_kernelILj256ELj256EdEEviiiPT1_PKS1_S4_.num_named_barrier, 0
	.set _ZN9rocsparseL39gtsv_spike_backward_substitution_kernelILj256ELj256EdEEviiiPT1_PKS1_S4_.private_seg_size, 0
	.set _ZN9rocsparseL39gtsv_spike_backward_substitution_kernelILj256ELj256EdEEviiiPT1_PKS1_S4_.uses_vcc, 1
	.set _ZN9rocsparseL39gtsv_spike_backward_substitution_kernelILj256ELj256EdEEviiiPT1_PKS1_S4_.uses_flat_scratch, 0
	.set _ZN9rocsparseL39gtsv_spike_backward_substitution_kernelILj256ELj256EdEEviiiPT1_PKS1_S4_.has_dyn_sized_stack, 0
	.set _ZN9rocsparseL39gtsv_spike_backward_substitution_kernelILj256ELj256EdEEviiiPT1_PKS1_S4_.has_recursion, 0
	.set _ZN9rocsparseL39gtsv_spike_backward_substitution_kernelILj256ELj256EdEEviiiPT1_PKS1_S4_.has_indirect_call, 0
	.section	.AMDGPU.csdata,"",@progbits
; Kernel info:
; codeLenInByte = 520
; TotalNumSgprs: 17
; NumVgprs: 24
; ScratchSize: 0
; MemoryBound: 0
; FloatMode: 240
; IeeeMode: 1
; LDSByteSize: 0 bytes/workgroup (compile time only)
; SGPRBlocks: 2
; VGPRBlocks: 5
; NumSGPRsForWavesPerEU: 17
; NumVGPRsForWavesPerEU: 24
; Occupancy: 10
; WaveLimiterHint : 0
; COMPUTE_PGM_RSRC2:SCRATCH_EN: 0
; COMPUTE_PGM_RSRC2:USER_SGPR: 6
; COMPUTE_PGM_RSRC2:TRAP_HANDLER: 0
; COMPUTE_PGM_RSRC2:TGID_X_EN: 1
; COMPUTE_PGM_RSRC2:TGID_Y_EN: 1
; COMPUTE_PGM_RSRC2:TGID_Z_EN: 0
; COMPUTE_PGM_RSRC2:TIDIG_COMP_CNT: 0
	.section	.text._ZN9rocsparseL32gtsv_transpose_back_array_kernelILj256ELj256EdEEviiiPKT1_PS1_,"axG",@progbits,_ZN9rocsparseL32gtsv_transpose_back_array_kernelILj256ELj256EdEEviiiPKT1_PS1_,comdat
	.globl	_ZN9rocsparseL32gtsv_transpose_back_array_kernelILj256ELj256EdEEviiiPKT1_PS1_ ; -- Begin function _ZN9rocsparseL32gtsv_transpose_back_array_kernelILj256ELj256EdEEviiiPKT1_PS1_
	.p2align	8
	.type	_ZN9rocsparseL32gtsv_transpose_back_array_kernelILj256ELj256EdEEviiiPKT1_PS1_,@function
_ZN9rocsparseL32gtsv_transpose_back_array_kernelILj256ELj256EdEEviiiPKT1_PS1_: ; @_ZN9rocsparseL32gtsv_transpose_back_array_kernelILj256ELj256EdEEviiiPKT1_PS1_
; %bb.0:
	s_load_dwordx4 s[0:3], s[4:5], 0x0
	v_lshl_or_b32 v0, s6, 8, v0
	v_lshlrev_b32_e32 v3, 8, v0
	s_waitcnt lgkmcnt(0)
	v_cvt_f32_u32_e32 v1, s1
	s_sub_i32 s3, 0, s1
	v_rcp_iflag_f32_e32 v1, v1
	v_mul_f32_e32 v1, 0x4f7ffffe, v1
	v_cvt_u32_f32_e32 v1, v1
	v_mul_lo_u32 v2, s3, v1
	v_mul_hi_u32 v2, v1, v2
	v_add_u32_e32 v1, v1, v2
	v_mul_hi_u32 v1, v3, v1
	v_mul_lo_u32 v2, v1, s1
	v_add_u32_e32 v4, 1, v1
	v_sub_u32_e32 v2, v3, v2
	v_cmp_le_u32_e32 vcc, s1, v2
	v_cndmask_b32_e32 v1, v1, v4, vcc
	v_subrev_u32_e32 v4, s1, v2
	v_cndmask_b32_e32 v2, v2, v4, vcc
	v_add_u32_e32 v4, 1, v1
	v_cmp_le_u32_e32 vcc, s1, v2
	v_cndmask_b32_e32 v1, v1, v4, vcc
	v_mul_lo_u32 v2, v1, s1
	v_sub_u32_e32 v2, v3, v2
	v_add_u32_e32 v1, v1, v2
	v_cmp_gt_i32_e32 vcc, s0, v1
	s_and_saveexec_b64 s[8:9], vcc
	s_cbranch_execz .LBB177_2
; %bb.1:
	s_load_dwordx4 s[8:11], s[4:5], 0x10
	s_mul_i32 s0, s1, s7
	v_add_u32_e32 v2, s0, v0
	v_ashrrev_i32_e32 v3, 31, v2
	v_lshlrev_b64 v[2:3], 3, v[2:3]
	s_waitcnt lgkmcnt(0)
	v_mov_b32_e32 v0, s9
	v_add_co_u32_e32 v2, vcc, s8, v2
	v_addc_co_u32_e32 v3, vcc, v0, v3, vcc
	global_load_dwordx2 v[2:3], v[2:3], off
	s_mul_i32 s0, s2, s7
	v_add_u32_e32 v0, s0, v1
	v_ashrrev_i32_e32 v1, 31, v0
	v_lshlrev_b64 v[0:1], 3, v[0:1]
	v_mov_b32_e32 v4, s11
	v_add_co_u32_e32 v0, vcc, s10, v0
	v_addc_co_u32_e32 v1, vcc, v4, v1, vcc
	s_waitcnt vmcnt(0)
	global_store_dwordx2 v[0:1], v[2:3], off
.LBB177_2:
	s_endpgm
	.section	.rodata,"a",@progbits
	.p2align	6, 0x0
	.amdhsa_kernel _ZN9rocsparseL32gtsv_transpose_back_array_kernelILj256ELj256EdEEviiiPKT1_PS1_
		.amdhsa_group_segment_fixed_size 0
		.amdhsa_private_segment_fixed_size 0
		.amdhsa_kernarg_size 32
		.amdhsa_user_sgpr_count 6
		.amdhsa_user_sgpr_private_segment_buffer 1
		.amdhsa_user_sgpr_dispatch_ptr 0
		.amdhsa_user_sgpr_queue_ptr 0
		.amdhsa_user_sgpr_kernarg_segment_ptr 1
		.amdhsa_user_sgpr_dispatch_id 0
		.amdhsa_user_sgpr_flat_scratch_init 0
		.amdhsa_user_sgpr_private_segment_size 0
		.amdhsa_uses_dynamic_stack 0
		.amdhsa_system_sgpr_private_segment_wavefront_offset 0
		.amdhsa_system_sgpr_workgroup_id_x 1
		.amdhsa_system_sgpr_workgroup_id_y 1
		.amdhsa_system_sgpr_workgroup_id_z 0
		.amdhsa_system_sgpr_workgroup_info 0
		.amdhsa_system_vgpr_workitem_id 0
		.amdhsa_next_free_vgpr 5
		.amdhsa_next_free_sgpr 12
		.amdhsa_reserve_vcc 1
		.amdhsa_reserve_flat_scratch 0
		.amdhsa_float_round_mode_32 0
		.amdhsa_float_round_mode_16_64 0
		.amdhsa_float_denorm_mode_32 3
		.amdhsa_float_denorm_mode_16_64 3
		.amdhsa_dx10_clamp 1
		.amdhsa_ieee_mode 1
		.amdhsa_fp16_overflow 0
		.amdhsa_exception_fp_ieee_invalid_op 0
		.amdhsa_exception_fp_denorm_src 0
		.amdhsa_exception_fp_ieee_div_zero 0
		.amdhsa_exception_fp_ieee_overflow 0
		.amdhsa_exception_fp_ieee_underflow 0
		.amdhsa_exception_fp_ieee_inexact 0
		.amdhsa_exception_int_div_zero 0
	.end_amdhsa_kernel
	.section	.text._ZN9rocsparseL32gtsv_transpose_back_array_kernelILj256ELj256EdEEviiiPKT1_PS1_,"axG",@progbits,_ZN9rocsparseL32gtsv_transpose_back_array_kernelILj256ELj256EdEEviiiPKT1_PS1_,comdat
.Lfunc_end177:
	.size	_ZN9rocsparseL32gtsv_transpose_back_array_kernelILj256ELj256EdEEviiiPKT1_PS1_, .Lfunc_end177-_ZN9rocsparseL32gtsv_transpose_back_array_kernelILj256ELj256EdEEviiiPKT1_PS1_
                                        ; -- End function
	.set _ZN9rocsparseL32gtsv_transpose_back_array_kernelILj256ELj256EdEEviiiPKT1_PS1_.num_vgpr, 5
	.set _ZN9rocsparseL32gtsv_transpose_back_array_kernelILj256ELj256EdEEviiiPKT1_PS1_.num_agpr, 0
	.set _ZN9rocsparseL32gtsv_transpose_back_array_kernelILj256ELj256EdEEviiiPKT1_PS1_.numbered_sgpr, 12
	.set _ZN9rocsparseL32gtsv_transpose_back_array_kernelILj256ELj256EdEEviiiPKT1_PS1_.num_named_barrier, 0
	.set _ZN9rocsparseL32gtsv_transpose_back_array_kernelILj256ELj256EdEEviiiPKT1_PS1_.private_seg_size, 0
	.set _ZN9rocsparseL32gtsv_transpose_back_array_kernelILj256ELj256EdEEviiiPKT1_PS1_.uses_vcc, 1
	.set _ZN9rocsparseL32gtsv_transpose_back_array_kernelILj256ELj256EdEEviiiPKT1_PS1_.uses_flat_scratch, 0
	.set _ZN9rocsparseL32gtsv_transpose_back_array_kernelILj256ELj256EdEEviiiPKT1_PS1_.has_dyn_sized_stack, 0
	.set _ZN9rocsparseL32gtsv_transpose_back_array_kernelILj256ELj256EdEEviiiPKT1_PS1_.has_recursion, 0
	.set _ZN9rocsparseL32gtsv_transpose_back_array_kernelILj256ELj256EdEEviiiPKT1_PS1_.has_indirect_call, 0
	.section	.AMDGPU.csdata,"",@progbits
; Kernel info:
; codeLenInByte = 248
; TotalNumSgprs: 16
; NumVgprs: 5
; ScratchSize: 0
; MemoryBound: 0
; FloatMode: 240
; IeeeMode: 1
; LDSByteSize: 0 bytes/workgroup (compile time only)
; SGPRBlocks: 1
; VGPRBlocks: 1
; NumSGPRsForWavesPerEU: 16
; NumVGPRsForWavesPerEU: 5
; Occupancy: 10
; WaveLimiterHint : 0
; COMPUTE_PGM_RSRC2:SCRATCH_EN: 0
; COMPUTE_PGM_RSRC2:USER_SGPR: 6
; COMPUTE_PGM_RSRC2:TRAP_HANDLER: 0
; COMPUTE_PGM_RSRC2:TGID_X_EN: 1
; COMPUTE_PGM_RSRC2:TGID_Y_EN: 1
; COMPUTE_PGM_RSRC2:TGID_Z_EN: 0
; COMPUTE_PGM_RSRC2:TIDIG_COMP_CNT: 0
	.section	.text._ZN9rocsparseL42gtsv_transpose_and_pad_array_shared_kernelILj256ELj2E21rocsparse_complex_numIfEEEviiiPKT1_PS3_S3_,"axG",@progbits,_ZN9rocsparseL42gtsv_transpose_and_pad_array_shared_kernelILj256ELj2E21rocsparse_complex_numIfEEEviiiPKT1_PS3_S3_,comdat
	.globl	_ZN9rocsparseL42gtsv_transpose_and_pad_array_shared_kernelILj256ELj2E21rocsparse_complex_numIfEEEviiiPKT1_PS3_S3_ ; -- Begin function _ZN9rocsparseL42gtsv_transpose_and_pad_array_shared_kernelILj256ELj2E21rocsparse_complex_numIfEEEviiiPKT1_PS3_S3_
	.p2align	8
	.type	_ZN9rocsparseL42gtsv_transpose_and_pad_array_shared_kernelILj256ELj2E21rocsparse_complex_numIfEEEviiiPKT1_PS3_S3_,@function
_ZN9rocsparseL42gtsv_transpose_and_pad_array_shared_kernelILj256ELj2E21rocsparse_complex_numIfEEEviiiPKT1_PS3_S3_: ; @_ZN9rocsparseL42gtsv_transpose_and_pad_array_shared_kernelILj256ELj2E21rocsparse_complex_numIfEEEviiiPKT1_PS3_S3_
; %bb.0:
	s_load_dwordx4 s[0:3], s[4:5], 0x0
	v_lshl_or_b32 v3, s6, 8, v0
                                        ; implicit-def: $sgpr10_sgpr11
	s_waitcnt lgkmcnt(0)
	v_cmp_le_i32_e32 vcc, s0, v3
	s_and_saveexec_b64 s[8:9], vcc
	s_xor_b64 s[8:9], exec, s[8:9]
; %bb.1:
	s_load_dwordx2 s[10:11], s[4:5], 0x20
                                        ; implicit-def: $vgpr3
; %bb.2:
	s_or_saveexec_b64 s[8:9], s[8:9]
	s_waitcnt lgkmcnt(0)
	v_mov_b32_e32 v1, s10
	v_mov_b32_e32 v2, s11
	s_xor_b64 exec, exec, s[8:9]
	s_cbranch_execz .LBB178_4
; %bb.3:
	s_load_dwordx2 s[10:11], s[4:5], 0x10
	s_mul_i32 s0, s2, s7
	v_add_u32_e32 v1, s0, v3
	v_ashrrev_i32_e32 v2, 31, v1
	v_lshlrev_b64 v[1:2], 3, v[1:2]
	s_waitcnt lgkmcnt(0)
	v_mov_b32_e32 v3, s11
	v_add_co_u32_e32 v1, vcc, s10, v1
	v_addc_co_u32_e32 v2, vcc, v3, v2, vcc
	global_load_dwordx2 v[1:2], v[1:2], off
.LBB178_4:
	s_or_b64 exec, exec, s[8:9]
	v_lshrrev_b32_e32 v3, 7, v0
	v_and_b32_e32 v4, 0x7f, v0
	v_lshlrev_b32_e32 v0, 3, v0
	s_waitcnt vmcnt(0)
	ds_write_b64 v0, v[1:2]
	s_lshr_b32 s0, s1, 1
	v_lshl_or_b32 v0, s6, 7, v4
	v_mad_u64_u32 v[0:1], s[2:3], s0, v3, v[0:1]
	s_waitcnt lgkmcnt(0)
	s_barrier
	v_cmp_gt_i32_e32 vcc, s1, v0
	s_and_saveexec_b64 s[2:3], vcc
	s_cbranch_execz .LBB178_6
; %bb.5:
	s_load_dwordx2 s[2:3], s[4:5], 0x18
	v_lshlrev_b32_e32 v1, 3, v3
	s_mul_i32 s0, s1, s7
	v_lshl_or_b32 v2, v4, 4, v1
	v_add_u32_e32 v0, s0, v0
	v_ashrrev_i32_e32 v1, 31, v0
	ds_read_b64 v[2:3], v2
	v_lshlrev_b64 v[0:1], 3, v[0:1]
	s_waitcnt lgkmcnt(0)
	v_mov_b32_e32 v4, s3
	v_add_co_u32_e32 v0, vcc, s2, v0
	v_addc_co_u32_e32 v1, vcc, v4, v1, vcc
	global_store_dwordx2 v[0:1], v[2:3], off
.LBB178_6:
	s_endpgm
	.section	.rodata,"a",@progbits
	.p2align	6, 0x0
	.amdhsa_kernel _ZN9rocsparseL42gtsv_transpose_and_pad_array_shared_kernelILj256ELj2E21rocsparse_complex_numIfEEEviiiPKT1_PS3_S3_
		.amdhsa_group_segment_fixed_size 2048
		.amdhsa_private_segment_fixed_size 0
		.amdhsa_kernarg_size 40
		.amdhsa_user_sgpr_count 6
		.amdhsa_user_sgpr_private_segment_buffer 1
		.amdhsa_user_sgpr_dispatch_ptr 0
		.amdhsa_user_sgpr_queue_ptr 0
		.amdhsa_user_sgpr_kernarg_segment_ptr 1
		.amdhsa_user_sgpr_dispatch_id 0
		.amdhsa_user_sgpr_flat_scratch_init 0
		.amdhsa_user_sgpr_private_segment_size 0
		.amdhsa_uses_dynamic_stack 0
		.amdhsa_system_sgpr_private_segment_wavefront_offset 0
		.amdhsa_system_sgpr_workgroup_id_x 1
		.amdhsa_system_sgpr_workgroup_id_y 1
		.amdhsa_system_sgpr_workgroup_id_z 0
		.amdhsa_system_sgpr_workgroup_info 0
		.amdhsa_system_vgpr_workitem_id 0
		.amdhsa_next_free_vgpr 5
		.amdhsa_next_free_sgpr 12
		.amdhsa_reserve_vcc 1
		.amdhsa_reserve_flat_scratch 0
		.amdhsa_float_round_mode_32 0
		.amdhsa_float_round_mode_16_64 0
		.amdhsa_float_denorm_mode_32 3
		.amdhsa_float_denorm_mode_16_64 3
		.amdhsa_dx10_clamp 1
		.amdhsa_ieee_mode 1
		.amdhsa_fp16_overflow 0
		.amdhsa_exception_fp_ieee_invalid_op 0
		.amdhsa_exception_fp_denorm_src 0
		.amdhsa_exception_fp_ieee_div_zero 0
		.amdhsa_exception_fp_ieee_overflow 0
		.amdhsa_exception_fp_ieee_underflow 0
		.amdhsa_exception_fp_ieee_inexact 0
		.amdhsa_exception_int_div_zero 0
	.end_amdhsa_kernel
	.section	.text._ZN9rocsparseL42gtsv_transpose_and_pad_array_shared_kernelILj256ELj2E21rocsparse_complex_numIfEEEviiiPKT1_PS3_S3_,"axG",@progbits,_ZN9rocsparseL42gtsv_transpose_and_pad_array_shared_kernelILj256ELj2E21rocsparse_complex_numIfEEEviiiPKT1_PS3_S3_,comdat
.Lfunc_end178:
	.size	_ZN9rocsparseL42gtsv_transpose_and_pad_array_shared_kernelILj256ELj2E21rocsparse_complex_numIfEEEviiiPKT1_PS3_S3_, .Lfunc_end178-_ZN9rocsparseL42gtsv_transpose_and_pad_array_shared_kernelILj256ELj2E21rocsparse_complex_numIfEEEviiiPKT1_PS3_S3_
                                        ; -- End function
	.set _ZN9rocsparseL42gtsv_transpose_and_pad_array_shared_kernelILj256ELj2E21rocsparse_complex_numIfEEEviiiPKT1_PS3_S3_.num_vgpr, 5
	.set _ZN9rocsparseL42gtsv_transpose_and_pad_array_shared_kernelILj256ELj2E21rocsparse_complex_numIfEEEviiiPKT1_PS3_S3_.num_agpr, 0
	.set _ZN9rocsparseL42gtsv_transpose_and_pad_array_shared_kernelILj256ELj2E21rocsparse_complex_numIfEEEviiiPKT1_PS3_S3_.numbered_sgpr, 12
	.set _ZN9rocsparseL42gtsv_transpose_and_pad_array_shared_kernelILj256ELj2E21rocsparse_complex_numIfEEEviiiPKT1_PS3_S3_.num_named_barrier, 0
	.set _ZN9rocsparseL42gtsv_transpose_and_pad_array_shared_kernelILj256ELj2E21rocsparse_complex_numIfEEEviiiPKT1_PS3_S3_.private_seg_size, 0
	.set _ZN9rocsparseL42gtsv_transpose_and_pad_array_shared_kernelILj256ELj2E21rocsparse_complex_numIfEEEviiiPKT1_PS3_S3_.uses_vcc, 1
	.set _ZN9rocsparseL42gtsv_transpose_and_pad_array_shared_kernelILj256ELj2E21rocsparse_complex_numIfEEEviiiPKT1_PS3_S3_.uses_flat_scratch, 0
	.set _ZN9rocsparseL42gtsv_transpose_and_pad_array_shared_kernelILj256ELj2E21rocsparse_complex_numIfEEEviiiPKT1_PS3_S3_.has_dyn_sized_stack, 0
	.set _ZN9rocsparseL42gtsv_transpose_and_pad_array_shared_kernelILj256ELj2E21rocsparse_complex_numIfEEEviiiPKT1_PS3_S3_.has_recursion, 0
	.set _ZN9rocsparseL42gtsv_transpose_and_pad_array_shared_kernelILj256ELj2E21rocsparse_complex_numIfEEEviiiPKT1_PS3_S3_.has_indirect_call, 0
	.section	.AMDGPU.csdata,"",@progbits
; Kernel info:
; codeLenInByte = 264
; TotalNumSgprs: 16
; NumVgprs: 5
; ScratchSize: 0
; MemoryBound: 0
; FloatMode: 240
; IeeeMode: 1
; LDSByteSize: 2048 bytes/workgroup (compile time only)
; SGPRBlocks: 1
; VGPRBlocks: 1
; NumSGPRsForWavesPerEU: 16
; NumVGPRsForWavesPerEU: 5
; Occupancy: 10
; WaveLimiterHint : 0
; COMPUTE_PGM_RSRC2:SCRATCH_EN: 0
; COMPUTE_PGM_RSRC2:USER_SGPR: 6
; COMPUTE_PGM_RSRC2:TRAP_HANDLER: 0
; COMPUTE_PGM_RSRC2:TGID_X_EN: 1
; COMPUTE_PGM_RSRC2:TGID_Y_EN: 1
; COMPUTE_PGM_RSRC2:TGID_Z_EN: 0
; COMPUTE_PGM_RSRC2:TIDIG_COMP_CNT: 0
	.section	.text._ZN9rocsparseL18gtsv_LBM_wv_kernelILj256ELj2E21rocsparse_complex_numIfEEEviiiPKT1_S5_S5_PS3_S6_S6_Pi,"axG",@progbits,_ZN9rocsparseL18gtsv_LBM_wv_kernelILj256ELj2E21rocsparse_complex_numIfEEEviiiPKT1_S5_S5_PS3_S6_S6_Pi,comdat
	.globl	_ZN9rocsparseL18gtsv_LBM_wv_kernelILj256ELj2E21rocsparse_complex_numIfEEEviiiPKT1_S5_S5_PS3_S6_S6_Pi ; -- Begin function _ZN9rocsparseL18gtsv_LBM_wv_kernelILj256ELj2E21rocsparse_complex_numIfEEEviiiPKT1_S5_S5_PS3_S6_S6_Pi
	.p2align	8
	.type	_ZN9rocsparseL18gtsv_LBM_wv_kernelILj256ELj2E21rocsparse_complex_numIfEEEviiiPKT1_S5_S5_PS3_S6_S6_Pi,@function
_ZN9rocsparseL18gtsv_LBM_wv_kernelILj256ELj2E21rocsparse_complex_numIfEEEviiiPKT1_S5_S5_PS3_S6_S6_Pi: ; @_ZN9rocsparseL18gtsv_LBM_wv_kernelILj256ELj2E21rocsparse_complex_numIfEEEviiiPKT1_S5_S5_PS3_S6_S6_Pi
; %bb.0:
	s_load_dword s27, s[4:5], 0x0
	v_lshl_or_b32 v0, s6, 8, v0
	s_waitcnt lgkmcnt(0)
	s_lshr_b32 s26, s27, 1
	v_cmp_gt_i32_e32 vcc, s26, v0
	s_and_saveexec_b64 s[0:1], vcc
	s_cbranch_execz .LBB179_62
; %bb.1:
	s_load_dwordx2 s[16:17], s[4:5], 0x10
	s_load_dwordx8 s[8:15], s[4:5], 0x20
	v_ashrrev_i32_e32 v1, 31, v0
	v_lshlrev_b64 v[6:7], 3, v[0:1]
	s_load_dwordx2 s[6:7], s[4:5], 0x40
	s_waitcnt lgkmcnt(0)
	v_mov_b32_e32 v2, s17
	v_add_co_u32_e32 v1, vcc, s16, v6
	v_addc_co_u32_e32 v2, vcc, v2, v7, vcc
	global_load_dwordx2 v[8:9], v[1:2], off
	v_add_u32_e32 v1, s26, v0
	v_mov_b32_e32 v2, 0
	v_lshlrev_b64 v[10:11], 3, v[1:2]
	v_mov_b32_e32 v4, s9
	v_add_co_u32_e32 v3, vcc, s8, v10
	v_addc_co_u32_e32 v4, vcc, v4, v11, vcc
	global_load_dwordx2 v[12:13], v[3:4], off
	v_mov_b32_e32 v4, s11
	v_add_co_u32_e32 v3, vcc, s10, v6
	v_addc_co_u32_e32 v4, vcc, v4, v7, vcc
	v_mov_b32_e32 v5, s13
	v_add_co_u32_e32 v10, vcc, s12, v10
	s_cmp_lt_i32 s27, 1
	v_addc_co_u32_e32 v11, vcc, v5, v11, vcc
	v_mov_b32_e32 v5, v2
	s_waitcnt vmcnt(1)
	global_store_dwordx2 v[3:4], v[8:9], off
	s_waitcnt vmcnt(1)
	global_store_dwordx2 v[10:11], v[12:13], off
	s_cbranch_scc1 .LBB179_55
; %bb.2:
	s_load_dwordx2 s[4:5], s[4:5], 0x18
	s_mov_b32 s20, 0x372fe950
	s_and_b32 s28, s27, 0x7ffffffe
	s_mov_b64 s[18:19], 0
	s_mov_b32 s29, 0xf800000
	s_waitcnt lgkmcnt(0)
	v_mov_b32_e32 v2, s5
	v_add_co_u32_e32 v5, vcc, s4, v6
	v_addc_co_u32_e32 v6, vcc, v2, v7, vcc
	global_load_dwordx2 v[9:10], v[5:6], off
	v_mov_b32_e32 v5, 0
	v_mov_b32_e32 v2, 0x260
	s_mov_b32 s21, 0x3fe3c6ef
	v_mov_b32_e32 v35, 2
	v_mov_b32_e32 v36, 1
	;; [unrolled: 1-line block ×3, first 2 shown]
	s_branch .LBB179_5
.LBB179_3:                              ;   in Loop: Header=BB179_5 Depth=1
	s_or_b64 exec, exec, s[22:23]
	v_mul_f32_e64 v7, v9, -v24
	v_mul_f32_e32 v8, v9, v23
	v_fmac_f32_e32 v7, v23, v6
	v_fmac_f32_e32 v8, v24, v6
	v_sub_f32_e32 v6, v19, v7
	v_sub_f32_e32 v17, v20, v8
	v_mov_b32_e32 v18, s26
.LBB179_4:                              ;   in Loop: Header=BB179_5 Depth=1
	s_or_b64 exec, exec, s[2:3]
	v_add_u32_e32 v5, v18, v5
	v_cmp_le_i32_e32 vcc, s27, v5
	s_or_b64 s[18:19], vcc, s[18:19]
	v_mov_b32_e32 v10, v17
	v_mov_b32_e32 v9, v6
	s_andn2_b64 exec, exec, s[18:19]
	s_cbranch_execz .LBB179_54
.LBB179_5:                              ; =>This Inner Loop Header: Depth=1
	v_add_u32_e32 v13, v5, v0
	v_ashrrev_i32_e32 v14, 31, v13
	v_lshlrev_b64 v[15:16], 3, v[13:14]
	v_cmp_gt_u32_e64 s[0:1], s26, v5
	v_add_co_u32_e32 v6, vcc, s8, v15
	v_addc_co_u32_e32 v7, vcc, v37, v16, vcc
	global_load_dwordx2 v[11:12], v[6:7], off
	v_mov_b32_e32 v7, 0
	v_mov_b32_e32 v8, 0
	s_and_saveexec_b64 s[2:3], s[0:1]
	s_cbranch_execz .LBB179_7
; %bb.6:                                ;   in Loop: Header=BB179_5 Depth=1
	v_add_u32_e32 v6, v1, v5
	v_ashrrev_i32_e32 v7, 31, v6
	v_lshlrev_b64 v[6:7], 3, v[6:7]
	v_mov_b32_e32 v8, s17
	v_add_co_u32_e32 v6, vcc, s16, v6
	v_addc_co_u32_e32 v7, vcc, v8, v7, vcc
	global_load_dwordx2 v[7:8], v[6:7], off
.LBB179_7:                              ;   in Loop: Header=BB179_5 Depth=1
	s_or_b64 exec, exec, s[2:3]
	v_mov_b32_e32 v17, 0
	v_mov_b32_e32 v19, 0
	;; [unrolled: 1-line block ×3, first 2 shown]
	s_and_saveexec_b64 s[2:3], s[0:1]
	s_cbranch_execz .LBB179_9
; %bb.8:                                ;   in Loop: Header=BB179_5 Depth=1
	v_add_u32_e32 v18, v1, v5
	v_ashrrev_i32_e32 v19, 31, v18
	v_lshlrev_b64 v[18:19], 3, v[18:19]
	v_mov_b32_e32 v6, s5
	v_add_co_u32_e32 v18, vcc, s4, v18
	v_addc_co_u32_e32 v19, vcc, v6, v19, vcc
	global_load_dwordx2 v[19:20], v[18:19], off
.LBB179_9:                              ;   in Loop: Header=BB179_5 Depth=1
	s_or_b64 exec, exec, s[2:3]
	v_mov_b32_e32 v18, 0
	s_and_saveexec_b64 s[2:3], s[0:1]
	s_cbranch_execz .LBB179_11
; %bb.10:                               ;   in Loop: Header=BB179_5 Depth=1
	v_add_u32_e32 v17, v1, v5
	v_ashrrev_i32_e32 v18, 31, v17
	v_lshlrev_b64 v[17:18], 3, v[17:18]
	v_mov_b32_e32 v6, s9
	v_add_co_u32_e32 v17, vcc, s8, v17
	v_addc_co_u32_e32 v18, vcc, v6, v18, vcc
	global_load_dwordx2 v[17:18], v[17:18], off
.LBB179_11:                             ;   in Loop: Header=BB179_5 Depth=1
	s_or_b64 exec, exec, s[2:3]
	s_waitcnt vmcnt(0)
	v_cmp_gt_f32_e32 vcc, 0, v7
	v_cndmask_b32_e64 v21, v7, -v7, vcc
	v_cmp_gt_f32_e32 vcc, 0, v8
	v_cndmask_b32_e64 v22, v8, -v8, vcc
	v_cmp_ngt_f32_e32 vcc, v21, v22
                                        ; implicit-def: $vgpr6
	s_and_saveexec_b64 s[2:3], vcc
	s_xor_b64 s[22:23], exec, s[2:3]
	s_cbranch_execz .LBB179_15
; %bb.12:                               ;   in Loop: Header=BB179_5 Depth=1
	v_mov_b32_e32 v6, 0
	v_cmp_neq_f32_e32 vcc, 0, v8
	s_and_saveexec_b64 s[24:25], vcc
	s_cbranch_execz .LBB179_14
; %bb.13:                               ;   in Loop: Header=BB179_5 Depth=1
	v_div_scale_f32 v6, s[2:3], v22, v22, v21
	v_div_scale_f32 v23, vcc, v21, v22, v21
	v_rcp_f32_e32 v24, v6
	v_fma_f32 v25, -v6, v24, 1.0
	v_fmac_f32_e32 v24, v25, v24
	v_mul_f32_e32 v25, v23, v24
	v_fma_f32 v26, -v6, v25, v23
	v_fmac_f32_e32 v25, v26, v24
	v_fma_f32 v6, -v6, v25, v23
	v_div_fmas_f32 v6, v6, v24, v25
	v_div_fixup_f32 v6, v6, v22, v21
	v_fma_f32 v6, v6, v6, 1.0
	v_mul_f32_e32 v21, 0x4f800000, v6
	v_cmp_gt_f32_e32 vcc, s29, v6
	v_cndmask_b32_e32 v6, v6, v21, vcc
	v_sqrt_f32_e32 v21, v6
	v_add_u32_e32 v23, -1, v21
	v_add_u32_e32 v24, 1, v21
	v_fma_f32 v25, -v23, v21, v6
	v_fma_f32 v26, -v24, v21, v6
	v_cmp_ge_f32_e64 s[2:3], 0, v25
	v_cndmask_b32_e64 v21, v21, v23, s[2:3]
	v_cmp_lt_f32_e64 s[2:3], 0, v26
	v_cndmask_b32_e64 v21, v21, v24, s[2:3]
	v_mul_f32_e32 v23, 0x37800000, v21
	v_cndmask_b32_e32 v21, v21, v23, vcc
	v_cmp_class_f32_e32 vcc, v6, v2
	v_cndmask_b32_e32 v6, v21, v6, vcc
	v_mul_f32_e32 v6, v22, v6
.LBB179_14:                             ;   in Loop: Header=BB179_5 Depth=1
	s_or_b64 exec, exec, s[24:25]
                                        ; implicit-def: $vgpr21
                                        ; implicit-def: $vgpr22
.LBB179_15:                             ;   in Loop: Header=BB179_5 Depth=1
	s_andn2_saveexec_b64 s[22:23], s[22:23]
	s_cbranch_execz .LBB179_17
; %bb.16:                               ;   in Loop: Header=BB179_5 Depth=1
	v_div_scale_f32 v6, s[2:3], v21, v21, v22
	v_div_scale_f32 v23, vcc, v22, v21, v22
	v_rcp_f32_e32 v24, v6
	v_fma_f32 v25, -v6, v24, 1.0
	v_fmac_f32_e32 v24, v25, v24
	v_mul_f32_e32 v25, v23, v24
	v_fma_f32 v26, -v6, v25, v23
	v_fmac_f32_e32 v25, v26, v24
	v_fma_f32 v6, -v6, v25, v23
	v_div_fmas_f32 v6, v6, v24, v25
	v_div_fixup_f32 v6, v6, v21, v22
	v_fma_f32 v6, v6, v6, 1.0
	v_mul_f32_e32 v22, 0x4f800000, v6
	v_cmp_gt_f32_e32 vcc, s29, v6
	v_cndmask_b32_e32 v6, v6, v22, vcc
	v_sqrt_f32_e32 v22, v6
	v_add_u32_e32 v23, -1, v22
	v_add_u32_e32 v24, 1, v22
	v_fma_f32 v25, -v23, v22, v6
	v_fma_f32 v26, -v24, v22, v6
	v_cmp_ge_f32_e64 s[2:3], 0, v25
	v_cndmask_b32_e64 v22, v22, v23, s[2:3]
	v_cmp_lt_f32_e64 s[2:3], 0, v26
	v_cndmask_b32_e64 v22, v22, v24, s[2:3]
	v_mul_f32_e32 v23, 0x37800000, v22
	v_cndmask_b32_e32 v22, v22, v23, vcc
	v_cmp_class_f32_e32 vcc, v6, v2
	v_cndmask_b32_e32 v6, v22, v6, vcc
	v_mul_f32_e32 v6, v21, v6
.LBB179_17:                             ;   in Loop: Header=BB179_5 Depth=1
	s_or_b64 exec, exec, s[22:23]
	v_cmp_gt_f32_e32 vcc, 0, v19
	v_cndmask_b32_e64 v22, v19, -v19, vcc
	v_cmp_gt_f32_e32 vcc, 0, v20
	v_cndmask_b32_e64 v23, v20, -v20, vcc
	v_cmp_ngt_f32_e32 vcc, v22, v23
                                        ; implicit-def: $vgpr21
	s_and_saveexec_b64 s[2:3], vcc
	s_xor_b64 s[22:23], exec, s[2:3]
	s_cbranch_execz .LBB179_21
; %bb.18:                               ;   in Loop: Header=BB179_5 Depth=1
	v_mov_b32_e32 v21, 0
	v_cmp_neq_f32_e32 vcc, 0, v20
	s_and_saveexec_b64 s[24:25], vcc
	s_cbranch_execz .LBB179_20
; %bb.19:                               ;   in Loop: Header=BB179_5 Depth=1
	v_div_scale_f32 v21, s[2:3], v23, v23, v22
	v_div_scale_f32 v24, vcc, v22, v23, v22
	v_rcp_f32_e32 v25, v21
	v_fma_f32 v26, -v21, v25, 1.0
	v_fmac_f32_e32 v25, v26, v25
	v_mul_f32_e32 v26, v24, v25
	v_fma_f32 v27, -v21, v26, v24
	v_fmac_f32_e32 v26, v27, v25
	v_fma_f32 v21, -v21, v26, v24
	v_div_fmas_f32 v21, v21, v25, v26
	v_div_fixup_f32 v21, v21, v23, v22
	v_fma_f32 v21, v21, v21, 1.0
	v_mul_f32_e32 v22, 0x4f800000, v21
	v_cmp_gt_f32_e32 vcc, s29, v21
	v_cndmask_b32_e32 v21, v21, v22, vcc
	v_sqrt_f32_e32 v22, v21
	v_add_u32_e32 v24, -1, v22
	v_add_u32_e32 v25, 1, v22
	v_fma_f32 v26, -v24, v22, v21
	v_fma_f32 v27, -v25, v22, v21
	v_cmp_ge_f32_e64 s[2:3], 0, v26
	v_cndmask_b32_e64 v22, v22, v24, s[2:3]
	v_cmp_lt_f32_e64 s[2:3], 0, v27
	v_cndmask_b32_e64 v22, v22, v25, s[2:3]
	v_mul_f32_e32 v24, 0x37800000, v22
	v_cndmask_b32_e32 v22, v22, v24, vcc
	v_cmp_class_f32_e32 vcc, v21, v2
	v_cndmask_b32_e32 v21, v22, v21, vcc
	v_mul_f32_e32 v21, v23, v21
.LBB179_20:                             ;   in Loop: Header=BB179_5 Depth=1
	s_or_b64 exec, exec, s[24:25]
                                        ; implicit-def: $vgpr22
                                        ; implicit-def: $vgpr23
.LBB179_21:                             ;   in Loop: Header=BB179_5 Depth=1
	s_andn2_saveexec_b64 s[22:23], s[22:23]
	s_cbranch_execz .LBB179_23
; %bb.22:                               ;   in Loop: Header=BB179_5 Depth=1
	v_div_scale_f32 v21, s[2:3], v22, v22, v23
	v_div_scale_f32 v24, vcc, v23, v22, v23
	v_rcp_f32_e32 v25, v21
	v_fma_f32 v26, -v21, v25, 1.0
	v_fmac_f32_e32 v25, v26, v25
	v_mul_f32_e32 v26, v24, v25
	v_fma_f32 v27, -v21, v26, v24
	v_fmac_f32_e32 v26, v27, v25
	v_fma_f32 v21, -v21, v26, v24
	v_div_fmas_f32 v21, v21, v25, v26
	v_div_fixup_f32 v21, v21, v22, v23
	v_fma_f32 v21, v21, v21, 1.0
	v_mul_f32_e32 v23, 0x4f800000, v21
	v_cmp_gt_f32_e32 vcc, s29, v21
	v_cndmask_b32_e32 v21, v21, v23, vcc
	v_sqrt_f32_e32 v23, v21
	v_add_u32_e32 v24, -1, v23
	v_add_u32_e32 v25, 1, v23
	v_fma_f32 v26, -v24, v23, v21
	v_fma_f32 v27, -v25, v23, v21
	v_cmp_ge_f32_e64 s[2:3], 0, v26
	v_cndmask_b32_e64 v23, v23, v24, s[2:3]
	v_cmp_lt_f32_e64 s[2:3], 0, v27
	v_cndmask_b32_e64 v23, v23, v25, s[2:3]
	v_mul_f32_e32 v24, 0x37800000, v23
	v_cndmask_b32_e32 v23, v23, v24, vcc
	v_cmp_class_f32_e32 vcc, v21, v2
	v_cndmask_b32_e32 v21, v23, v21, vcc
	v_mul_f32_e32 v21, v22, v21
.LBB179_23:                             ;   in Loop: Header=BB179_5 Depth=1
	s_or_b64 exec, exec, s[22:23]
	v_cmp_gt_f32_e32 vcc, 0, v11
	v_cndmask_b32_e64 v23, v11, -v11, vcc
	v_cmp_gt_f32_e32 vcc, 0, v12
	v_cndmask_b32_e64 v24, v12, -v12, vcc
	v_cmp_ngt_f32_e32 vcc, v23, v24
                                        ; implicit-def: $vgpr22
	s_and_saveexec_b64 s[2:3], vcc
	s_xor_b64 s[22:23], exec, s[2:3]
	s_cbranch_execz .LBB179_27
; %bb.24:                               ;   in Loop: Header=BB179_5 Depth=1
	v_mov_b32_e32 v22, 0
	v_cmp_neq_f32_e32 vcc, 0, v12
	s_and_saveexec_b64 s[24:25], vcc
	s_cbranch_execz .LBB179_26
; %bb.25:                               ;   in Loop: Header=BB179_5 Depth=1
	v_div_scale_f32 v22, s[2:3], v24, v24, v23
	v_div_scale_f32 v25, vcc, v23, v24, v23
	v_rcp_f32_e32 v26, v22
	v_fma_f32 v27, -v22, v26, 1.0
	v_fmac_f32_e32 v26, v27, v26
	v_mul_f32_e32 v27, v25, v26
	v_fma_f32 v28, -v22, v27, v25
	v_fmac_f32_e32 v27, v28, v26
	v_fma_f32 v22, -v22, v27, v25
	v_div_fmas_f32 v22, v22, v26, v27
	v_div_fixup_f32 v22, v22, v24, v23
	v_fma_f32 v22, v22, v22, 1.0
	v_mul_f32_e32 v23, 0x4f800000, v22
	v_cmp_gt_f32_e32 vcc, s29, v22
	v_cndmask_b32_e32 v22, v22, v23, vcc
	v_sqrt_f32_e32 v23, v22
	v_add_u32_e32 v25, -1, v23
	v_add_u32_e32 v26, 1, v23
	v_fma_f32 v27, -v25, v23, v22
	v_fma_f32 v28, -v26, v23, v22
	v_cmp_ge_f32_e64 s[2:3], 0, v27
	v_cndmask_b32_e64 v23, v23, v25, s[2:3]
	v_cmp_lt_f32_e64 s[2:3], 0, v28
	v_cndmask_b32_e64 v23, v23, v26, s[2:3]
	v_mul_f32_e32 v25, 0x37800000, v23
	v_cndmask_b32_e32 v23, v23, v25, vcc
	v_cmp_class_f32_e32 vcc, v22, v2
	v_cndmask_b32_e32 v22, v23, v22, vcc
	v_mul_f32_e32 v22, v24, v22
.LBB179_26:                             ;   in Loop: Header=BB179_5 Depth=1
	s_or_b64 exec, exec, s[24:25]
                                        ; implicit-def: $vgpr23
                                        ; implicit-def: $vgpr24
.LBB179_27:                             ;   in Loop: Header=BB179_5 Depth=1
	s_andn2_saveexec_b64 s[22:23], s[22:23]
	s_cbranch_execz .LBB179_29
; %bb.28:                               ;   in Loop: Header=BB179_5 Depth=1
	v_div_scale_f32 v22, s[2:3], v23, v23, v24
	v_div_scale_f32 v25, vcc, v24, v23, v24
	v_rcp_f32_e32 v26, v22
	v_fma_f32 v27, -v22, v26, 1.0
	v_fmac_f32_e32 v26, v27, v26
	v_mul_f32_e32 v27, v25, v26
	v_fma_f32 v28, -v22, v27, v25
	v_fmac_f32_e32 v27, v28, v26
	v_fma_f32 v22, -v22, v27, v25
	v_div_fmas_f32 v22, v22, v26, v27
	v_div_fixup_f32 v22, v22, v23, v24
	v_fma_f32 v22, v22, v22, 1.0
	v_mul_f32_e32 v24, 0x4f800000, v22
	v_cmp_gt_f32_e32 vcc, s29, v22
	v_cndmask_b32_e32 v22, v22, v24, vcc
	v_sqrt_f32_e32 v24, v22
	v_add_u32_e32 v25, -1, v24
	v_add_u32_e32 v26, 1, v24
	v_fma_f32 v27, -v25, v24, v22
	v_fma_f32 v28, -v26, v24, v22
	v_cmp_ge_f32_e64 s[2:3], 0, v27
	v_cndmask_b32_e64 v24, v24, v25, s[2:3]
	v_cmp_lt_f32_e64 s[2:3], 0, v28
	v_cndmask_b32_e64 v24, v24, v26, s[2:3]
	v_mul_f32_e32 v25, 0x37800000, v24
	v_cndmask_b32_e32 v24, v24, v25, vcc
	v_cmp_class_f32_e32 vcc, v22, v2
	v_cndmask_b32_e32 v22, v24, v22, vcc
	v_mul_f32_e32 v22, v23, v22
.LBB179_29:                             ;   in Loop: Header=BB179_5 Depth=1
	s_or_b64 exec, exec, s[22:23]
	v_cmp_gt_f32_e32 vcc, 0, v17
	v_cndmask_b32_e64 v23, v17, -v17, vcc
	v_cmp_gt_f32_e32 vcc, 0, v18
	v_cndmask_b32_e64 v24, v18, -v18, vcc
	v_cmp_ngt_f32_e32 vcc, v23, v24
                                        ; implicit-def: $vgpr25
	s_and_saveexec_b64 s[2:3], vcc
	s_xor_b64 s[22:23], exec, s[2:3]
	s_cbranch_execz .LBB179_33
; %bb.30:                               ;   in Loop: Header=BB179_5 Depth=1
	v_mov_b32_e32 v25, 0
	v_cmp_neq_f32_e32 vcc, 0, v18
	s_and_saveexec_b64 s[24:25], vcc
	s_cbranch_execz .LBB179_32
; %bb.31:                               ;   in Loop: Header=BB179_5 Depth=1
	v_div_scale_f32 v25, s[2:3], v24, v24, v23
	v_div_scale_f32 v26, vcc, v23, v24, v23
	v_rcp_f32_e32 v27, v25
	v_fma_f32 v28, -v25, v27, 1.0
	v_fmac_f32_e32 v27, v28, v27
	v_mul_f32_e32 v28, v26, v27
	v_fma_f32 v29, -v25, v28, v26
	v_fmac_f32_e32 v28, v29, v27
	v_fma_f32 v25, -v25, v28, v26
	v_div_fmas_f32 v25, v25, v27, v28
	v_div_fixup_f32 v23, v25, v24, v23
	v_fma_f32 v23, v23, v23, 1.0
	v_mul_f32_e32 v25, 0x4f800000, v23
	v_cmp_gt_f32_e32 vcc, s29, v23
	v_cndmask_b32_e32 v23, v23, v25, vcc
	v_sqrt_f32_e32 v25, v23
	v_add_u32_e32 v26, -1, v25
	v_add_u32_e32 v27, 1, v25
	v_fma_f32 v28, -v26, v25, v23
	v_fma_f32 v29, -v27, v25, v23
	v_cmp_ge_f32_e64 s[2:3], 0, v28
	v_cndmask_b32_e64 v25, v25, v26, s[2:3]
	v_cmp_lt_f32_e64 s[2:3], 0, v29
	v_cndmask_b32_e64 v25, v25, v27, s[2:3]
	v_mul_f32_e32 v26, 0x37800000, v25
	v_cndmask_b32_e32 v25, v25, v26, vcc
	v_cmp_class_f32_e32 vcc, v23, v2
	v_cndmask_b32_e32 v23, v25, v23, vcc
	v_mul_f32_e32 v25, v24, v23
.LBB179_32:                             ;   in Loop: Header=BB179_5 Depth=1
	s_or_b64 exec, exec, s[24:25]
                                        ; implicit-def: $vgpr23
                                        ; implicit-def: $vgpr24
.LBB179_33:                             ;   in Loop: Header=BB179_5 Depth=1
	s_andn2_saveexec_b64 s[22:23], s[22:23]
	s_cbranch_execz .LBB179_35
; %bb.34:                               ;   in Loop: Header=BB179_5 Depth=1
	v_div_scale_f32 v25, s[2:3], v23, v23, v24
	v_div_scale_f32 v26, vcc, v24, v23, v24
	v_rcp_f32_e32 v27, v25
	v_fma_f32 v28, -v25, v27, 1.0
	v_fmac_f32_e32 v27, v28, v27
	v_mul_f32_e32 v28, v26, v27
	v_fma_f32 v29, -v25, v28, v26
	v_fmac_f32_e32 v28, v29, v27
	v_fma_f32 v25, -v25, v28, v26
	v_div_fmas_f32 v25, v25, v27, v28
	v_div_fixup_f32 v24, v25, v23, v24
	v_fma_f32 v24, v24, v24, 1.0
	v_mul_f32_e32 v25, 0x4f800000, v24
	v_cmp_gt_f32_e32 vcc, s29, v24
	v_cndmask_b32_e32 v24, v24, v25, vcc
	v_sqrt_f32_e32 v25, v24
	v_add_u32_e32 v26, -1, v25
	v_add_u32_e32 v27, 1, v25
	v_fma_f32 v28, -v26, v25, v24
	v_fma_f32 v29, -v27, v25, v24
	v_cmp_ge_f32_e64 s[2:3], 0, v28
	v_cndmask_b32_e64 v25, v25, v26, s[2:3]
	v_cmp_lt_f32_e64 s[2:3], 0, v29
	v_cndmask_b32_e64 v25, v25, v27, s[2:3]
	v_mul_f32_e32 v26, 0x37800000, v25
	v_cndmask_b32_e32 v25, v25, v26, vcc
	v_cmp_class_f32_e32 vcc, v24, v2
	v_cndmask_b32_e32 v24, v25, v24, vcc
	v_mul_f32_e32 v25, v23, v24
.LBB179_35:                             ;   in Loop: Header=BB179_5 Depth=1
	s_or_b64 exec, exec, s[22:23]
	v_cmp_gt_f32_e32 vcc, 0, v9
	v_cndmask_b32_e64 v23, v9, -v9, vcc
	v_cmp_gt_f32_e32 vcc, 0, v10
	v_cndmask_b32_e64 v24, v10, -v10, vcc
	v_cmp_ngt_f32_e32 vcc, v23, v24
                                        ; implicit-def: $vgpr26
	s_and_saveexec_b64 s[2:3], vcc
	s_xor_b64 s[22:23], exec, s[2:3]
	s_cbranch_execz .LBB179_39
; %bb.36:                               ;   in Loop: Header=BB179_5 Depth=1
	v_mov_b32_e32 v26, 0
	v_cmp_neq_f32_e32 vcc, 0, v10
	s_and_saveexec_b64 s[24:25], vcc
	s_cbranch_execz .LBB179_38
; %bb.37:                               ;   in Loop: Header=BB179_5 Depth=1
	v_div_scale_f32 v26, s[2:3], v24, v24, v23
	v_div_scale_f32 v27, vcc, v23, v24, v23
	v_rcp_f32_e32 v28, v26
	v_fma_f32 v29, -v26, v28, 1.0
	v_fmac_f32_e32 v28, v29, v28
	v_mul_f32_e32 v29, v27, v28
	v_fma_f32 v30, -v26, v29, v27
	v_fmac_f32_e32 v29, v30, v28
	v_fma_f32 v26, -v26, v29, v27
	v_div_fmas_f32 v26, v26, v28, v29
	v_div_fixup_f32 v23, v26, v24, v23
	v_fma_f32 v23, v23, v23, 1.0
	v_mul_f32_e32 v26, 0x4f800000, v23
	v_cmp_gt_f32_e32 vcc, s29, v23
	v_cndmask_b32_e32 v23, v23, v26, vcc
	v_sqrt_f32_e32 v26, v23
	v_add_u32_e32 v27, -1, v26
	v_add_u32_e32 v28, 1, v26
	v_fma_f32 v29, -v27, v26, v23
	v_fma_f32 v30, -v28, v26, v23
	v_cmp_ge_f32_e64 s[2:3], 0, v29
	v_cndmask_b32_e64 v26, v26, v27, s[2:3]
	v_cmp_lt_f32_e64 s[2:3], 0, v30
	v_cndmask_b32_e64 v26, v26, v28, s[2:3]
	v_mul_f32_e32 v27, 0x37800000, v26
	v_cndmask_b32_e32 v26, v26, v27, vcc
	v_cmp_class_f32_e32 vcc, v23, v2
	v_cndmask_b32_e32 v23, v26, v23, vcc
	v_mul_f32_e32 v26, v24, v23
.LBB179_38:                             ;   in Loop: Header=BB179_5 Depth=1
	s_or_b64 exec, exec, s[24:25]
                                        ; implicit-def: $vgpr23
                                        ; implicit-def: $vgpr24
.LBB179_39:                             ;   in Loop: Header=BB179_5 Depth=1
	s_andn2_saveexec_b64 s[22:23], s[22:23]
	s_cbranch_execz .LBB179_41
; %bb.40:                               ;   in Loop: Header=BB179_5 Depth=1
	v_div_scale_f32 v26, s[2:3], v23, v23, v24
	v_div_scale_f32 v27, vcc, v24, v23, v24
	v_rcp_f32_e32 v28, v26
	v_fma_f32 v29, -v26, v28, 1.0
	v_fmac_f32_e32 v28, v29, v28
	v_mul_f32_e32 v29, v27, v28
	v_fma_f32 v30, -v26, v29, v27
	v_fmac_f32_e32 v29, v30, v28
	v_fma_f32 v26, -v26, v29, v27
	v_div_fmas_f32 v26, v26, v28, v29
	v_div_fixup_f32 v24, v26, v23, v24
	v_fma_f32 v24, v24, v24, 1.0
	v_mul_f32_e32 v26, 0x4f800000, v24
	v_cmp_gt_f32_e32 vcc, s29, v24
	v_cndmask_b32_e32 v24, v24, v26, vcc
	v_sqrt_f32_e32 v26, v24
	v_add_u32_e32 v27, -1, v26
	v_add_u32_e32 v28, 1, v26
	v_fma_f32 v29, -v27, v26, v24
	v_fma_f32 v30, -v28, v26, v24
	v_cmp_ge_f32_e64 s[2:3], 0, v29
	v_cndmask_b32_e64 v26, v26, v27, s[2:3]
	v_cmp_lt_f32_e64 s[2:3], 0, v30
	v_cndmask_b32_e64 v26, v26, v28, s[2:3]
	v_mul_f32_e32 v27, 0x37800000, v26
	v_cndmask_b32_e32 v26, v26, v27, vcc
	v_cmp_class_f32_e32 vcc, v24, v2
	v_cndmask_b32_e32 v24, v26, v24, vcc
	v_mul_f32_e32 v26, v23, v24
.LBB179_41:                             ;   in Loop: Header=BB179_5 Depth=1
	s_or_b64 exec, exec, s[22:23]
	v_mul_f32_e64 v23, v12, -v8
	v_fmac_f32_e32 v23, v7, v11
	v_mul_f32_e32 v24, v7, v12
	v_fmac_f32_e32 v24, v8, v11
	v_cmp_gt_f32_e32 vcc, 0, v23
	v_cndmask_b32_e64 v27, v23, -v23, vcc
	v_cmp_gt_f32_e32 vcc, 0, v24
	v_cndmask_b32_e64 v28, v24, -v24, vcc
	v_cmp_ngt_f32_e32 vcc, v27, v28
                                        ; implicit-def: $vgpr29
	s_and_saveexec_b64 s[2:3], vcc
	s_xor_b64 s[22:23], exec, s[2:3]
	s_cbranch_execz .LBB179_45
; %bb.42:                               ;   in Loop: Header=BB179_5 Depth=1
	v_mov_b32_e32 v29, 0
	v_cmp_neq_f32_e32 vcc, 0, v24
	s_and_saveexec_b64 s[24:25], vcc
	s_cbranch_execz .LBB179_44
; %bb.43:                               ;   in Loop: Header=BB179_5 Depth=1
	v_div_scale_f32 v29, s[2:3], v28, v28, v27
	v_div_scale_f32 v30, vcc, v27, v28, v27
	v_rcp_f32_e32 v31, v29
	v_fma_f32 v32, -v29, v31, 1.0
	v_fmac_f32_e32 v31, v32, v31
	v_mul_f32_e32 v32, v30, v31
	v_fma_f32 v33, -v29, v32, v30
	v_fmac_f32_e32 v32, v33, v31
	v_fma_f32 v29, -v29, v32, v30
	v_div_fmas_f32 v29, v29, v31, v32
	v_div_fixup_f32 v27, v29, v28, v27
	v_fma_f32 v27, v27, v27, 1.0
	v_mul_f32_e32 v29, 0x4f800000, v27
	v_cmp_gt_f32_e32 vcc, s29, v27
	v_cndmask_b32_e32 v27, v27, v29, vcc
	v_sqrt_f32_e32 v29, v27
	v_add_u32_e32 v30, -1, v29
	v_add_u32_e32 v31, 1, v29
	v_fma_f32 v32, -v30, v29, v27
	v_fma_f32 v33, -v31, v29, v27
	v_cmp_ge_f32_e64 s[2:3], 0, v32
	v_cndmask_b32_e64 v29, v29, v30, s[2:3]
	v_cmp_lt_f32_e64 s[2:3], 0, v33
	v_cndmask_b32_e64 v29, v29, v31, s[2:3]
	v_mul_f32_e32 v30, 0x37800000, v29
	v_cndmask_b32_e32 v29, v29, v30, vcc
	v_cmp_class_f32_e32 vcc, v27, v2
	v_cndmask_b32_e32 v27, v29, v27, vcc
	v_mul_f32_e32 v29, v28, v27
.LBB179_44:                             ;   in Loop: Header=BB179_5 Depth=1
	s_or_b64 exec, exec, s[24:25]
                                        ; implicit-def: $vgpr27
                                        ; implicit-def: $vgpr28
.LBB179_45:                             ;   in Loop: Header=BB179_5 Depth=1
	s_andn2_saveexec_b64 s[22:23], s[22:23]
	s_cbranch_execz .LBB179_47
; %bb.46:                               ;   in Loop: Header=BB179_5 Depth=1
	v_div_scale_f32 v29, s[2:3], v27, v27, v28
	v_div_scale_f32 v30, vcc, v28, v27, v28
	v_rcp_f32_e32 v31, v29
	v_fma_f32 v32, -v29, v31, 1.0
	v_fmac_f32_e32 v31, v32, v31
	v_mul_f32_e32 v32, v30, v31
	v_fma_f32 v33, -v29, v32, v30
	v_fmac_f32_e32 v32, v33, v31
	v_fma_f32 v29, -v29, v32, v30
	v_div_fmas_f32 v29, v29, v31, v32
	v_div_fixup_f32 v28, v29, v27, v28
	v_fma_f32 v28, v28, v28, 1.0
	v_mul_f32_e32 v29, 0x4f800000, v28
	v_cmp_gt_f32_e32 vcc, s29, v28
	v_cndmask_b32_e32 v28, v28, v29, vcc
	v_sqrt_f32_e32 v29, v28
	v_add_u32_e32 v30, -1, v29
	v_add_u32_e32 v31, 1, v29
	v_fma_f32 v32, -v30, v29, v28
	v_fma_f32 v33, -v31, v29, v28
	v_cmp_ge_f32_e64 s[2:3], 0, v32
	v_cndmask_b32_e64 v29, v29, v30, s[2:3]
	v_cmp_lt_f32_e64 s[2:3], 0, v33
	v_cndmask_b32_e64 v29, v29, v31, s[2:3]
	v_mul_f32_e32 v30, 0x37800000, v29
	v_cndmask_b32_e32 v29, v29, v30, vcc
	v_cmp_class_f32_e32 vcc, v28, v2
	v_cndmask_b32_e32 v28, v29, v28, vcc
	v_mul_f32_e32 v29, v27, v28
.LBB179_47:                             ;   in Loop: Header=BB179_5 Depth=1
	s_or_b64 exec, exec, s[22:23]
	v_cvt_f64_f32_e32 v[27:28], v6
	v_cvt_f64_f32_e32 v[30:31], v21
	v_cvt_f64_f32_e32 v[21:22], v22
	v_cmp_ne_u32_e64 s[2:3], s26, v5
	v_cmp_ngt_f64_e32 vcc, 0, v[27:28]
	v_cndmask_b32_e32 v28, 0, v28, vcc
	v_cndmask_b32_e32 v27, 0, v27, vcc
	v_cmp_gt_f64_e32 vcc, v[27:28], v[30:31]
	v_cndmask_b32_e32 v28, v31, v28, vcc
	v_cndmask_b32_e32 v27, v30, v27, vcc
	v_cmp_gt_f64_e32 vcc, v[27:28], v[21:22]
	v_cvt_f64_f32_e32 v[30:31], v25
	v_cvt_f64_f32_e32 v[25:26], v26
	v_cndmask_b32_e32 v22, v22, v28, vcc
	v_cndmask_b32_e32 v21, v21, v27, vcc
	v_cmp_gt_f64_e32 vcc, v[21:22], v[30:31]
	v_cvt_f64_f32_e32 v[27:28], v29
	v_cndmask_b32_e32 v22, v31, v22, vcc
	v_cndmask_b32_e32 v21, v30, v21, vcc
	v_mul_f64 v[21:22], v[21:22], v[25:26]
	v_mul_f64 v[25:26], v[27:28], s[20:21]
	v_cmp_nge_f64_e32 vcc, v[21:22], v[25:26]
	s_and_b64 s[2:3], s[2:3], vcc
	s_and_saveexec_b64 s[22:23], s[2:3]
	s_xor_b64 s[2:3], exec, s[22:23]
	s_cbranch_execz .LBB179_51
; %bb.48:                               ;   in Loop: Header=BB179_5 Depth=1
	v_mul_f32_e32 v21, v9, v20
	v_mul_f32_e64 v6, v20, -v10
	v_fmac_f32_e32 v21, v10, v19
	v_fmac_f32_e32 v6, v9, v19
	v_sub_f32_e32 v24, v21, v24
	v_sub_f32_e32 v25, v6, v23
	v_mul_f32_e32 v27, v24, v24
	v_fmac_f32_e32 v27, v25, v25
	v_div_scale_f32 v21, s[22:23], v27, v27, 1.0
	v_div_scale_f32 v22, vcc, 1.0, v27, 1.0
	v_ashrrev_i32_e32 v6, 31, v5
	v_fma_f32 v29, 0, v24, v25
	v_fma_f32 v30, v25, 0, -v24
	v_rcp_f32_e32 v23, v21
	v_fma_f32 v26, -v21, v23, 1.0
	v_fmac_f32_e32 v23, v26, v23
	v_mul_f32_e32 v26, v22, v23
	v_fma_f32 v28, -v21, v26, v22
	v_fmac_f32_e32 v26, v28, v23
	v_fma_f32 v21, -v21, v26, v22
	v_div_fmas_f32 v28, v21, v23, v26
	v_lshlrev_b64 v[22:23], 3, v[5:6]
	v_add_u32_e32 v21, v1, v5
	v_add_co_u32_e32 v31, vcc, v3, v22
	v_ashrrev_i32_e32 v22, 31, v21
	v_addc_co_u32_e32 v32, vcc, v4, v23, vcc
	v_lshlrev_b64 v[23:24], 3, v[21:22]
	v_mov_b32_e32 v6, s11
	v_add_co_u32_e32 v25, vcc, s10, v23
	v_addc_co_u32_e32 v26, vcc, v6, v24, vcc
	v_div_fixup_f32 v27, v28, v27, 1.0
	v_mul_f32_e32 v6, v29, v27
	v_mul_f32_e32 v38, v30, v27
	global_load_dwordx2 v[29:30], v[31:32], off
	global_load_dwordx2 v[27:28], v[25:26], off
	s_waitcnt vmcnt(1)
	v_mul_f32_e64 v33, v30, -v20
	s_waitcnt vmcnt(0)
	v_mul_f32_e64 v34, v28, -v12
	v_fmac_f32_e32 v33, v19, v29
	v_fmac_f32_e32 v34, v11, v27
	v_sub_f32_e32 v39, v33, v34
	v_mul_f32_e32 v33, v19, v30
	v_mul_f32_e32 v34, v28, v11
	v_fmac_f32_e32 v33, v20, v29
	v_fmac_f32_e32 v34, v12, v27
	v_sub_f32_e32 v40, v33, v34
	v_mul_f32_e64 v33, v38, -v40
	v_mul_f32_e32 v34, v38, v39
	v_fmac_f32_e32 v33, v39, v6
	v_fmac_f32_e32 v34, v40, v6
	global_store_dwordx2 v[31:32], v[33:34], off
	v_mov_b32_e32 v31, s13
	v_add_co_u32_e32 v39, vcc, s12, v15
	v_addc_co_u32_e32 v40, vcc, v31, v16, vcc
	global_load_dwordx2 v[31:32], v[39:40], off
	s_waitcnt vmcnt(0)
	v_mul_f32_e64 v41, v32, -v20
	v_mul_f32_e32 v42, v19, v32
	v_fmac_f32_e32 v41, v19, v31
	v_fmac_f32_e32 v42, v20, v31
	v_mov_b32_e32 v20, s13
	v_add_co_u32_e32 v19, vcc, s12, v23
	v_addc_co_u32_e32 v20, vcc, v20, v24, vcc
	global_load_dwordx2 v[33:34], v[19:20], off
	v_add_co_u32_e32 v15, vcc, s14, v15
	s_waitcnt vmcnt(0)
	v_mul_f32_e64 v43, v34, -v12
	v_fmac_f32_e32 v43, v11, v33
	v_sub_f32_e32 v43, v41, v43
	v_mul_f32_e32 v41, v34, v11
	v_fmac_f32_e32 v41, v12, v33
	v_sub_f32_e32 v44, v42, v41
	v_mul_f32_e64 v41, v38, -v44
	v_mul_f32_e32 v42, v38, v43
	v_fmac_f32_e32 v41, v43, v6
	v_fmac_f32_e32 v42, v44, v6
	global_store_dwordx2 v[39:40], v[41:42], off
	v_mov_b32_e32 v39, s15
	v_addc_co_u32_e32 v16, vcc, v39, v16, vcc
	v_mul_f32_e32 v39, v18, v12
	v_fma_f32 v39, -v11, v17, v39
	v_mul_f32_e64 v11, v18, -v11
	v_fma_f32 v40, -v12, v17, v11
	v_mul_f32_e64 v11, v38, -v40
	v_mul_f32_e32 v12, v38, v39
	v_fmac_f32_e32 v11, v39, v6
	v_fmac_f32_e32 v12, v40, v6
	global_store_dwordx2 v[15:16], v[11:12], off
	v_lshlrev_b64 v[11:12], 2, v[13:14]
	v_mov_b32_e32 v13, s7
	v_add_co_u32_e32 v11, vcc, s6, v11
	v_addc_co_u32_e32 v12, vcc, v13, v12, vcc
	global_store_dword v[11:12], v35, off
	s_and_saveexec_b64 s[22:23], s[0:1]
	s_cbranch_execz .LBB179_50
; %bb.49:                               ;   in Loop: Header=BB179_5 Depth=1
	v_mul_f32_e32 v11, v8, v30
	v_mul_f32_e64 v12, v30, -v7
	v_mul_f32_e64 v13, v28, -v10
	v_mul_f32_e32 v14, v9, v28
	v_fma_f32 v11, -v7, v29, v11
	v_fma_f32 v12, -v8, v29, v12
	v_fmac_f32_e32 v13, v9, v27
	v_fmac_f32_e32 v14, v10, v27
	v_add_f32_e32 v13, v11, v13
	v_add_f32_e32 v14, v12, v14
	v_mul_f32_e64 v11, v38, -v14
	v_mul_f32_e32 v12, v38, v13
	v_fmac_f32_e32 v11, v13, v6
	v_fmac_f32_e32 v12, v14, v6
	global_store_dwordx2 v[25:26], v[11:12], off
	v_mul_f32_e32 v11, v8, v32
	v_fma_f32 v11, -v7, v31, v11
	v_mul_f32_e64 v7, v32, -v7
	v_fma_f32 v7, -v8, v31, v7
	v_mul_f32_e64 v8, v34, -v10
	v_mul_f32_e32 v12, v9, v34
	v_fmac_f32_e32 v8, v9, v33
	v_fmac_f32_e32 v12, v10, v33
	v_add_f32_e32 v8, v11, v8
	v_add_f32_e32 v11, v7, v12
	v_mul_f32_e64 v7, v38, -v11
	v_fmac_f32_e32 v7, v8, v6
	v_mul_f32_e32 v8, v38, v8
	v_fmac_f32_e32 v8, v11, v6
	global_store_dwordx2 v[19:20], v[7:8], off
	v_mul_f32_e64 v8, v18, -v10
	v_fmac_f32_e32 v8, v9, v17
	v_mul_f32_e32 v9, v9, v18
	v_fmac_f32_e32 v9, v10, v17
	v_mul_f32_e64 v7, v38, -v9
	v_fmac_f32_e32 v7, v8, v6
	v_mul_f32_e32 v8, v38, v8
	v_fmac_f32_e32 v8, v9, v6
	v_mov_b32_e32 v6, s15
	v_add_co_u32_e32 v9, vcc, s14, v23
	v_addc_co_u32_e32 v10, vcc, v6, v24, vcc
	global_store_dwordx2 v[9:10], v[7:8], off
	v_lshlrev_b64 v[6:7], 2, v[21:22]
	v_mov_b32_e32 v8, s7
	v_add_co_u32_e32 v6, vcc, s6, v6
	v_addc_co_u32_e32 v7, vcc, v8, v7, vcc
	global_store_dword v[6:7], v35, off
.LBB179_50:                             ;   in Loop: Header=BB179_5 Depth=1
	s_or_b64 exec, exec, s[22:23]
                                        ; implicit-def: $vgpr10
                                        ; implicit-def: $vgpr11_vgpr12
                                        ; implicit-def: $vgpr7
                                        ; implicit-def: $vgpr19
                                        ; implicit-def: $vgpr23
                                        ; implicit-def: $vgpr24
                                        ; implicit-def: $vgpr13_vgpr14
                                        ; implicit-def: $vgpr15_vgpr16
.LBB179_51:                             ;   in Loop: Header=BB179_5 Depth=1
	s_or_saveexec_b64 s[2:3], s[2:3]
	v_mov_b32_e32 v6, 0
	v_mov_b32_e32 v18, s28
	v_mov_b32_e32 v17, 0
	s_xor_b64 exec, exec, s[2:3]
	s_cbranch_execz .LBB179_4
; %bb.52:                               ;   in Loop: Header=BB179_5 Depth=1
	v_ashrrev_i32_e32 v6, 31, v5
	v_lshlrev_b64 v[17:18], 3, v[5:6]
	v_mov_b32_e32 v6, s13
	v_add_co_u32_e32 v21, vcc, s12, v15
	v_addc_co_u32_e32 v22, vcc, v6, v16, vcc
	v_add_co_u32_e32 v27, vcc, v3, v17
	v_addc_co_u32_e32 v28, vcc, v4, v18, vcc
	global_load_dwordx2 v[25:26], v[21:22], off
	global_load_dwordx2 v[17:18], v[27:28], off
	v_mul_f32_e32 v6, v10, v10
	v_fmac_f32_e32 v6, v9, v9
	v_div_scale_f32 v29, s[22:23], v6, v6, 1.0
	v_div_scale_f32 v30, vcc, 1.0, v6, 1.0
	v_rcp_f32_e32 v31, v29
	v_fma_f32 v32, -v29, v31, 1.0
	v_fmac_f32_e32 v31, v32, v31
	v_mul_f32_e32 v32, v30, v31
	v_fma_f32 v33, -v29, v32, v30
	v_fmac_f32_e32 v32, v33, v31
	v_fma_f32 v29, -v29, v32, v30
	v_div_fmas_f32 v29, v29, v31, v32
	v_fma_f32 v30, 0, v10, v9
	v_fma_f32 v31, v9, 0, -v10
	v_mov_b32_e32 v32, s15
	v_lshlrev_b64 v[9:10], 2, v[13:14]
	v_add_co_u32_e32 v13, vcc, s14, v15
	v_addc_co_u32_e32 v14, vcc, v32, v16, vcc
	v_add_co_u32_e32 v15, vcc, s6, v9
	v_mov_b32_e32 v33, s7
	v_addc_co_u32_e32 v16, vcc, v33, v10, vcc
	v_div_fixup_f32 v9, v29, v6, 1.0
	v_mul_f32_e32 v6, v30, v9
	v_mul_f32_e32 v9, v31, v9
	v_mul_f32_e64 v29, v9, -v12
	v_mul_f32_e32 v30, v9, v11
	v_fmac_f32_e32 v29, v11, v6
	v_fmac_f32_e32 v30, v12, v6
	global_store_dwordx2 v[13:14], v[29:30], off
	s_waitcnt vmcnt(2)
	v_mul_f32_e64 v10, v9, -v26
	v_mul_f32_e32 v11, v9, v25
	s_waitcnt vmcnt(1)
	v_mul_f32_e64 v12, v9, -v18
	v_mul_f32_e32 v13, v9, v17
	v_fmac_f32_e32 v10, v25, v6
	v_fmac_f32_e32 v11, v26, v6
	;; [unrolled: 1-line block ×4, first 2 shown]
	global_store_dwordx2 v[21:22], v[10:11], off
	global_store_dwordx2 v[27:28], v[12:13], off
	global_store_dword v[15:16], v36, off
	s_and_saveexec_b64 s[22:23], s[0:1]
	s_cbranch_execz .LBB179_3
; %bb.53:                               ;   in Loop: Header=BB179_5 Depth=1
	v_add_u32_e32 v10, v1, v5
	v_ashrrev_i32_e32 v11, 31, v10
	v_lshlrev_b64 v[10:11], 3, v[10:11]
	v_mov_b32_e32 v12, s11
	v_add_co_u32_e32 v10, vcc, s10, v10
	v_addc_co_u32_e32 v11, vcc, v12, v11, vcc
	global_load_dwordx2 v[12:13], v[10:11], off
	v_mul_f32_e32 v14, v9, v7
	v_mul_f32_e64 v15, v9, -v8
	v_fmac_f32_e32 v14, v8, v6
	v_fmac_f32_e32 v15, v7, v6
	v_mul_f32_e32 v7, v14, v18
	v_mul_f32_e64 v8, v18, -v15
	v_fma_f32 v7, -v15, v17, v7
	v_fma_f32 v8, -v14, v17, v8
	s_waitcnt vmcnt(0)
	v_add_f32_e32 v7, v7, v12
	v_add_f32_e32 v8, v8, v13
	global_store_dwordx2 v[10:11], v[7:8], off
	s_branch .LBB179_3
.LBB179_54:
	s_or_b64 exec, exec, s[18:19]
.LBB179_55:
	v_subrev_u32_e32 v2, s26, v5
	v_add_u32_e32 v5, v2, v0
	v_ashrrev_i32_e32 v6, 31, v5
	v_lshlrev_b64 v[5:6], 2, v[5:6]
	v_mov_b32_e32 v7, s7
	v_add_co_u32_e32 v5, vcc, s6, v5
	v_addc_co_u32_e32 v6, vcc, v7, v6, vcc
	s_waitcnt vmcnt(0)
	buffer_wbinvl1_vol
	global_load_dword v5, v[5:6], off
	s_waitcnt vmcnt(0)
	v_mul_lo_u32 v5, v5, s26
	v_sub_u32_e32 v5, v2, v5
	v_cmp_lt_i32_e32 vcc, -1, v5
	s_and_b64 exec, exec, vcc
	s_cbranch_execz .LBB179_62
; %bb.56:
	v_subrev_u32_e32 v2, s26, v0
	s_and_b32 s4, s27, -2
	s_mov_b64 s[0:1], 0
	v_mov_b32_e32 v13, s7
	v_mov_b32_e32 v14, s15
	s_branch .LBB179_58
.LBB179_57:                             ;   in Loop: Header=BB179_58 Depth=1
	s_or_b64 exec, exec, s[2:3]
	s_waitcnt vmcnt(0)
	v_lshlrev_b64 v[7:8], 3, v[9:10]
	v_mov_b32_e32 v9, s13
	v_add_co_u32_e32 v7, vcc, s12, v7
	v_addc_co_u32_e32 v8, vcc, v9, v8, vcc
	global_load_dwordx2 v[9:10], v[7:8], off
	v_sub_u32_e32 v5, v5, v11
	v_cmp_gt_i32_e32 vcc, 0, v5
	s_or_b64 s[0:1], vcc, s[0:1]
	s_waitcnt vmcnt(0)
	v_add_f32_e32 v9, v9, v6
	v_add_f32_e32 v10, v15, v10
	global_store_dwordx2 v[7:8], v[9:10], off
	s_andn2_b64 exec, exec, s[0:1]
	s_cbranch_execz .LBB179_62
.LBB179_58:                             ; =>This Inner Loop Header: Depth=1
	v_add_u32_e32 v9, v5, v0
	v_ashrrev_i32_e32 v10, 31, v9
	v_lshlrev_b64 v[6:7], 2, v[9:10]
	v_lshlrev_b64 v[11:12], 3, v[9:10]
	v_add_co_u32_e32 v6, vcc, s6, v6
	v_addc_co_u32_e32 v7, vcc, v13, v7, vcc
	global_load_dword v15, v[6:7], off
	v_add_co_u32_e32 v6, vcc, s14, v11
	v_addc_co_u32_e32 v7, vcc, v14, v12, vcc
	global_load_dwordx2 v[7:8], v[6:7], off
                                        ; implicit-def: $vgpr6
	s_waitcnt vmcnt(1)
	v_cmp_ne_u32_e32 vcc, 1, v15
                                        ; implicit-def: $vgpr15
	s_and_saveexec_b64 s[2:3], vcc
	s_xor_b64 s[2:3], exec, s[2:3]
	s_cbranch_execz .LBB179_60
; %bb.59:                               ;   in Loop: Header=BB179_58 Depth=1
	v_add_u32_e32 v9, v1, v5
	v_ashrrev_i32_e32 v10, 31, v9
	v_lshlrev_b64 v[9:10], 3, v[9:10]
	v_mov_b32_e32 v6, s11
	v_add_co_u32_e32 v15, vcc, s10, v9
	v_addc_co_u32_e32 v16, vcc, v6, v10, vcc
	v_ashrrev_i32_e32 v6, 31, v5
	v_lshlrev_b64 v[19:20], 3, v[5:6]
	v_mov_b32_e32 v6, s13
	v_add_co_u32_e32 v21, vcc, s12, v9
	v_addc_co_u32_e32 v22, vcc, v6, v10, vcc
	global_load_dwordx2 v[17:18], v[15:16], off
	v_add_co_u32_e32 v19, vcc, v3, v19
	global_load_dwordx2 v[23:24], v[21:22], off
	v_addc_co_u32_e32 v20, vcc, v4, v20, vcc
	global_load_dwordx2 v[25:26], v[19:20], off
	v_add_co_u32_e32 v11, vcc, s12, v11
	v_addc_co_u32_e32 v12, vcc, v6, v12, vcc
	global_load_dwordx2 v[27:28], v[11:12], off
	v_add_u32_e32 v9, v2, v5
	v_ashrrev_i32_e32 v10, 31, v9
	v_lshlrev_b64 v[29:30], 3, v[9:10]
	v_mov_b32_e32 v6, s15
	v_add_co_u32_e32 v31, vcc, s14, v29
	v_addc_co_u32_e32 v32, vcc, v6, v30, vcc
	v_mov_b32_e32 v33, s11
	global_load_dwordx2 v[31:32], v[31:32], off
	s_waitcnt vmcnt(4)
	v_mul_f32_e32 v6, v8, v18
	v_mul_f32_e64 v18, v18, -v7
	v_fma_f32 v6, -v7, v17, v6
	s_waitcnt vmcnt(3)
	v_mul_f32_e32 v34, v8, v24
	v_fma_f32 v17, -v8, v17, v18
	v_mul_f32_e64 v24, v24, -v7
	v_fma_f32 v18, -v7, v23, v34
	s_waitcnt vmcnt(2)
	v_add_f32_e32 v6, v25, v6
	v_add_f32_e32 v7, v17, v26
	v_fma_f32 v8, -v8, v23, v24
	global_store_dwordx2 v[19:20], v[6:7], off
	s_waitcnt vmcnt(2)
	v_add_f32_e32 v17, v27, v18
	v_add_f32_e32 v18, v8, v28
	global_load_dwordx2 v[6:7], v[15:16], off
	v_add_co_u32_e32 v15, vcc, s10, v29
	global_store_dwordx2 v[11:12], v[17:18], off
	v_addc_co_u32_e32 v16, vcc, v33, v30, vcc
	global_load_dwordx2 v[11:12], v[21:22], off
	global_load_dwordx2 v[17:18], v[15:16], off
	s_waitcnt vmcnt(3)
	v_mul_f32_e32 v8, v32, v7
	v_mul_f32_e64 v7, v7, -v31
	v_fma_f32 v8, -v31, v6, v8
	v_fma_f32 v20, -v32, v6, v7
	s_waitcnt vmcnt(1)
	v_mul_f32_e32 v19, v32, v12
	v_mul_f32_e64 v12, v12, -v31
	s_waitcnt vmcnt(0)
	v_add_f32_e32 v7, v17, v8
	v_add_f32_e32 v8, v20, v18
	v_fma_f32 v6, -v31, v11, v19
	global_store_dwordx2 v[15:16], v[7:8], off
	v_fma_f32 v15, -v32, v11, v12
                                        ; implicit-def: $vgpr7_vgpr8
.LBB179_60:                             ;   in Loop: Header=BB179_58 Depth=1
	s_or_saveexec_b64 s[2:3], s[2:3]
	v_mov_b32_e32 v11, s4
	s_xor_b64 exec, exec, s[2:3]
	s_cbranch_execz .LBB179_57
; %bb.61:                               ;   in Loop: Header=BB179_58 Depth=1
	v_add_u32_e32 v11, v1, v5
	v_ashrrev_i32_e32 v12, 31, v11
	v_lshlrev_b64 v[11:12], 3, v[11:12]
	v_mov_b32_e32 v6, s11
	v_add_co_u32_e32 v15, vcc, s10, v11
	v_addc_co_u32_e32 v16, vcc, v6, v12, vcc
	v_ashrrev_i32_e32 v6, 31, v5
	v_mov_b32_e32 v17, s13
	v_add_co_u32_e32 v11, vcc, s12, v11
	v_addc_co_u32_e32 v12, vcc, v17, v12, vcc
	v_lshlrev_b64 v[17:18], 3, v[5:6]
	global_load_dwordx2 v[15:16], v[15:16], off
	v_add_co_u32_e32 v17, vcc, v3, v17
	global_load_dwordx2 v[11:12], v[11:12], off
	v_addc_co_u32_e32 v18, vcc, v4, v18, vcc
	global_load_dwordx2 v[19:20], v[17:18], off
	s_waitcnt vmcnt(2)
	v_mul_f32_e32 v6, v8, v16
	v_mul_f32_e64 v16, v16, -v7
	v_fma_f32 v22, -v7, v15, v6
	s_waitcnt vmcnt(1)
	v_mul_f32_e32 v21, v8, v12
	v_mul_f32_e64 v12, v12, -v7
	v_fma_f32 v16, -v8, v15, v16
	v_fma_f32 v6, -v7, v11, v21
	v_fma_f32 v15, -v8, v11, v12
	s_waitcnt vmcnt(0)
	v_add_f32_e32 v7, v19, v22
	v_add_f32_e32 v8, v16, v20
	v_mov_b32_e32 v11, s26
	global_store_dwordx2 v[17:18], v[7:8], off
	s_branch .LBB179_57
.LBB179_62:
	s_endpgm
	.section	.rodata,"a",@progbits
	.p2align	6, 0x0
	.amdhsa_kernel _ZN9rocsparseL18gtsv_LBM_wv_kernelILj256ELj2E21rocsparse_complex_numIfEEEviiiPKT1_S5_S5_PS3_S6_S6_Pi
		.amdhsa_group_segment_fixed_size 0
		.amdhsa_private_segment_fixed_size 0
		.amdhsa_kernarg_size 72
		.amdhsa_user_sgpr_count 6
		.amdhsa_user_sgpr_private_segment_buffer 1
		.amdhsa_user_sgpr_dispatch_ptr 0
		.amdhsa_user_sgpr_queue_ptr 0
		.amdhsa_user_sgpr_kernarg_segment_ptr 1
		.amdhsa_user_sgpr_dispatch_id 0
		.amdhsa_user_sgpr_flat_scratch_init 0
		.amdhsa_user_sgpr_private_segment_size 0
		.amdhsa_uses_dynamic_stack 0
		.amdhsa_system_sgpr_private_segment_wavefront_offset 0
		.amdhsa_system_sgpr_workgroup_id_x 1
		.amdhsa_system_sgpr_workgroup_id_y 0
		.amdhsa_system_sgpr_workgroup_id_z 0
		.amdhsa_system_sgpr_workgroup_info 0
		.amdhsa_system_vgpr_workitem_id 0
		.amdhsa_next_free_vgpr 45
		.amdhsa_next_free_sgpr 30
		.amdhsa_reserve_vcc 1
		.amdhsa_reserve_flat_scratch 0
		.amdhsa_float_round_mode_32 0
		.amdhsa_float_round_mode_16_64 0
		.amdhsa_float_denorm_mode_32 3
		.amdhsa_float_denorm_mode_16_64 3
		.amdhsa_dx10_clamp 1
		.amdhsa_ieee_mode 1
		.amdhsa_fp16_overflow 0
		.amdhsa_exception_fp_ieee_invalid_op 0
		.amdhsa_exception_fp_denorm_src 0
		.amdhsa_exception_fp_ieee_div_zero 0
		.amdhsa_exception_fp_ieee_overflow 0
		.amdhsa_exception_fp_ieee_underflow 0
		.amdhsa_exception_fp_ieee_inexact 0
		.amdhsa_exception_int_div_zero 0
	.end_amdhsa_kernel
	.section	.text._ZN9rocsparseL18gtsv_LBM_wv_kernelILj256ELj2E21rocsparse_complex_numIfEEEviiiPKT1_S5_S5_PS3_S6_S6_Pi,"axG",@progbits,_ZN9rocsparseL18gtsv_LBM_wv_kernelILj256ELj2E21rocsparse_complex_numIfEEEviiiPKT1_S5_S5_PS3_S6_S6_Pi,comdat
.Lfunc_end179:
	.size	_ZN9rocsparseL18gtsv_LBM_wv_kernelILj256ELj2E21rocsparse_complex_numIfEEEviiiPKT1_S5_S5_PS3_S6_S6_Pi, .Lfunc_end179-_ZN9rocsparseL18gtsv_LBM_wv_kernelILj256ELj2E21rocsparse_complex_numIfEEEviiiPKT1_S5_S5_PS3_S6_S6_Pi
                                        ; -- End function
	.set _ZN9rocsparseL18gtsv_LBM_wv_kernelILj256ELj2E21rocsparse_complex_numIfEEEviiiPKT1_S5_S5_PS3_S6_S6_Pi.num_vgpr, 45
	.set _ZN9rocsparseL18gtsv_LBM_wv_kernelILj256ELj2E21rocsparse_complex_numIfEEEviiiPKT1_S5_S5_PS3_S6_S6_Pi.num_agpr, 0
	.set _ZN9rocsparseL18gtsv_LBM_wv_kernelILj256ELj2E21rocsparse_complex_numIfEEEviiiPKT1_S5_S5_PS3_S6_S6_Pi.numbered_sgpr, 30
	.set _ZN9rocsparseL18gtsv_LBM_wv_kernelILj256ELj2E21rocsparse_complex_numIfEEEviiiPKT1_S5_S5_PS3_S6_S6_Pi.num_named_barrier, 0
	.set _ZN9rocsparseL18gtsv_LBM_wv_kernelILj256ELj2E21rocsparse_complex_numIfEEEviiiPKT1_S5_S5_PS3_S6_S6_Pi.private_seg_size, 0
	.set _ZN9rocsparseL18gtsv_LBM_wv_kernelILj256ELj2E21rocsparse_complex_numIfEEEviiiPKT1_S5_S5_PS3_S6_S6_Pi.uses_vcc, 1
	.set _ZN9rocsparseL18gtsv_LBM_wv_kernelILj256ELj2E21rocsparse_complex_numIfEEEviiiPKT1_S5_S5_PS3_S6_S6_Pi.uses_flat_scratch, 0
	.set _ZN9rocsparseL18gtsv_LBM_wv_kernelILj256ELj2E21rocsparse_complex_numIfEEEviiiPKT1_S5_S5_PS3_S6_S6_Pi.has_dyn_sized_stack, 0
	.set _ZN9rocsparseL18gtsv_LBM_wv_kernelILj256ELj2E21rocsparse_complex_numIfEEEviiiPKT1_S5_S5_PS3_S6_S6_Pi.has_recursion, 0
	.set _ZN9rocsparseL18gtsv_LBM_wv_kernelILj256ELj2E21rocsparse_complex_numIfEEEviiiPKT1_S5_S5_PS3_S6_S6_Pi.has_indirect_call, 0
	.section	.AMDGPU.csdata,"",@progbits
; Kernel info:
; codeLenInByte = 5304
; TotalNumSgprs: 34
; NumVgprs: 45
; ScratchSize: 0
; MemoryBound: 0
; FloatMode: 240
; IeeeMode: 1
; LDSByteSize: 0 bytes/workgroup (compile time only)
; SGPRBlocks: 4
; VGPRBlocks: 11
; NumSGPRsForWavesPerEU: 34
; NumVGPRsForWavesPerEU: 45
; Occupancy: 5
; WaveLimiterHint : 0
; COMPUTE_PGM_RSRC2:SCRATCH_EN: 0
; COMPUTE_PGM_RSRC2:USER_SGPR: 6
; COMPUTE_PGM_RSRC2:TRAP_HANDLER: 0
; COMPUTE_PGM_RSRC2:TGID_X_EN: 1
; COMPUTE_PGM_RSRC2:TGID_Y_EN: 0
; COMPUTE_PGM_RSRC2:TGID_Z_EN: 0
; COMPUTE_PGM_RSRC2:TIDIG_COMP_CNT: 0
	.section	.text._ZN9rocsparseL19gtsv_LBM_rhs_kernelILj256ELj2ELj8E21rocsparse_complex_numIfEEEviiiPKT2_S5_S5_PS3_S5_PKi,"axG",@progbits,_ZN9rocsparseL19gtsv_LBM_rhs_kernelILj256ELj2ELj8E21rocsparse_complex_numIfEEEviiiPKT2_S5_S5_PS3_S5_PKi,comdat
	.globl	_ZN9rocsparseL19gtsv_LBM_rhs_kernelILj256ELj2ELj8E21rocsparse_complex_numIfEEEviiiPKT2_S5_S5_PS3_S5_PKi ; -- Begin function _ZN9rocsparseL19gtsv_LBM_rhs_kernelILj256ELj2ELj8E21rocsparse_complex_numIfEEEviiiPKT2_S5_S5_PS3_S5_PKi
	.p2align	8
	.type	_ZN9rocsparseL19gtsv_LBM_rhs_kernelILj256ELj2ELj8E21rocsparse_complex_numIfEEEviiiPKT2_S5_S5_PS3_S5_PKi,@function
_ZN9rocsparseL19gtsv_LBM_rhs_kernelILj256ELj2ELj8E21rocsparse_complex_numIfEEEviiiPKT2_S5_S5_PS3_S5_PKi: ; @_ZN9rocsparseL19gtsv_LBM_rhs_kernelILj256ELj2ELj8E21rocsparse_complex_numIfEEEviiiPKT2_S5_S5_PS3_S5_PKi
; %bb.0:
	s_load_dword s21, s[4:5], 0x0
	v_lshl_or_b32 v0, s6, 8, v0
	s_waitcnt lgkmcnt(0)
	s_lshr_b32 s20, s21, 1
	v_cmp_gt_i32_e32 vcc, s20, v0
	s_and_saveexec_b64 s[0:1], vcc
	s_cbranch_execz .LBB180_23
; %bb.1:
	s_load_dwordx4 s[8:11], s[4:5], 0x28
	s_load_dwordx2 s[16:17], s[4:5], 0x38
	s_cmp_lt_i32 s21, 1
	v_add_u32_e32 v25, s20, v0
	s_mul_i32 s22, s7, s21
	s_cbranch_scc1 .LBB180_15
; %bb.2:
	s_load_dwordx4 s[12:15], s[4:5], 0x10
	s_load_dwordx2 s[6:7], s[4:5], 0x20
	v_ashrrev_i32_e32 v1, 31, v0
	v_lshlrev_b64 v[1:2], 3, v[0:1]
	s_lshl_b32 s23, s22, 3
	s_waitcnt lgkmcnt(0)
	v_mov_b32_e32 v3, s15
	v_add_co_u32_e32 v1, vcc, s14, v1
	v_addc_co_u32_e32 v2, vcc, v3, v2, vcc
	global_load_dwordx2 v[9:10], v[1:2], off
	s_add_i32 s24, s23, s21
	s_add_i32 s25, s24, s21
	;; [unrolled: 1-line block ×7, first 2 shown]
	s_and_b32 s31, s21, 0x7ffffffe
	v_mov_b32_e32 v2, 0
	s_mov_b64 s[4:5], 0
	v_mov_b32_e32 v27, s7
	v_mov_b32_e32 v26, 0
	s_branch .LBB180_5
.LBB180_3:                              ;   in Loop: Header=BB180_5 Depth=1
	s_or_b64 exec, exec, s[18:19]
	v_fmac_f32_e32 v29, v3, v5
	v_fmac_f32_e32 v28, v4, v5
	v_mul_f32_e64 v1, v30, -v28
	v_mul_f32_e32 v3, v30, v29
	v_fmac_f32_e32 v1, v29, v6
	v_fmac_f32_e32 v3, v28, v6
	v_sub_f32_e32 v6, v7, v1
	v_sub_f32_e32 v18, v8, v3
	v_mov_b32_e32 v19, s20
.LBB180_4:                              ;   in Loop: Header=BB180_5 Depth=1
	s_or_b64 exec, exec, s[2:3]
	v_add_u32_e32 v26, v19, v26
	v_cmp_le_i32_e32 vcc, s21, v26
	s_or_b64 s[4:5], vcc, s[4:5]
	v_mov_b32_e32 v10, v18
	v_mov_b32_e32 v9, v6
	s_andn2_b64 exec, exec, s[4:5]
	s_cbranch_execz .LBB180_14
.LBB180_5:                              ; =>This Inner Loop Header: Depth=1
	v_add_u32_e32 v11, v26, v0
	v_ashrrev_i32_e32 v12, 31, v11
	v_lshlrev_b64 v[3:4], 3, v[11:12]
	v_cmp_gt_u32_e64 s[0:1], s20, v26
	v_add_co_u32_e32 v3, vcc, s6, v3
	v_addc_co_u32_e32 v4, vcc, v27, v4, vcc
	global_load_dwordx2 v[5:6], v[3:4], off
	v_mov_b32_e32 v3, 0
	v_mov_b32_e32 v4, 0
	s_and_saveexec_b64 s[2:3], s[0:1]
	s_cbranch_execz .LBB180_7
; %bb.6:                                ;   in Loop: Header=BB180_5 Depth=1
	v_add_u32_e32 v3, v25, v26
	v_ashrrev_i32_e32 v4, 31, v3
	v_lshlrev_b64 v[3:4], 3, v[3:4]
	v_mov_b32_e32 v1, s13
	v_add_co_u32_e32 v3, vcc, s12, v3
	v_addc_co_u32_e32 v4, vcc, v1, v4, vcc
	global_load_dwordx2 v[3:4], v[3:4], off
.LBB180_7:                              ;   in Loop: Header=BB180_5 Depth=1
	s_or_b64 exec, exec, s[2:3]
	v_mov_b32_e32 v7, 0
	v_mov_b32_e32 v8, 0
	s_and_saveexec_b64 s[2:3], s[0:1]
	s_cbranch_execz .LBB180_9
; %bb.8:                                ;   in Loop: Header=BB180_5 Depth=1
	v_add_u32_e32 v7, v25, v26
	v_ashrrev_i32_e32 v8, 31, v7
	v_lshlrev_b64 v[7:8], 3, v[7:8]
	v_mov_b32_e32 v1, s15
	v_add_co_u32_e32 v7, vcc, s14, v7
	v_addc_co_u32_e32 v8, vcc, v1, v8, vcc
	global_load_dwordx2 v[7:8], v[7:8], off
.LBB180_9:                              ;   in Loop: Header=BB180_5 Depth=1
	s_or_b64 exec, exec, s[2:3]
	v_lshlrev_b64 v[12:13], 2, v[11:12]
	v_mov_b32_e32 v1, s17
	v_add_co_u32_e32 v12, vcc, s16, v12
	v_addc_co_u32_e32 v13, vcc, v1, v13, vcc
	global_load_dword v18, v[12:13], off
	v_cmp_ne_u32_e32 vcc, s20, v26
	v_add_u32_e32 v1, s23, v11
	v_add_u32_e32 v17, s24, v11
	v_add_u32_e32 v16, s25, v11
	v_add_u32_e32 v15, s26, v11
	v_add_u32_e32 v14, s27, v11
	v_add_u32_e32 v13, s28, v11
	v_add_u32_e32 v12, s29, v11
	v_add_u32_e32 v11, s30, v11
	s_waitcnt vmcnt(1)
	v_mul_f32_e64 v29, v6, -v4
	v_mul_f32_e32 v28, v3, v6
	s_waitcnt vmcnt(0)
	v_cmp_ne_u32_e64 s[2:3], 1, v18
	s_and_b64 s[2:3], vcc, s[2:3]
	s_and_saveexec_b64 s[18:19], s[2:3]
	s_xor_b64 s[18:19], exec, s[18:19]
	s_cbranch_execz .LBB180_11
; %bb.10:                               ;   in Loop: Header=BB180_5 Depth=1
	v_lshlrev_b64 v[18:19], 3, v[1:2]
	v_mov_b32_e32 v1, s9
	v_add_co_u32_e32 v20, vcc, s8, v18
	v_mov_b32_e32 v18, v2
	v_lshlrev_b64 v[17:18], 3, v[17:18]
	v_addc_co_u32_e32 v21, vcc, v1, v19, vcc
	v_add_co_u32_e32 v22, vcc, s8, v17
	v_mov_b32_e32 v17, v2
	v_lshlrev_b64 v[16:17], 3, v[16:17]
	v_addc_co_u32_e32 v23, vcc, v1, v18, vcc
	;; [unrolled: 4-line block ×7, first 2 shown]
	v_add_co_u32_e32 v11, vcc, s8, v11
	v_add_u32_e32 v13, v25, v26
	v_addc_co_u32_e32 v12, vcc, v1, v12, vcc
	v_add_u32_e32 v1, s23, v13
	global_load_dwordx2 v[38:39], v[20:21], off
	v_lshlrev_b64 v[34:35], 3, v[1:2]
	v_mov_b32_e32 v1, s9
	v_add_co_u32_e32 v34, vcc, s8, v34
	v_addc_co_u32_e32 v35, vcc, v1, v35, vcc
	global_load_dwordx2 v[42:43], v[34:35], off
	v_add_u32_e32 v1, s24, v13
	v_mul_f32_e64 v24, v8, -v10
	v_lshlrev_b64 v[36:37], 3, v[1:2]
	v_fmac_f32_e32 v24, v9, v7
	v_fmac_f32_e32 v29, v3, v5
	v_sub_f32_e32 v24, v24, v29
	v_mul_f32_e32 v29, v9, v8
	v_mov_b32_e32 v1, s9
	v_add_co_u32_e32 v36, vcc, s8, v36
	v_fmac_f32_e32 v29, v10, v7
	v_fmac_f32_e32 v28, v4, v5
	v_addc_co_u32_e32 v37, vcc, v1, v37, vcc
	v_add_u32_e32 v1, s25, v13
	v_sub_f32_e32 v64, v29, v28
	v_lshlrev_b64 v[40:41], 3, v[1:2]
	v_mul_f32_e32 v65, v64, v64
	v_fmac_f32_e32 v65, v24, v24
	v_mov_b32_e32 v1, s9
	v_add_co_u32_e32 v40, vcc, s8, v40
	v_div_scale_f32 v56, s[2:3], v65, v65, 1.0
	v_addc_co_u32_e32 v41, vcc, v1, v41, vcc
	v_add_u32_e32 v1, s26, v13
	v_lshlrev_b64 v[44:45], 3, v[1:2]
	v_mov_b32_e32 v1, s9
	v_add_co_u32_e32 v44, vcc, s8, v44
	v_addc_co_u32_e32 v45, vcc, v1, v45, vcc
	v_div_scale_f32 v57, vcc, 1.0, v65, 1.0
	v_add_u32_e32 v1, s27, v13
	global_load_dwordx2 v[28:29], v[22:23], off
	global_load_dwordx2 v[52:53], v[18:19], off
	v_rcp_f32_e32 v58, v56
	v_lshlrev_b64 v[48:49], 3, v[1:2]
	global_load_dwordx2 v[46:47], v[36:37], off
	global_load_dwordx2 v[54:55], v[40:41], off
	v_fma_f32 v59, -v56, v58, 1.0
	v_fmac_f32_e32 v58, v59, v58
	v_mov_b32_e32 v1, s9
	v_add_co_u32_e64 v48, s[2:3], s8, v48
	v_addc_co_u32_e64 v49, s[2:3], v1, v49, s[2:3]
	v_mul_f32_e32 v59, v57, v58
	v_fma_f32 v60, -v56, v59, v57
	v_fmac_f32_e32 v59, v60, v58
	v_fma_f32 v56, -v56, v59, v57
	v_div_fmas_f32 v66, v56, v58, v59
	v_add_u32_e32 v1, s28, v13
	v_lshlrev_b64 v[50:51], 3, v[1:2]
	v_mov_b32_e32 v1, s9
	v_add_co_u32_e64 v50, s[2:3], s8, v50
	v_addc_co_u32_e64 v51, s[2:3], v1, v51, s[2:3]
	v_add_u32_e32 v1, s29, v13
	v_lshlrev_b64 v[56:57], 3, v[1:2]
	v_add_u32_e32 v1, s30, v13
	v_mov_b32_e32 v60, s9
	v_add_co_u32_e32 v56, vcc, s8, v56
	v_lshlrev_b64 v[62:63], 3, v[1:2]
	global_load_dwordx2 v[58:59], v[30:31], off
	v_addc_co_u32_e32 v57, vcc, v60, v57, vcc
	global_load_dwordx2 v[60:61], v[44:45], off
	v_mov_b32_e32 v13, s9
	v_add_co_u32_e32 v62, vcc, s8, v62
	v_addc_co_u32_e32 v63, vcc, v13, v63, vcc
	v_div_fixup_f32 v1, v66, v65, 1.0
	v_fma_f32 v13, 0, v64, v24
	v_fma_f32 v24, v24, 0, -v64
	v_mul_f32_e32 v13, v13, v1
	v_mul_f32_e32 v1, v24, v1
	s_waitcnt vmcnt(7)
	v_mul_f32_e64 v24, v1, -v39
	v_mul_f32_e32 v78, v1, v38
	v_fmac_f32_e32 v24, v38, v13
	v_fmac_f32_e32 v78, v39, v13
	global_load_dwordx2 v[38:39], v[16:17], off
	global_load_dwordx2 v[64:65], v[48:49], off
	s_waitcnt vmcnt(8)
	v_mul_f32_e32 v80, v1, v42
	v_mul_f32_e64 v79, v1, -v43
	v_fmac_f32_e32 v80, v43, v13
	v_fmac_f32_e32 v79, v42, v13
	v_mul_f32_e64 v42, v78, -v8
	v_mul_f32_e32 v43, v7, v78
	v_mul_f32_e64 v66, v80, -v6
	v_mul_f32_e32 v67, v80, v5
	v_fmac_f32_e32 v42, v7, v24
	v_fmac_f32_e32 v43, v8, v24
	;; [unrolled: 1-line block ×4, first 2 shown]
	v_sub_f32_e32 v42, v42, v66
	v_sub_f32_e32 v43, v43, v67
	global_load_dwordx2 v[66:67], v[32:33], off
	global_load_dwordx2 v[68:69], v[14:15], off
	global_load_dwordx2 v[70:71], v[11:12], off
	global_load_dwordx2 v[72:73], v[50:51], off
	global_load_dwordx2 v[74:75], v[56:57], off
	global_load_dwordx2 v[76:77], v[62:63], off
	s_nop 0
	global_store_dwordx2 v[20:21], v[42:43], off
	s_waitcnt vmcnt(14)
	v_mul_f32_e64 v42, v1, -v29
	v_fmac_f32_e32 v42, v28, v13
	v_mul_f32_e32 v28, v1, v28
	v_fmac_f32_e32 v28, v29, v13
	s_waitcnt vmcnt(12)
	v_mul_f32_e32 v43, v1, v46
	v_mul_f32_e64 v29, v1, -v47
	v_fmac_f32_e32 v43, v47, v13
	v_fmac_f32_e32 v29, v46, v13
	v_mul_f32_e64 v20, v28, -v8
	v_mul_f32_e32 v21, v7, v28
	v_mul_f32_e64 v46, v43, -v6
	v_mul_f32_e32 v47, v43, v5
	v_fmac_f32_e32 v20, v7, v42
	v_fmac_f32_e32 v21, v8, v42
	;; [unrolled: 1-line block ×4, first 2 shown]
	v_sub_f32_e32 v20, v20, v46
	v_sub_f32_e32 v21, v21, v47
	global_store_dwordx2 v[22:23], v[20:21], off
	v_mul_f32_e32 v23, v1, v52
	s_waitcnt vmcnt(12)
	v_mul_f32_e32 v47, v1, v54
	v_mul_f32_e64 v22, v1, -v53
	v_fmac_f32_e32 v23, v53, v13
	v_mul_f32_e64 v46, v1, -v55
	v_fmac_f32_e32 v47, v55, v13
	v_fmac_f32_e32 v22, v52, v13
	;; [unrolled: 1-line block ×3, first 2 shown]
	v_mul_f32_e64 v20, v23, -v8
	v_mul_f32_e32 v21, v7, v23
	v_mul_f32_e64 v52, v47, -v6
	v_mul_f32_e32 v53, v47, v5
	v_fmac_f32_e32 v20, v7, v22
	v_fmac_f32_e32 v21, v8, v22
	;; [unrolled: 1-line block ×4, first 2 shown]
	v_sub_f32_e32 v20, v20, v52
	v_sub_f32_e32 v21, v21, v53
	global_store_dwordx2 v[18:19], v[20:21], off
	s_waitcnt vmcnt(12)
	v_mul_f32_e32 v21, v1, v58
	s_waitcnt vmcnt(11)
	v_mul_f32_e32 v53, v1, v60
	v_mul_f32_e64 v20, v1, -v59
	v_fmac_f32_e32 v21, v59, v13
	v_mul_f32_e64 v52, v1, -v61
	v_fmac_f32_e32 v53, v61, v13
	v_fmac_f32_e32 v20, v58, v13
	;; [unrolled: 1-line block ×3, first 2 shown]
	v_mul_f32_e64 v18, v21, -v8
	v_mul_f32_e32 v19, v7, v21
	v_mul_f32_e64 v54, v53, -v6
	v_mul_f32_e32 v55, v53, v5
	v_fmac_f32_e32 v18, v7, v20
	v_fmac_f32_e32 v19, v8, v20
	;; [unrolled: 1-line block ×4, first 2 shown]
	v_sub_f32_e32 v18, v18, v54
	v_sub_f32_e32 v19, v19, v55
	global_store_dwordx2 v[30:31], v[18:19], off
	s_waitcnt vmcnt(11)
	v_mul_f32_e32 v31, v1, v38
	v_mul_f32_e64 v30, v1, -v39
	v_fmac_f32_e32 v31, v39, v13
	s_waitcnt vmcnt(10)
	v_mul_f32_e32 v39, v1, v64
	v_fmac_f32_e32 v30, v38, v13
	v_mul_f32_e64 v38, v1, -v65
	v_fmac_f32_e32 v39, v65, v13
	v_fmac_f32_e32 v38, v64, v13
	v_mul_f32_e64 v18, v31, -v8
	v_mul_f32_e32 v19, v7, v31
	v_mul_f32_e64 v54, v39, -v6
	v_mul_f32_e32 v55, v39, v5
	v_fmac_f32_e32 v18, v7, v30
	v_fmac_f32_e32 v19, v8, v30
	;; [unrolled: 1-line block ×4, first 2 shown]
	v_sub_f32_e32 v18, v18, v54
	v_sub_f32_e32 v19, v19, v55
	global_store_dwordx2 v[16:17], v[18:19], off
	s_waitcnt vmcnt(10)
	v_mul_f32_e32 v19, v1, v66
	s_waitcnt vmcnt(7)
	v_mul_f32_e32 v55, v1, v72
	v_mul_f32_e64 v18, v1, -v67
	v_fmac_f32_e32 v19, v67, v13
	v_mul_f32_e64 v54, v1, -v73
	v_fmac_f32_e32 v55, v73, v13
	v_fmac_f32_e32 v18, v66, v13
	;; [unrolled: 1-line block ×3, first 2 shown]
	v_mul_f32_e64 v16, v19, -v8
	v_mul_f32_e32 v17, v7, v19
	v_mul_f32_e64 v58, v55, -v6
	v_mul_f32_e32 v59, v55, v5
	v_fmac_f32_e32 v16, v7, v18
	v_fmac_f32_e32 v17, v8, v18
	;; [unrolled: 1-line block ×4, first 2 shown]
	v_sub_f32_e32 v16, v16, v58
	v_sub_f32_e32 v17, v17, v59
	global_store_dwordx2 v[32:33], v[16:17], off
	v_mul_f32_e32 v33, v1, v68
	s_waitcnt vmcnt(7)
	v_mul_f32_e32 v59, v1, v74
	v_mul_f32_e64 v32, v1, -v69
	v_fmac_f32_e32 v33, v69, v13
	v_mul_f32_e64 v58, v1, -v75
	v_fmac_f32_e32 v59, v75, v13
	v_fmac_f32_e32 v32, v68, v13
	;; [unrolled: 1-line block ×3, first 2 shown]
	v_mul_f32_e64 v16, v33, -v8
	v_mul_f32_e32 v17, v7, v33
	v_mul_f32_e64 v60, v59, -v6
	v_mul_f32_e32 v61, v59, v5
	v_fmac_f32_e32 v16, v7, v32
	v_fmac_f32_e32 v17, v8, v32
	;; [unrolled: 1-line block ×4, first 2 shown]
	v_sub_f32_e32 v16, v16, v60
	v_sub_f32_e32 v17, v17, v61
	global_store_dwordx2 v[14:15], v[16:17], off
	v_mul_f32_e32 v15, v1, v70
	v_mul_f32_e64 v14, v1, -v71
	v_fmac_f32_e32 v15, v71, v13
	s_waitcnt vmcnt(7)
	v_mul_f32_e64 v16, v1, -v77
	v_mul_f32_e32 v1, v1, v76
	v_fmac_f32_e32 v14, v70, v13
	v_fmac_f32_e32 v16, v76, v13
	v_fmac_f32_e32 v1, v77, v13
	v_mul_f32_e64 v13, v15, -v8
	v_fmac_f32_e32 v13, v7, v14
	v_mul_f32_e32 v7, v7, v15
	v_fmac_f32_e32 v7, v8, v14
	v_mul_f32_e64 v8, v1, -v6
	v_mul_f32_e32 v17, v1, v5
	v_fmac_f32_e32 v8, v5, v16
	v_fmac_f32_e32 v17, v6, v16
	v_sub_f32_e32 v5, v13, v8
	v_sub_f32_e32 v6, v7, v17
	global_store_dwordx2 v[11:12], v[5:6], off
	v_mul_f32_e32 v5, v4, v78
	v_mul_f32_e64 v6, v78, -v3
	v_mul_f32_e64 v7, v80, -v10
	v_mul_f32_e32 v8, v9, v80
	v_fma_f32 v5, -v3, v24, v5
	v_fma_f32 v6, -v4, v24, v6
	v_fmac_f32_e32 v7, v9, v79
	v_fmac_f32_e32 v8, v10, v79
	v_add_f32_e32 v5, v5, v7
	v_add_f32_e32 v6, v6, v8
	global_store_dwordx2 v[34:35], v[5:6], off
	v_mul_f32_e32 v5, v4, v28
	v_mul_f32_e64 v6, v28, -v3
	v_mul_f32_e64 v7, v43, -v10
	v_mul_f32_e32 v8, v9, v43
	v_fma_f32 v5, -v3, v42, v5
	v_fma_f32 v6, -v4, v42, v6
	v_fmac_f32_e32 v7, v9, v29
	v_fmac_f32_e32 v8, v10, v29
	v_add_f32_e32 v5, v5, v7
	v_add_f32_e32 v6, v6, v8
	;; [unrolled: 11-line block ×7, first 2 shown]
	global_store_dwordx2 v[56:57], v[5:6], off
	v_mul_f32_e32 v5, v4, v15
	v_fma_f32 v5, -v3, v14, v5
	v_mul_f32_e64 v3, v15, -v3
	v_fma_f32 v4, -v4, v14, v3
	v_mul_f32_e64 v3, v1, -v10
	v_mul_f32_e32 v1, v9, v1
	v_fmac_f32_e32 v3, v9, v16
	v_fmac_f32_e32 v1, v10, v16
	v_add_f32_e32 v3, v5, v3
	v_add_f32_e32 v4, v4, v1
	global_store_dwordx2 v[62:63], v[3:4], off
                                        ; implicit-def: $vgpr10
                                        ; implicit-def: $vgpr5_vgpr6
                                        ; implicit-def: $vgpr3
                                        ; implicit-def: $vgpr7
                                        ; implicit-def: $vgpr29
                                        ; implicit-def: $vgpr28
                                        ; implicit-def: $vgpr17
                                        ; implicit-def: $vgpr16
                                        ; implicit-def: $vgpr15
                                        ; implicit-def: $vgpr14
                                        ; implicit-def: $vgpr13
                                        ; implicit-def: $vgpr12
                                        ; implicit-def: $vgpr11
.LBB180_11:                             ;   in Loop: Header=BB180_5 Depth=1
	s_or_saveexec_b64 s[2:3], s[18:19]
	v_mov_b32_e32 v6, 0
	v_mov_b32_e32 v19, s31
	;; [unrolled: 1-line block ×3, first 2 shown]
	s_xor_b64 exec, exec, s[2:3]
	s_cbranch_execz .LBB180_4
; %bb.12:                               ;   in Loop: Header=BB180_5 Depth=1
	v_lshlrev_b64 v[18:19], 3, v[1:2]
	v_mov_b32_e32 v1, s9
	v_add_co_u32_e32 v31, vcc, s8, v18
	v_mov_b32_e32 v18, v2
	v_lshlrev_b64 v[17:18], 3, v[17:18]
	v_addc_co_u32_e32 v32, vcc, v1, v19, vcc
	v_add_co_u32_e32 v33, vcc, s8, v17
	v_mov_b32_e32 v17, v2
	v_lshlrev_b64 v[16:17], 3, v[16:17]
	v_addc_co_u32_e32 v34, vcc, v1, v18, vcc
	;; [unrolled: 4-line block ×7, first 2 shown]
	v_add_co_u32_e32 v55, vcc, s8, v11
	global_load_dwordx2 v[15:16], v[31:32], off
	v_addc_co_u32_e32 v56, vcc, v1, v12, vcc
	global_load_dwordx2 v[17:18], v[33:34], off
	global_load_dwordx2 v[41:42], v[35:36], off
	;; [unrolled: 1-line block ×7, first 2 shown]
	v_mul_f32_e32 v1, v10, v10
	v_fmac_f32_e32 v1, v9, v9
	v_div_scale_f32 v6, s[18:19], v1, v1, 1.0
	v_div_scale_f32 v11, vcc, 1.0, v1, 1.0
	v_rcp_f32_e32 v12, v6
	v_fma_f32 v13, -v6, v12, 1.0
	v_fmac_f32_e32 v12, v13, v12
	v_mul_f32_e32 v13, v11, v12
	v_fma_f32 v14, -v6, v13, v11
	v_fmac_f32_e32 v13, v14, v12
	v_fma_f32 v6, -v6, v13, v11
	v_div_fmas_f32 v6, v6, v12, v13
	v_fma_f32 v11, 0, v10, v9
	v_fma_f32 v9, v9, 0, -v10
	v_div_fixup_f32 v1, v6, v1, 1.0
	v_mul_f32_e32 v30, v9, v1
	v_mul_f32_e32 v6, v11, v1
	s_waitcnt vmcnt(7)
	v_mul_f32_e64 v23, v30, -v16
	v_mul_f32_e32 v24, v30, v15
	s_waitcnt vmcnt(6)
	v_mul_f32_e64 v21, v30, -v18
	v_mul_f32_e32 v22, v30, v17
	v_fmac_f32_e32 v23, v15, v6
	v_fmac_f32_e32 v24, v16, v6
	;; [unrolled: 1-line block ×4, first 2 shown]
	s_waitcnt vmcnt(5)
	v_mul_f32_e64 v19, v30, -v42
	v_mul_f32_e32 v20, v30, v41
	s_waitcnt vmcnt(4)
	v_mul_f32_e64 v17, v30, -v46
	v_mul_f32_e32 v18, v30, v45
	;; [unrolled: 3-line block ×6, first 2 shown]
	v_fmac_f32_e32 v19, v41, v6
	v_fmac_f32_e32 v20, v42, v6
	;; [unrolled: 1-line block ×12, first 2 shown]
	global_store_dwordx2 v[31:32], v[23:24], off
	global_store_dwordx2 v[33:34], v[21:22], off
	global_store_dwordx2 v[35:36], v[19:20], off
	global_store_dwordx2 v[37:38], v[17:18], off
	global_store_dwordx2 v[39:40], v[15:16], off
	global_store_dwordx2 v[43:44], v[13:14], off
	global_store_dwordx2 v[49:50], v[11:12], off
	global_store_dwordx2 v[55:56], v[9:10], off
	s_and_saveexec_b64 s[18:19], s[0:1]
	s_cbranch_execz .LBB180_3
; %bb.13:                               ;   in Loop: Header=BB180_5 Depth=1
	v_add_u32_e32 v41, v25, v26
	v_add_u32_e32 v1, s23, v41
	v_lshlrev_b64 v[31:32], 3, v[1:2]
	v_mov_b32_e32 v1, s9
	v_add_co_u32_e32 v31, vcc, s8, v31
	v_addc_co_u32_e32 v32, vcc, v1, v32, vcc
	global_load_dwordx2 v[33:34], v[31:32], off
	v_add_u32_e32 v1, s24, v41
	v_lshlrev_b64 v[35:36], 3, v[1:2]
	v_mov_b32_e32 v39, s9
	v_add_u32_e32 v1, s25, v41
	v_add_co_u32_e32 v35, vcc, s8, v35
	v_lshlrev_b64 v[37:38], 3, v[1:2]
	v_addc_co_u32_e32 v36, vcc, v39, v36, vcc
	global_load_dwordx2 v[39:40], v[35:36], off
	v_mov_b32_e32 v42, s9
	v_add_co_u32_e32 v37, vcc, s8, v37
	v_addc_co_u32_e32 v38, vcc, v42, v38, vcc
	v_mov_b32_e32 v43, s9
	s_waitcnt vmcnt(1)
	v_fma_f32 v33, -v3, v23, v33
	v_fma_f32 v1, -v4, v23, v34
	v_fmac_f32_e32 v33, v4, v24
	v_fma_f32 v34, -v3, v24, v1
	global_store_dwordx2 v[31:32], v[33:34], off
	global_load_dwordx2 v[23:24], v[37:38], off
	v_add_u32_e32 v1, s26, v41
	v_lshlrev_b64 v[31:32], 3, v[1:2]
	v_add_u32_e32 v1, s27, v41
	v_lshlrev_b64 v[33:34], 3, v[1:2]
	v_add_co_u32_e32 v31, vcc, s8, v31
	s_waitcnt vmcnt(2)
	v_fma_f32 v39, -v3, v21, v39
	v_fma_f32 v1, -v4, v21, v40
	v_addc_co_u32_e32 v32, vcc, v42, v32, vcc
	v_fmac_f32_e32 v39, v4, v22
	v_fma_f32 v40, -v3, v22, v1
	v_add_co_u32_e32 v33, vcc, s8, v33
	global_store_dwordx2 v[35:36], v[39:40], off
	v_addc_co_u32_e32 v34, vcc, v43, v34, vcc
	global_load_dwordx2 v[21:22], v[31:32], off
	v_mov_b32_e32 v35, s9
	s_waitcnt vmcnt(2)
	v_fma_f32 v23, -v3, v19, v23
	v_fma_f32 v1, -v4, v19, v24
	v_fmac_f32_e32 v23, v4, v20
	v_fma_f32 v24, -v3, v20, v1
	global_store_dwordx2 v[37:38], v[23:24], off
	global_load_dwordx2 v[19:20], v[33:34], off
	v_add_u32_e32 v1, s28, v41
	v_lshlrev_b64 v[23:24], 3, v[1:2]
	v_add_co_u32_e32 v23, vcc, s8, v23
	v_addc_co_u32_e32 v24, vcc, v35, v24, vcc
	s_waitcnt vmcnt(2)
	v_fma_f32 v1, -v4, v17, v22
	v_fma_f32 v21, -v3, v17, v21
	;; [unrolled: 1-line block ×3, first 2 shown]
	v_fmac_f32_e32 v21, v4, v18
	global_store_dwordx2 v[31:32], v[21:22], off
	s_waitcnt vmcnt(1)
	v_fma_f32 v17, -v3, v15, v19
	v_fma_f32 v1, -v4, v15, v20
	v_fmac_f32_e32 v17, v4, v16
	v_fma_f32 v18, -v3, v16, v1
	global_store_dwordx2 v[33:34], v[17:18], off
	global_load_dwordx2 v[15:16], v[23:24], off
	v_add_u32_e32 v1, s29, v41
	v_lshlrev_b64 v[17:18], 3, v[1:2]
	v_mov_b32_e32 v19, s9
	v_add_co_u32_e32 v17, vcc, s8, v17
	v_addc_co_u32_e32 v18, vcc, v19, v18, vcc
	s_waitcnt vmcnt(0)
	v_fma_f32 v15, -v3, v13, v15
	v_fma_f32 v1, -v4, v13, v16
	v_fmac_f32_e32 v15, v4, v14
	v_fma_f32 v16, -v3, v14, v1
	global_store_dwordx2 v[23:24], v[15:16], off
	global_load_dwordx2 v[13:14], v[17:18], off
	v_add_u32_e32 v1, s30, v41
	v_lshlrev_b64 v[15:16], 3, v[1:2]
	v_add_co_u32_e32 v15, vcc, s8, v15
	v_addc_co_u32_e32 v16, vcc, v19, v16, vcc
	s_waitcnt vmcnt(0)
	v_fma_f32 v13, -v3, v11, v13
	v_fma_f32 v1, -v4, v11, v14
	v_fmac_f32_e32 v13, v4, v12
	v_fma_f32 v14, -v3, v12, v1
	global_store_dwordx2 v[17:18], v[13:14], off
	global_load_dwordx2 v[11:12], v[15:16], off
	s_waitcnt vmcnt(0)
	v_fma_f32 v11, -v3, v9, v11
	v_fma_f32 v1, -v4, v9, v12
	v_fmac_f32_e32 v11, v4, v10
	v_fma_f32 v12, -v3, v10, v1
	global_store_dwordx2 v[15:16], v[11:12], off
	s_branch .LBB180_3
.LBB180_14:
	s_or_b64 exec, exec, s[4:5]
	s_branch .LBB180_16
.LBB180_15:
	v_mov_b32_e32 v26, 0
.LBB180_16:
	v_subrev_u32_e32 v3, s20, v26
	v_add_u32_e32 v1, v3, v0
	v_ashrrev_i32_e32 v2, 31, v1
	v_lshlrev_b64 v[1:2], 2, v[1:2]
	s_waitcnt lgkmcnt(0)
	v_mov_b32_e32 v4, s17
	v_add_co_u32_e32 v1, vcc, s16, v1
	v_addc_co_u32_e32 v2, vcc, v4, v2, vcc
	s_waitcnt vmcnt(0)
	buffer_wbinvl1_vol
	global_load_dword v1, v[1:2], off
	s_waitcnt vmcnt(0)
	v_mul_lo_u32 v1, v1, s20
	v_sub_u32_e32 v7, v3, v1
	v_cmp_lt_i32_e32 vcc, -1, v7
	s_and_b64 exec, exec, vcc
	s_cbranch_execz .LBB180_23
; %bb.17:
	s_lshl_b32 s4, s22, 3
	s_add_i32 s5, s4, s21
	s_add_i32 s6, s5, s21
	;; [unrolled: 1-line block ×7, first 2 shown]
	s_and_b32 s18, s21, -2
	s_mov_b64 s[0:1], 0
	v_mov_b32_e32 v8, s17
	v_mov_b32_e32 v9, s11
	;; [unrolled: 1-line block ×3, first 2 shown]
	s_branch .LBB180_19
.LBB180_18:                             ;   in Loop: Header=BB180_19 Depth=1
	s_or_b64 exec, exec, s[2:3]
	v_sub_u32_e32 v7, v7, v1
	v_cmp_gt_i32_e32 vcc, 0, v7
	s_or_b64 s[0:1], vcc, s[0:1]
	s_andn2_b64 exec, exec, s[0:1]
	s_cbranch_execz .LBB180_23
.LBB180_19:                             ; =>This Inner Loop Header: Depth=1
	v_add_u32_e32 v5, v7, v0
	v_ashrrev_i32_e32 v6, 31, v5
	s_waitcnt vmcnt(0)
	v_lshlrev_b64 v[3:4], 2, v[5:6]
	v_add_co_u32_e32 v3, vcc, s16, v3
	v_addc_co_u32_e32 v4, vcc, v8, v4, vcc
	global_load_dword v1, v[3:4], off
	v_lshlrev_b64 v[3:4], 3, v[5:6]
	v_add_co_u32_e32 v3, vcc, s10, v3
	v_addc_co_u32_e32 v4, vcc, v9, v4, vcc
	global_load_dwordx2 v[3:4], v[3:4], off
	s_waitcnt vmcnt(1)
	v_cmp_ne_u32_e32 vcc, 1, v1
	s_and_saveexec_b64 s[2:3], vcc
	s_xor_b64 s[2:3], exec, s[2:3]
	s_cbranch_execz .LBB180_21
; %bb.20:                               ;   in Loop: Header=BB180_19 Depth=1
	v_add_u32_e32 v6, v25, v7
	v_add_u32_e32 v1, s4, v6
	v_lshlrev_b64 v[10:11], 3, v[1:2]
	v_mov_b32_e32 v1, s9
	v_add_co_u32_e32 v10, vcc, s8, v10
	v_addc_co_u32_e32 v11, vcc, v1, v11, vcc
	v_add_u32_e32 v1, s5, v6
	v_lshlrev_b64 v[12:13], 3, v[1:2]
	v_add_u32_e32 v1, s6, v6
	v_lshlrev_b64 v[14:15], 3, v[1:2]
	;; [unrolled: 2-line block ×8, first 2 shown]
	v_mov_b32_e32 v1, s9
	v_add_co_u32_e32 v28, vcc, s8, v28
	v_addc_co_u32_e32 v29, vcc, v1, v29, vcc
	global_load_dwordx2 v[10:11], v[10:11], off
	v_add_co_u32_e32 v12, vcc, s8, v12
	global_load_dwordx2 v[30:31], v[28:29], off
	v_addc_co_u32_e32 v13, vcc, v1, v13, vcc
	v_mov_b32_e32 v6, s9
	v_add_co_u32_e32 v14, vcc, s8, v14
	v_addc_co_u32_e32 v15, vcc, v6, v15, vcc
	v_mov_b32_e32 v24, s9
	v_add_co_u32_e32 v16, vcc, s8, v16
	v_addc_co_u32_e32 v17, vcc, v24, v17, vcc
	v_mov_b32_e32 v38, s9
	global_load_dwordx2 v[32:33], v[12:13], off
	global_load_dwordx2 v[34:35], v[14:15], off
	;; [unrolled: 1-line block ×3, first 2 shown]
	v_add_co_u32_e32 v12, vcc, s8, v18
	v_addc_co_u32_e32 v13, vcc, v38, v19, vcc
	v_mov_b32_e32 v39, s9
	v_add_co_u32_e32 v14, vcc, s8, v20
	v_addc_co_u32_e32 v15, vcc, v39, v21, vcc
	v_mov_b32_e32 v40, s9
	v_add_co_u32_e32 v16, vcc, s8, v22
	v_addc_co_u32_e32 v17, vcc, v40, v23, vcc
	v_add_u32_e32 v1, s5, v5
	v_mov_b32_e32 v41, s9
	v_add_co_u32_e32 v18, vcc, s8, v26
	v_lshlrev_b64 v[20:21], 3, v[1:2]
	v_addc_co_u32_e32 v19, vcc, v41, v27, vcc
	global_load_dwordx2 v[22:23], v[12:13], off
	global_load_dwordx2 v[26:27], v[14:15], off
	global_load_dwordx2 v[38:39], v[16:17], off
	global_load_dwordx2 v[40:41], v[18:19], off
	v_mov_b32_e32 v42, s9
	v_add_co_u32_e32 v12, vcc, s8, v20
	v_addc_co_u32_e32 v13, vcc, v42, v21, vcc
	v_mov_b32_e32 v19, s9
	s_waitcnt vmcnt(7)
	v_fma_f32 v14, -v3, v10, v30
	v_fma_f32 v1, -v4, v10, v31
	v_fmac_f32_e32 v14, v4, v11
	v_fma_f32 v15, -v3, v11, v1
	global_store_dwordx2 v[28:29], v[14:15], off
	global_load_dwordx2 v[14:15], v[12:13], off
	v_add_u32_e32 v1, s6, v5
	v_lshlrev_b64 v[16:17], 3, v[1:2]
	v_add_co_u32_e32 v16, vcc, s8, v16
	v_addc_co_u32_e32 v17, vcc, v6, v17, vcc
	s_waitcnt vmcnt(0)
	v_fma_f32 v14, -v3, v32, v14
	v_fma_f32 v1, -v4, v32, v15
	v_fmac_f32_e32 v14, v4, v33
	v_fma_f32 v15, -v3, v33, v1
	global_store_dwordx2 v[12:13], v[14:15], off
	global_load_dwordx2 v[12:13], v[16:17], off
	v_add_u32_e32 v1, s7, v5
	v_lshlrev_b64 v[14:15], 3, v[1:2]
	v_add_co_u32_e32 v14, vcc, s8, v14
	v_addc_co_u32_e32 v15, vcc, v6, v15, vcc
	;; [unrolled: 11-line block ×5, first 2 shown]
	s_waitcnt vmcnt(0)
	v_fma_f32 v12, -v3, v26, v12
	v_fma_f32 v1, -v4, v26, v13
	v_fmac_f32_e32 v12, v4, v27
	v_fma_f32 v13, -v3, v27, v1
	global_store_dwordx2 v[14:15], v[12:13], off
	global_load_dwordx2 v[12:13], v[16:17], off
	v_add_u32_e32 v1, s15, v5
	v_lshlrev_b64 v[5:6], 3, v[1:2]
	v_mov_b32_e32 v14, s9
	v_add_co_u32_e32 v5, vcc, s8, v5
	v_addc_co_u32_e32 v6, vcc, v14, v6, vcc
	s_waitcnt vmcnt(0)
	v_fma_f32 v12, -v3, v38, v12
	v_fma_f32 v1, -v4, v38, v13
	v_fmac_f32_e32 v12, v4, v39
	v_fma_f32 v13, -v3, v39, v1
	global_store_dwordx2 v[16:17], v[12:13], off
	global_load_dwordx2 v[12:13], v[5:6], off
	v_subrev_u32_e32 v1, s20, v7
	v_add_u32_e32 v14, v1, v0
	v_ashrrev_i32_e32 v15, 31, v14
	v_lshlrev_b64 v[15:16], 3, v[14:15]
	v_mov_b32_e32 v17, s11
	v_add_co_u32_e32 v15, vcc, s10, v15
	v_add_u32_e32 v1, s4, v14
	v_addc_co_u32_e32 v16, vcc, v17, v16, vcc
	v_lshlrev_b64 v[17:18], 3, v[1:2]
	global_load_dwordx2 v[15:16], v[15:16], off
	v_add_co_u32_e32 v17, vcc, s8, v17
	v_addc_co_u32_e32 v18, vcc, v19, v18, vcc
	s_waitcnt vmcnt(1)
	v_fma_f32 v12, -v3, v40, v12
	v_fma_f32 v1, -v4, v40, v13
	v_fmac_f32_e32 v12, v4, v41
	v_fma_f32 v13, -v3, v41, v1
	global_store_dwordx2 v[5:6], v[12:13], off
	global_load_dwordx2 v[3:4], v[17:18], off
	v_add_u32_e32 v1, s5, v14
	v_lshlrev_b64 v[5:6], 3, v[1:2]
	v_mov_b32_e32 v12, s9
	v_add_co_u32_e32 v5, vcc, s8, v5
	v_addc_co_u32_e32 v6, vcc, v12, v6, vcc
	s_waitcnt vmcnt(0)
	v_fma_f32 v3, -v15, v10, v3
	v_fma_f32 v1, -v16, v10, v4
	v_fmac_f32_e32 v3, v16, v11
	v_fma_f32 v4, -v15, v11, v1
	global_store_dwordx2 v[17:18], v[3:4], off
	global_load_dwordx2 v[3:4], v[5:6], off
	v_add_u32_e32 v1, s6, v14
	v_lshlrev_b64 v[10:11], 3, v[1:2]
	v_add_co_u32_e32 v10, vcc, s8, v10
	v_addc_co_u32_e32 v11, vcc, v12, v11, vcc
	s_waitcnt vmcnt(0)
	v_fma_f32 v3, -v15, v32, v3
	v_fma_f32 v1, -v16, v32, v4
	v_fmac_f32_e32 v3, v16, v33
	v_fma_f32 v4, -v15, v33, v1
	global_store_dwordx2 v[5:6], v[3:4], off
	global_load_dwordx2 v[3:4], v[10:11], off
	v_add_u32_e32 v1, s7, v14
	v_lshlrev_b64 v[5:6], 3, v[1:2]
	;; [unrolled: 11-line block ×6, first 2 shown]
	v_add_co_u32_e32 v5, vcc, s8, v5
	v_addc_co_u32_e32 v6, vcc, v12, v6, vcc
	s_waitcnt vmcnt(0)
	v_fma_f32 v3, -v15, v38, v3
	v_fma_f32 v1, -v16, v38, v4
	v_fmac_f32_e32 v3, v16, v39
	v_fma_f32 v4, -v15, v39, v1
	global_store_dwordx2 v[10:11], v[3:4], off
	global_load_dwordx2 v[3:4], v[5:6], off
	s_waitcnt vmcnt(0)
	v_fma_f32 v3, -v15, v40, v3
	v_fma_f32 v1, -v16, v40, v4
	v_fmac_f32_e32 v3, v16, v41
	v_fma_f32 v4, -v15, v41, v1
	global_store_dwordx2 v[5:6], v[3:4], off
                                        ; implicit-def: $vgpr5
                                        ; implicit-def: $vgpr3_vgpr4
.LBB180_21:                             ;   in Loop: Header=BB180_19 Depth=1
	s_or_saveexec_b64 s[2:3], s[2:3]
	v_mov_b32_e32 v1, s18
	s_xor_b64 exec, exec, s[2:3]
	s_cbranch_execz .LBB180_18
; %bb.22:                               ;   in Loop: Header=BB180_19 Depth=1
	v_add_u32_e32 v6, v25, v7
	v_add_u32_e32 v1, s4, v6
	v_lshlrev_b64 v[10:11], 3, v[1:2]
	v_mov_b32_e32 v1, s9
	v_add_co_u32_e32 v10, vcc, s8, v10
	v_addc_co_u32_e32 v11, vcc, v1, v11, vcc
	v_add_u32_e32 v1, s4, v5
	v_lshlrev_b64 v[12:13], 3, v[1:2]
	v_mov_b32_e32 v1, s9
	v_add_co_u32_e32 v12, vcc, s8, v12
	v_addc_co_u32_e32 v13, vcc, v1, v13, vcc
	global_load_dwordx2 v[14:15], v[10:11], off
	global_load_dwordx2 v[16:17], v[12:13], off
	v_add_u32_e32 v1, s5, v6
	v_lshlrev_b64 v[10:11], 3, v[1:2]
	v_add_u32_e32 v1, s5, v5
	v_mov_b32_e32 v20, s9
	v_lshlrev_b64 v[18:19], 3, v[1:2]
	v_add_co_u32_e32 v10, vcc, s8, v10
	v_addc_co_u32_e32 v11, vcc, v20, v11, vcc
	v_mov_b32_e32 v21, s9
	v_add_co_u32_e32 v18, vcc, s8, v18
	v_addc_co_u32_e32 v19, vcc, v21, v19, vcc
	s_waitcnt vmcnt(0)
	v_fma_f32 v16, -v3, v14, v16
	v_fma_f32 v1, -v4, v14, v17
	v_fmac_f32_e32 v16, v4, v15
	v_fma_f32 v17, -v3, v15, v1
	global_store_dwordx2 v[12:13], v[16:17], off
	global_load_dwordx2 v[12:13], v[10:11], off
	s_nop 0
	global_load_dwordx2 v[14:15], v[18:19], off
	v_add_u32_e32 v1, s6, v6
	v_lshlrev_b64 v[10:11], 3, v[1:2]
	v_add_u32_e32 v1, s6, v5
	v_lshlrev_b64 v[16:17], 3, v[1:2]
	v_add_co_u32_e32 v10, vcc, s8, v10
	v_addc_co_u32_e32 v11, vcc, v20, v11, vcc
	v_add_co_u32_e32 v16, vcc, s8, v16
	v_addc_co_u32_e32 v17, vcc, v21, v17, vcc
	s_waitcnt vmcnt(0)
	v_fma_f32 v14, -v3, v12, v14
	v_fma_f32 v1, -v4, v12, v15
	v_fmac_f32_e32 v14, v4, v13
	v_fma_f32 v15, -v3, v13, v1
	global_store_dwordx2 v[18:19], v[14:15], off
	global_load_dwordx2 v[12:13], v[10:11], off
	s_nop 0
	global_load_dwordx2 v[14:15], v[16:17], off
	v_add_u32_e32 v1, s7, v6
	v_lshlrev_b64 v[10:11], 3, v[1:2]
	v_add_u32_e32 v1, s7, v5
	v_lshlrev_b64 v[18:19], 3, v[1:2]
	v_add_co_u32_e32 v10, vcc, s8, v10
	v_addc_co_u32_e32 v11, vcc, v20, v11, vcc
	;; [unrolled: 17-line block ×5, first 2 shown]
	v_add_co_u32_e32 v16, vcc, s8, v16
	v_addc_co_u32_e32 v17, vcc, v21, v17, vcc
	s_waitcnt vmcnt(0)
	v_fma_f32 v14, -v3, v12, v14
	v_fma_f32 v1, -v4, v12, v15
	v_fmac_f32_e32 v14, v4, v13
	v_fma_f32 v15, -v3, v13, v1
	global_store_dwordx2 v[18:19], v[14:15], off
	global_load_dwordx2 v[12:13], v[10:11], off
	s_nop 0
	global_load_dwordx2 v[14:15], v[16:17], off
	v_add_u32_e32 v1, s15, v6
	v_lshlrev_b64 v[10:11], 3, v[1:2]
	v_add_u32_e32 v1, s15, v5
	v_mov_b32_e32 v18, s9
	v_lshlrev_b64 v[5:6], 3, v[1:2]
	v_add_co_u32_e32 v10, vcc, s8, v10
	v_addc_co_u32_e32 v11, vcc, v18, v11, vcc
	v_mov_b32_e32 v19, s9
	v_add_co_u32_e32 v5, vcc, s8, v5
	v_addc_co_u32_e32 v6, vcc, v19, v6, vcc
	s_waitcnt vmcnt(0)
	v_fma_f32 v14, -v3, v12, v14
	v_fma_f32 v1, -v4, v12, v15
	v_fmac_f32_e32 v14, v4, v13
	v_fma_f32 v15, -v3, v13, v1
	global_store_dwordx2 v[16:17], v[14:15], off
	global_load_dwordx2 v[12:13], v[10:11], off
	s_nop 0
	global_load_dwordx2 v[14:15], v[5:6], off
	s_waitcnt vmcnt(0)
	v_fma_f32 v10, -v3, v12, v14
	v_fma_f32 v1, -v4, v12, v15
	v_fmac_f32_e32 v10, v4, v13
	v_fma_f32 v11, -v3, v13, v1
	v_mov_b32_e32 v1, s20
	global_store_dwordx2 v[5:6], v[10:11], off
	s_branch .LBB180_18
.LBB180_23:
	s_endpgm
	.section	.rodata,"a",@progbits
	.p2align	6, 0x0
	.amdhsa_kernel _ZN9rocsparseL19gtsv_LBM_rhs_kernelILj256ELj2ELj8E21rocsparse_complex_numIfEEEviiiPKT2_S5_S5_PS3_S5_PKi
		.amdhsa_group_segment_fixed_size 0
		.amdhsa_private_segment_fixed_size 0
		.amdhsa_kernarg_size 64
		.amdhsa_user_sgpr_count 6
		.amdhsa_user_sgpr_private_segment_buffer 1
		.amdhsa_user_sgpr_dispatch_ptr 0
		.amdhsa_user_sgpr_queue_ptr 0
		.amdhsa_user_sgpr_kernarg_segment_ptr 1
		.amdhsa_user_sgpr_dispatch_id 0
		.amdhsa_user_sgpr_flat_scratch_init 0
		.amdhsa_user_sgpr_private_segment_size 0
		.amdhsa_uses_dynamic_stack 0
		.amdhsa_system_sgpr_private_segment_wavefront_offset 0
		.amdhsa_system_sgpr_workgroup_id_x 1
		.amdhsa_system_sgpr_workgroup_id_y 1
		.amdhsa_system_sgpr_workgroup_id_z 0
		.amdhsa_system_sgpr_workgroup_info 0
		.amdhsa_system_vgpr_workitem_id 0
		.amdhsa_next_free_vgpr 81
		.amdhsa_next_free_sgpr 32
		.amdhsa_reserve_vcc 1
		.amdhsa_reserve_flat_scratch 0
		.amdhsa_float_round_mode_32 0
		.amdhsa_float_round_mode_16_64 0
		.amdhsa_float_denorm_mode_32 3
		.amdhsa_float_denorm_mode_16_64 3
		.amdhsa_dx10_clamp 1
		.amdhsa_ieee_mode 1
		.amdhsa_fp16_overflow 0
		.amdhsa_exception_fp_ieee_invalid_op 0
		.amdhsa_exception_fp_denorm_src 0
		.amdhsa_exception_fp_ieee_div_zero 0
		.amdhsa_exception_fp_ieee_overflow 0
		.amdhsa_exception_fp_ieee_underflow 0
		.amdhsa_exception_fp_ieee_inexact 0
		.amdhsa_exception_int_div_zero 0
	.end_amdhsa_kernel
	.section	.text._ZN9rocsparseL19gtsv_LBM_rhs_kernelILj256ELj2ELj8E21rocsparse_complex_numIfEEEviiiPKT2_S5_S5_PS3_S5_PKi,"axG",@progbits,_ZN9rocsparseL19gtsv_LBM_rhs_kernelILj256ELj2ELj8E21rocsparse_complex_numIfEEEviiiPKT2_S5_S5_PS3_S5_PKi,comdat
.Lfunc_end180:
	.size	_ZN9rocsparseL19gtsv_LBM_rhs_kernelILj256ELj2ELj8E21rocsparse_complex_numIfEEEviiiPKT2_S5_S5_PS3_S5_PKi, .Lfunc_end180-_ZN9rocsparseL19gtsv_LBM_rhs_kernelILj256ELj2ELj8E21rocsparse_complex_numIfEEEviiiPKT2_S5_S5_PS3_S5_PKi
                                        ; -- End function
	.set _ZN9rocsparseL19gtsv_LBM_rhs_kernelILj256ELj2ELj8E21rocsparse_complex_numIfEEEviiiPKT2_S5_S5_PS3_S5_PKi.num_vgpr, 81
	.set _ZN9rocsparseL19gtsv_LBM_rhs_kernelILj256ELj2ELj8E21rocsparse_complex_numIfEEEviiiPKT2_S5_S5_PS3_S5_PKi.num_agpr, 0
	.set _ZN9rocsparseL19gtsv_LBM_rhs_kernelILj256ELj2ELj8E21rocsparse_complex_numIfEEEviiiPKT2_S5_S5_PS3_S5_PKi.numbered_sgpr, 32
	.set _ZN9rocsparseL19gtsv_LBM_rhs_kernelILj256ELj2ELj8E21rocsparse_complex_numIfEEEviiiPKT2_S5_S5_PS3_S5_PKi.num_named_barrier, 0
	.set _ZN9rocsparseL19gtsv_LBM_rhs_kernelILj256ELj2ELj8E21rocsparse_complex_numIfEEEviiiPKT2_S5_S5_PS3_S5_PKi.private_seg_size, 0
	.set _ZN9rocsparseL19gtsv_LBM_rhs_kernelILj256ELj2ELj8E21rocsparse_complex_numIfEEEviiiPKT2_S5_S5_PS3_S5_PKi.uses_vcc, 1
	.set _ZN9rocsparseL19gtsv_LBM_rhs_kernelILj256ELj2ELj8E21rocsparse_complex_numIfEEEviiiPKT2_S5_S5_PS3_S5_PKi.uses_flat_scratch, 0
	.set _ZN9rocsparseL19gtsv_LBM_rhs_kernelILj256ELj2ELj8E21rocsparse_complex_numIfEEEviiiPKT2_S5_S5_PS3_S5_PKi.has_dyn_sized_stack, 0
	.set _ZN9rocsparseL19gtsv_LBM_rhs_kernelILj256ELj2ELj8E21rocsparse_complex_numIfEEEviiiPKT2_S5_S5_PS3_S5_PKi.has_recursion, 0
	.set _ZN9rocsparseL19gtsv_LBM_rhs_kernelILj256ELj2ELj8E21rocsparse_complex_numIfEEEviiiPKT2_S5_S5_PS3_S5_PKi.has_indirect_call, 0
	.section	.AMDGPU.csdata,"",@progbits
; Kernel info:
; codeLenInByte = 6196
; TotalNumSgprs: 36
; NumVgprs: 81
; ScratchSize: 0
; MemoryBound: 0
; FloatMode: 240
; IeeeMode: 1
; LDSByteSize: 0 bytes/workgroup (compile time only)
; SGPRBlocks: 4
; VGPRBlocks: 20
; NumSGPRsForWavesPerEU: 36
; NumVGPRsForWavesPerEU: 81
; Occupancy: 3
; WaveLimiterHint : 0
; COMPUTE_PGM_RSRC2:SCRATCH_EN: 0
; COMPUTE_PGM_RSRC2:USER_SGPR: 6
; COMPUTE_PGM_RSRC2:TRAP_HANDLER: 0
; COMPUTE_PGM_RSRC2:TGID_X_EN: 1
; COMPUTE_PGM_RSRC2:TGID_Y_EN: 1
; COMPUTE_PGM_RSRC2:TGID_Z_EN: 0
; COMPUTE_PGM_RSRC2:TIDIG_COMP_CNT: 0
	.section	.text._ZN9rocsparseL19gtsv_LBM_rhs_kernelILj256ELj2ELj4E21rocsparse_complex_numIfEEEviiiPKT2_S5_S5_PS3_S5_PKi,"axG",@progbits,_ZN9rocsparseL19gtsv_LBM_rhs_kernelILj256ELj2ELj4E21rocsparse_complex_numIfEEEviiiPKT2_S5_S5_PS3_S5_PKi,comdat
	.globl	_ZN9rocsparseL19gtsv_LBM_rhs_kernelILj256ELj2ELj4E21rocsparse_complex_numIfEEEviiiPKT2_S5_S5_PS3_S5_PKi ; -- Begin function _ZN9rocsparseL19gtsv_LBM_rhs_kernelILj256ELj2ELj4E21rocsparse_complex_numIfEEEviiiPKT2_S5_S5_PS3_S5_PKi
	.p2align	8
	.type	_ZN9rocsparseL19gtsv_LBM_rhs_kernelILj256ELj2ELj4E21rocsparse_complex_numIfEEEviiiPKT2_S5_S5_PS3_S5_PKi,@function
_ZN9rocsparseL19gtsv_LBM_rhs_kernelILj256ELj2ELj4E21rocsparse_complex_numIfEEEviiiPKT2_S5_S5_PS3_S5_PKi: ; @_ZN9rocsparseL19gtsv_LBM_rhs_kernelILj256ELj2ELj4E21rocsparse_complex_numIfEEEviiiPKT2_S5_S5_PS3_S5_PKi
; %bb.0:
	s_load_dword s21, s[4:5], 0x0
	v_lshl_or_b32 v0, s6, 8, v0
	s_waitcnt lgkmcnt(0)
	s_lshr_b32 s20, s21, 1
	v_cmp_gt_i32_e32 vcc, s20, v0
	s_and_saveexec_b64 s[0:1], vcc
	s_cbranch_execz .LBB181_23
; %bb.1:
	s_load_dwordx4 s[8:11], s[4:5], 0x28
	s_load_dwordx2 s[16:17], s[4:5], 0x38
	s_cmp_lt_i32 s21, 1
	v_add_u32_e32 v17, s20, v0
	s_mul_i32 s22, s7, s21
	s_cbranch_scc1 .LBB181_15
; %bb.2:
	s_load_dwordx4 s[12:15], s[4:5], 0x10
	s_load_dwordx2 s[6:7], s[4:5], 0x20
	v_ashrrev_i32_e32 v1, 31, v0
	v_lshlrev_b64 v[1:2], 3, v[0:1]
	s_lshl_b32 s23, s22, 2
	s_waitcnt lgkmcnt(0)
	v_mov_b32_e32 v3, s15
	v_add_co_u32_e32 v1, vcc, s14, v1
	v_addc_co_u32_e32 v2, vcc, v3, v2, vcc
	global_load_dwordx2 v[9:10], v[1:2], off
	s_add_i32 s24, s23, s21
	s_add_i32 s25, s24, s21
	;; [unrolled: 1-line block ×3, first 2 shown]
	s_and_b32 s27, s21, 0x7ffffffe
	v_mov_b32_e32 v2, 0
	s_mov_b64 s[4:5], 0
	v_mov_b32_e32 v19, s7
	v_mov_b32_e32 v18, 0
	s_branch .LBB181_5
.LBB181_3:                              ;   in Loop: Header=BB181_5 Depth=1
	s_or_b64 exec, exec, s[18:19]
	v_fmac_f32_e32 v21, v3, v5
	v_fmac_f32_e32 v20, v4, v5
	v_mul_f32_e64 v1, v22, -v20
	v_mul_f32_e32 v3, v22, v21
	v_fmac_f32_e32 v1, v21, v6
	v_fmac_f32_e32 v3, v20, v6
	v_sub_f32_e32 v6, v7, v1
	v_sub_f32_e32 v14, v8, v3
	v_mov_b32_e32 v15, s20
.LBB181_4:                              ;   in Loop: Header=BB181_5 Depth=1
	s_or_b64 exec, exec, s[2:3]
	v_add_u32_e32 v18, v15, v18
	v_cmp_le_i32_e32 vcc, s21, v18
	s_or_b64 s[4:5], vcc, s[4:5]
	v_mov_b32_e32 v10, v14
	v_mov_b32_e32 v9, v6
	s_andn2_b64 exec, exec, s[4:5]
	s_cbranch_execz .LBB181_14
.LBB181_5:                              ; =>This Inner Loop Header: Depth=1
	v_add_u32_e32 v11, v18, v0
	v_ashrrev_i32_e32 v12, 31, v11
	v_lshlrev_b64 v[3:4], 3, v[11:12]
	v_cmp_gt_u32_e64 s[0:1], s20, v18
	v_add_co_u32_e32 v3, vcc, s6, v3
	v_addc_co_u32_e32 v4, vcc, v19, v4, vcc
	global_load_dwordx2 v[5:6], v[3:4], off
	v_mov_b32_e32 v3, 0
	v_mov_b32_e32 v4, 0
	s_and_saveexec_b64 s[2:3], s[0:1]
	s_cbranch_execz .LBB181_7
; %bb.6:                                ;   in Loop: Header=BB181_5 Depth=1
	v_add_u32_e32 v3, v17, v18
	v_ashrrev_i32_e32 v4, 31, v3
	v_lshlrev_b64 v[3:4], 3, v[3:4]
	v_mov_b32_e32 v1, s13
	v_add_co_u32_e32 v3, vcc, s12, v3
	v_addc_co_u32_e32 v4, vcc, v1, v4, vcc
	global_load_dwordx2 v[3:4], v[3:4], off
.LBB181_7:                              ;   in Loop: Header=BB181_5 Depth=1
	s_or_b64 exec, exec, s[2:3]
	v_mov_b32_e32 v7, 0
	v_mov_b32_e32 v8, 0
	s_and_saveexec_b64 s[2:3], s[0:1]
	s_cbranch_execz .LBB181_9
; %bb.8:                                ;   in Loop: Header=BB181_5 Depth=1
	v_add_u32_e32 v7, v17, v18
	v_ashrrev_i32_e32 v8, 31, v7
	v_lshlrev_b64 v[7:8], 3, v[7:8]
	v_mov_b32_e32 v1, s15
	v_add_co_u32_e32 v7, vcc, s14, v7
	v_addc_co_u32_e32 v8, vcc, v1, v8, vcc
	global_load_dwordx2 v[7:8], v[7:8], off
.LBB181_9:                              ;   in Loop: Header=BB181_5 Depth=1
	s_or_b64 exec, exec, s[2:3]
	v_lshlrev_b64 v[12:13], 2, v[11:12]
	v_mov_b32_e32 v1, s17
	v_add_co_u32_e32 v12, vcc, s16, v12
	v_addc_co_u32_e32 v13, vcc, v1, v13, vcc
	global_load_dword v14, v[12:13], off
	v_cmp_ne_u32_e32 vcc, s20, v18
	s_waitcnt vmcnt(1)
	v_mul_f32_e64 v21, v6, -v4
	v_mul_f32_e32 v20, v3, v6
	v_add_u32_e32 v1, s23, v11
	v_add_u32_e32 v13, s24, v11
	;; [unrolled: 1-line block ×4, first 2 shown]
	s_waitcnt vmcnt(0)
	v_cmp_ne_u32_e64 s[2:3], 1, v14
	s_and_b64 s[2:3], vcc, s[2:3]
	s_and_saveexec_b64 s[18:19], s[2:3]
	s_xor_b64 s[18:19], exec, s[18:19]
	s_cbranch_execz .LBB181_11
; %bb.10:                               ;   in Loop: Header=BB181_5 Depth=1
	v_lshlrev_b64 v[14:15], 3, v[1:2]
	v_mov_b32_e32 v1, s9
	v_add_co_u32_e32 v22, vcc, s8, v14
	v_mov_b32_e32 v14, v2
	v_lshlrev_b64 v[13:14], 3, v[13:14]
	v_addc_co_u32_e32 v23, vcc, v1, v15, vcc
	v_add_co_u32_e32 v15, vcc, s8, v13
	v_mov_b32_e32 v13, v2
	v_mul_f32_e64 v32, v8, -v10
	v_lshlrev_b64 v[12:13], 3, v[12:13]
	v_fmac_f32_e32 v32, v9, v7
	v_fmac_f32_e32 v21, v3, v5
	v_addc_co_u32_e32 v16, vcc, v1, v14, vcc
	v_sub_f32_e32 v46, v32, v21
	v_mul_f32_e32 v21, v9, v8
	v_add_co_u32_e32 v24, vcc, s8, v12
	v_add_u32_e32 v40, v17, v18
	v_fmac_f32_e32 v21, v10, v7
	v_fmac_f32_e32 v20, v4, v5
	v_addc_co_u32_e32 v25, vcc, v1, v13, vcc
	v_add_u32_e32 v1, s23, v40
	v_sub_f32_e32 v47, v21, v20
	v_lshlrev_b64 v[12:13], 3, v[1:2]
	v_mul_f32_e32 v48, v47, v47
	v_fmac_f32_e32 v48, v46, v46
	v_mov_b32_e32 v1, s9
	v_add_co_u32_e32 v28, vcc, s8, v12
	v_div_scale_f32 v42, s[2:3], v48, v48, 1.0
	v_addc_co_u32_e32 v29, vcc, v1, v13, vcc
	v_add_u32_e32 v1, s24, v40
	v_lshlrev_b64 v[30:31], 3, v[1:2]
	v_mov_b32_e32 v1, s9
	v_add_co_u32_e32 v30, vcc, s8, v30
	v_addc_co_u32_e32 v31, vcc, v1, v31, vcc
	v_div_scale_f32 v43, vcc, 1.0, v48, 1.0
	global_load_dwordx2 v[26:27], v[22:23], off
	global_load_dwordx2 v[13:14], v[28:29], off
	;; [unrolled: 1-line block ×4, first 2 shown]
	v_add_u32_e32 v1, s25, v40
	v_lshlrev_b64 v[20:21], 3, v[1:2]
	v_mov_b32_e32 v12, v2
	v_rcp_f32_e32 v44, v42
	v_lshlrev_b64 v[11:12], 3, v[11:12]
	v_mov_b32_e32 v36, s9
	v_add_co_u32_e64 v20, s[2:3], s8, v20
	v_addc_co_u32_e64 v21, s[2:3], v36, v21, s[2:3]
	v_mov_b32_e32 v41, s9
	v_add_co_u32_e64 v11, s[2:3], s8, v11
	v_add_u32_e32 v1, s26, v40
	v_addc_co_u32_e64 v12, s[2:3], v41, v12, s[2:3]
	v_lshlrev_b64 v[40:41], 3, v[1:2]
	v_fma_f32 v1, -v42, v44, 1.0
	global_load_dwordx2 v[36:37], v[24:25], off
	global_load_dwordx2 v[38:39], v[20:21], off
	v_fmac_f32_e32 v44, v1, v44
	v_mul_f32_e32 v1, v43, v44
	v_fma_f32 v49, -v42, v1, v43
	v_fmac_f32_e32 v1, v49, v44
	v_fma_f32 v42, -v42, v1, v43
	v_mov_b32_e32 v45, s9
	v_div_fmas_f32 v1, v42, v44, v1
	global_load_dwordx2 v[42:43], v[11:12], off
	v_add_co_u32_e32 v40, vcc, s8, v40
	v_addc_co_u32_e32 v41, vcc, v45, v41, vcc
	global_load_dwordx2 v[44:45], v[40:41], off
	v_div_fixup_f32 v1, v1, v48, 1.0
	v_fma_f32 v48, 0, v47, v46
	v_fma_f32 v46, v46, 0, -v47
	v_mul_f32_e32 v47, v48, v1
	v_mul_f32_e32 v1, v46, v1
	s_waitcnt vmcnt(7)
	v_mul_f32_e64 v46, v1, -v27
	v_fmac_f32_e32 v46, v26, v47
	v_mul_f32_e32 v26, v1, v26
	s_waitcnt vmcnt(6)
	v_mul_f32_e32 v48, v1, v13
	v_fmac_f32_e32 v26, v27, v47
	v_mul_f32_e64 v27, v1, -v14
	v_fmac_f32_e32 v48, v14, v47
	v_fmac_f32_e32 v27, v13, v47
	v_mul_f32_e64 v13, v26, -v8
	v_mul_f32_e32 v14, v7, v26
	v_mul_f32_e64 v49, v48, -v6
	v_mul_f32_e32 v50, v48, v5
	v_fmac_f32_e32 v13, v7, v46
	v_fmac_f32_e32 v14, v8, v46
	;; [unrolled: 1-line block ×4, first 2 shown]
	v_sub_f32_e32 v13, v13, v49
	v_sub_f32_e32 v14, v14, v50
	global_store_dwordx2 v[22:23], v[13:14], off
	s_waitcnt vmcnt(5)
	v_mul_f32_e32 v23, v1, v32
	v_mul_f32_e64 v22, v1, -v33
	v_fmac_f32_e32 v23, v33, v47
	v_mul_f32_e32 v33, v1, v34
	v_fmac_f32_e32 v22, v32, v47
	v_mul_f32_e64 v32, v1, -v35
	v_fmac_f32_e32 v33, v35, v47
	v_fmac_f32_e32 v32, v34, v47
	v_mul_f32_e64 v13, v23, -v8
	v_mul_f32_e32 v14, v7, v23
	v_mul_f32_e64 v34, v33, -v6
	v_mul_f32_e32 v35, v33, v5
	v_fmac_f32_e32 v13, v7, v22
	v_fmac_f32_e32 v14, v8, v22
	;; [unrolled: 1-line block ×4, first 2 shown]
	v_sub_f32_e32 v13, v13, v34
	v_sub_f32_e32 v14, v14, v35
	global_store_dwordx2 v[15:16], v[13:14], off
	s_waitcnt vmcnt(5)
	v_mul_f32_e32 v16, v1, v36
	s_waitcnt vmcnt(4)
	v_mul_f32_e32 v35, v1, v38
	v_mul_f32_e64 v15, v1, -v37
	v_fmac_f32_e32 v16, v37, v47
	v_mul_f32_e64 v34, v1, -v39
	v_fmac_f32_e32 v35, v39, v47
	v_fmac_f32_e32 v15, v36, v47
	;; [unrolled: 1-line block ×3, first 2 shown]
	v_mul_f32_e64 v13, v16, -v8
	v_mul_f32_e32 v14, v7, v16
	v_mul_f32_e64 v36, v35, -v6
	v_mul_f32_e32 v37, v35, v5
	v_fmac_f32_e32 v13, v7, v15
	v_fmac_f32_e32 v14, v8, v15
	;; [unrolled: 1-line block ×4, first 2 shown]
	v_sub_f32_e32 v13, v13, v36
	v_sub_f32_e32 v14, v14, v37
	global_store_dwordx2 v[24:25], v[13:14], off
	s_waitcnt vmcnt(4)
	v_mul_f32_e32 v14, v1, v42
	v_mul_f32_e64 v13, v1, -v43
	v_fmac_f32_e32 v14, v43, v47
	v_fmac_f32_e32 v13, v42, v47
	s_waitcnt vmcnt(3)
	v_mul_f32_e64 v24, v1, -v45
	v_mul_f32_e32 v1, v1, v44
	v_mul_f32_e64 v25, v14, -v8
	v_fmac_f32_e32 v1, v45, v47
	v_fmac_f32_e32 v25, v7, v13
	v_mul_f32_e32 v7, v7, v14
	v_fmac_f32_e32 v24, v44, v47
	v_fmac_f32_e32 v7, v8, v13
	v_mul_f32_e64 v8, v1, -v6
	v_mul_f32_e32 v36, v1, v5
	v_fmac_f32_e32 v8, v5, v24
	v_fmac_f32_e32 v36, v6, v24
	v_sub_f32_e32 v5, v25, v8
	v_sub_f32_e32 v6, v7, v36
	global_store_dwordx2 v[11:12], v[5:6], off
	v_mul_f32_e32 v5, v4, v26
	v_mul_f32_e64 v6, v26, -v3
	v_mul_f32_e64 v7, v48, -v10
	v_mul_f32_e32 v8, v9, v48
	v_fma_f32 v5, -v3, v46, v5
	v_fma_f32 v6, -v4, v46, v6
	v_fmac_f32_e32 v7, v9, v27
	v_fmac_f32_e32 v8, v10, v27
	v_add_f32_e32 v5, v5, v7
	v_add_f32_e32 v6, v6, v8
	global_store_dwordx2 v[28:29], v[5:6], off
	v_mul_f32_e32 v5, v4, v23
	v_mul_f32_e64 v6, v23, -v3
	v_mul_f32_e64 v7, v33, -v10
	v_mul_f32_e32 v8, v9, v33
	v_fma_f32 v5, -v3, v22, v5
	v_fma_f32 v6, -v4, v22, v6
	v_fmac_f32_e32 v7, v9, v32
	v_fmac_f32_e32 v8, v10, v32
	v_add_f32_e32 v5, v5, v7
	v_add_f32_e32 v6, v6, v8
	global_store_dwordx2 v[30:31], v[5:6], off
	v_mul_f32_e32 v5, v4, v16
	v_mul_f32_e64 v6, v16, -v3
	v_mul_f32_e64 v7, v35, -v10
	v_mul_f32_e32 v8, v9, v35
	v_fma_f32 v5, -v3, v15, v5
	v_fma_f32 v6, -v4, v15, v6
	v_fmac_f32_e32 v7, v9, v34
	v_fmac_f32_e32 v8, v10, v34
	v_add_f32_e32 v5, v5, v7
	v_add_f32_e32 v6, v6, v8
	global_store_dwordx2 v[20:21], v[5:6], off
	v_mul_f32_e32 v5, v4, v14
	v_fma_f32 v5, -v3, v13, v5
	v_mul_f32_e64 v3, v14, -v3
	v_fma_f32 v4, -v4, v13, v3
	v_mul_f32_e64 v3, v1, -v10
	v_mul_f32_e32 v1, v9, v1
	v_fmac_f32_e32 v3, v9, v24
	v_fmac_f32_e32 v1, v10, v24
	v_add_f32_e32 v3, v5, v3
	v_add_f32_e32 v4, v4, v1
	global_store_dwordx2 v[40:41], v[3:4], off
                                        ; implicit-def: $vgpr10
                                        ; implicit-def: $vgpr5_vgpr6
                                        ; implicit-def: $vgpr3
                                        ; implicit-def: $vgpr7
                                        ; implicit-def: $vgpr21
                                        ; implicit-def: $vgpr20
                                        ; implicit-def: $vgpr13
                                        ; implicit-def: $vgpr12
                                        ; implicit-def: $vgpr11
.LBB181_11:                             ;   in Loop: Header=BB181_5 Depth=1
	s_or_saveexec_b64 s[2:3], s[18:19]
	v_mov_b32_e32 v6, 0
	v_mov_b32_e32 v15, s27
	;; [unrolled: 1-line block ×3, first 2 shown]
	s_xor_b64 exec, exec, s[2:3]
	s_cbranch_execz .LBB181_4
; %bb.12:                               ;   in Loop: Header=BB181_5 Depth=1
	v_lshlrev_b64 v[15:16], 3, v[1:2]
	v_mov_b32_e32 v14, v2
	v_mov_b32_e32 v1, s9
	v_lshlrev_b64 v[13:14], 3, v[13:14]
	v_add_co_u32_e32 v23, vcc, s8, v15
	v_addc_co_u32_e32 v24, vcc, v1, v16, vcc
	v_add_co_u32_e32 v25, vcc, s8, v13
	v_mov_b32_e32 v13, v2
	v_mov_b32_e32 v6, s9
	v_lshlrev_b64 v[12:13], 3, v[12:13]
	v_addc_co_u32_e32 v26, vcc, v6, v14, vcc
	v_add_co_u32_e32 v29, vcc, s8, v12
	v_mov_b32_e32 v12, v2
	v_lshlrev_b64 v[11:12], 3, v[11:12]
	v_addc_co_u32_e32 v30, vcc, v1, v13, vcc
	v_add_co_u32_e32 v35, vcc, s8, v11
	v_addc_co_u32_e32 v36, vcc, v1, v12, vcc
	global_load_dwordx2 v[27:28], v[23:24], off
	global_load_dwordx2 v[31:32], v[25:26], off
	;; [unrolled: 1-line block ×4, first 2 shown]
	v_mul_f32_e32 v1, v10, v10
	v_fmac_f32_e32 v1, v9, v9
	v_div_scale_f32 v6, s[18:19], v1, v1, 1.0
	v_div_scale_f32 v11, vcc, 1.0, v1, 1.0
	v_rcp_f32_e32 v12, v6
	v_fma_f32 v13, -v6, v12, 1.0
	v_fmac_f32_e32 v12, v13, v12
	v_mul_f32_e32 v13, v11, v12
	v_fma_f32 v14, -v6, v13, v11
	v_fmac_f32_e32 v13, v14, v12
	v_fma_f32 v6, -v6, v13, v11
	v_div_fmas_f32 v6, v6, v12, v13
	v_fma_f32 v11, 0, v10, v9
	v_fma_f32 v9, v9, 0, -v10
	v_div_fixup_f32 v1, v6, v1, 1.0
	v_mul_f32_e32 v22, v9, v1
	v_mul_f32_e32 v6, v11, v1
	s_waitcnt vmcnt(3)
	v_mul_f32_e64 v15, v22, -v28
	v_mul_f32_e32 v16, v22, v27
	s_waitcnt vmcnt(2)
	v_mul_f32_e64 v13, v22, -v32
	;; [unrolled: 3-line block ×4, first 2 shown]
	v_mul_f32_e32 v10, v22, v37
	v_fmac_f32_e32 v15, v27, v6
	v_fmac_f32_e32 v16, v28, v6
	;; [unrolled: 1-line block ×8, first 2 shown]
	global_store_dwordx2 v[23:24], v[15:16], off
	global_store_dwordx2 v[25:26], v[13:14], off
	;; [unrolled: 1-line block ×4, first 2 shown]
	s_and_saveexec_b64 s[18:19], s[0:1]
	s_cbranch_execz .LBB181_3
; %bb.13:                               ;   in Loop: Header=BB181_5 Depth=1
	v_add_u32_e32 v33, v17, v18
	v_add_u32_e32 v1, s23, v33
	v_lshlrev_b64 v[23:24], 3, v[1:2]
	v_mov_b32_e32 v1, s9
	v_add_co_u32_e32 v23, vcc, s8, v23
	v_addc_co_u32_e32 v24, vcc, v1, v24, vcc
	v_add_u32_e32 v1, s24, v33
	v_lshlrev_b64 v[27:28], 3, v[1:2]
	v_mov_b32_e32 v1, s9
	v_add_co_u32_e32 v27, vcc, s8, v27
	global_load_dwordx2 v[25:26], v[23:24], off
	v_addc_co_u32_e32 v28, vcc, v1, v28, vcc
	global_load_dwordx2 v[29:30], v[27:28], off
	v_add_u32_e32 v1, s25, v33
	v_lshlrev_b64 v[31:32], 3, v[1:2]
	v_add_u32_e32 v1, s26, v33
	v_mov_b32_e32 v35, s9
	v_lshlrev_b64 v[33:34], 3, v[1:2]
	v_add_co_u32_e32 v31, vcc, s8, v31
	v_addc_co_u32_e32 v32, vcc, v35, v32, vcc
	v_mov_b32_e32 v36, s9
	v_add_co_u32_e32 v33, vcc, s8, v33
	v_addc_co_u32_e32 v34, vcc, v36, v34, vcc
	s_waitcnt vmcnt(1)
	v_fma_f32 v25, -v3, v15, v25
	v_fma_f32 v1, -v4, v15, v26
	v_fmac_f32_e32 v25, v4, v16
	v_fma_f32 v26, -v3, v16, v1
	s_waitcnt vmcnt(0)
	v_fma_f32 v15, -v3, v13, v29
	v_fma_f32 v1, -v4, v13, v30
	global_store_dwordx2 v[23:24], v[25:26], off
	v_fmac_f32_e32 v15, v4, v14
	v_fma_f32 v16, -v3, v14, v1
	global_load_dwordx2 v[23:24], v[31:32], off
	s_nop 0
	global_store_dwordx2 v[27:28], v[15:16], off
	global_load_dwordx2 v[13:14], v[33:34], off
	s_waitcnt vmcnt(2)
	v_fma_f32 v1, -v4, v11, v24
	v_fma_f32 v15, -v3, v11, v23
	;; [unrolled: 1-line block ×3, first 2 shown]
	s_waitcnt vmcnt(0)
	v_fma_f32 v11, -v3, v9, v13
	v_fma_f32 v1, -v4, v9, v14
	v_fmac_f32_e32 v15, v4, v12
	v_fmac_f32_e32 v11, v4, v10
	v_fma_f32 v12, -v3, v10, v1
	global_store_dwordx2 v[31:32], v[15:16], off
	global_store_dwordx2 v[33:34], v[11:12], off
	s_branch .LBB181_3
.LBB181_14:
	s_or_b64 exec, exec, s[4:5]
	s_branch .LBB181_16
.LBB181_15:
	v_mov_b32_e32 v18, 0
.LBB181_16:
	v_subrev_u32_e32 v3, s20, v18
	v_add_u32_e32 v1, v3, v0
	v_ashrrev_i32_e32 v2, 31, v1
	v_lshlrev_b64 v[1:2], 2, v[1:2]
	s_waitcnt lgkmcnt(0)
	v_mov_b32_e32 v4, s17
	v_add_co_u32_e32 v1, vcc, s16, v1
	v_addc_co_u32_e32 v2, vcc, v4, v2, vcc
	s_waitcnt vmcnt(0)
	buffer_wbinvl1_vol
	global_load_dword v1, v[1:2], off
	s_waitcnt vmcnt(0)
	v_mul_lo_u32 v1, v1, s20
	v_sub_u32_e32 v7, v3, v1
	v_cmp_lt_i32_e32 vcc, -1, v7
	s_and_b64 exec, exec, vcc
	s_cbranch_execz .LBB181_23
; %bb.17:
	s_lshl_b32 s4, s22, 2
	s_add_i32 s5, s4, s21
	s_add_i32 s6, s5, s21
	;; [unrolled: 1-line block ×3, first 2 shown]
	s_and_b32 s12, s21, -2
	s_mov_b64 s[0:1], 0
	v_mov_b32_e32 v8, s17
	v_mov_b32_e32 v9, s11
	;; [unrolled: 1-line block ×3, first 2 shown]
	s_branch .LBB181_19
.LBB181_18:                             ;   in Loop: Header=BB181_19 Depth=1
	s_or_b64 exec, exec, s[2:3]
	v_sub_u32_e32 v7, v7, v1
	v_cmp_gt_i32_e32 vcc, 0, v7
	s_or_b64 s[0:1], vcc, s[0:1]
	s_andn2_b64 exec, exec, s[0:1]
	s_cbranch_execz .LBB181_23
.LBB181_19:                             ; =>This Inner Loop Header: Depth=1
	v_add_u32_e32 v5, v7, v0
	v_ashrrev_i32_e32 v6, 31, v5
	s_waitcnt vmcnt(0)
	v_lshlrev_b64 v[3:4], 2, v[5:6]
	v_add_co_u32_e32 v3, vcc, s16, v3
	v_addc_co_u32_e32 v4, vcc, v8, v4, vcc
	global_load_dword v1, v[3:4], off
	v_lshlrev_b64 v[3:4], 3, v[5:6]
	v_add_co_u32_e32 v3, vcc, s10, v3
	v_addc_co_u32_e32 v4, vcc, v9, v4, vcc
	global_load_dwordx2 v[3:4], v[3:4], off
	s_waitcnt vmcnt(1)
	v_cmp_ne_u32_e32 vcc, 1, v1
	s_and_saveexec_b64 s[2:3], vcc
	s_xor_b64 s[2:3], exec, s[2:3]
	s_cbranch_execz .LBB181_21
; %bb.20:                               ;   in Loop: Header=BB181_19 Depth=1
	v_add_u32_e32 v6, v17, v7
	v_add_u32_e32 v1, s4, v6
	v_lshlrev_b64 v[10:11], 3, v[1:2]
	v_mov_b32_e32 v1, s9
	v_add_co_u32_e32 v10, vcc, s8, v10
	v_addc_co_u32_e32 v11, vcc, v1, v11, vcc
	v_add_u32_e32 v1, s5, v6
	v_lshlrev_b64 v[12:13], 3, v[1:2]
	v_add_u32_e32 v1, s6, v6
	v_lshlrev_b64 v[14:15], 3, v[1:2]
	;; [unrolled: 2-line block ×4, first 2 shown]
	v_mov_b32_e32 v1, s9
	v_add_co_u32_e32 v20, vcc, s8, v20
	v_addc_co_u32_e32 v21, vcc, v1, v21, vcc
	global_load_dwordx2 v[10:11], v[10:11], off
	v_add_co_u32_e32 v12, vcc, s8, v12
	global_load_dwordx2 v[22:23], v[20:21], off
	v_addc_co_u32_e32 v13, vcc, v1, v13, vcc
	v_mov_b32_e32 v6, s9
	v_add_co_u32_e32 v14, vcc, s8, v14
	v_addc_co_u32_e32 v15, vcc, v6, v15, vcc
	v_add_u32_e32 v1, s5, v5
	v_mov_b32_e32 v16, s9
	v_add_co_u32_e32 v18, vcc, s8, v18
	v_lshlrev_b64 v[24:25], 3, v[1:2]
	v_addc_co_u32_e32 v19, vcc, v16, v19, vcc
	global_load_dwordx2 v[26:27], v[12:13], off
	global_load_dwordx2 v[28:29], v[14:15], off
	;; [unrolled: 1-line block ×3, first 2 shown]
	v_mov_b32_e32 v32, s9
	v_add_co_u32_e32 v12, vcc, s8, v24
	v_addc_co_u32_e32 v13, vcc, v32, v25, vcc
	s_waitcnt vmcnt(3)
	v_fma_f32 v14, -v3, v10, v22
	v_fma_f32 v1, -v4, v10, v23
	v_fmac_f32_e32 v14, v4, v11
	v_fma_f32 v15, -v3, v11, v1
	global_store_dwordx2 v[20:21], v[14:15], off
	global_load_dwordx2 v[14:15], v[12:13], off
	v_add_u32_e32 v1, s6, v5
	v_lshlrev_b64 v[18:19], 3, v[1:2]
	v_mov_b32_e32 v20, s9
	v_add_co_u32_e32 v18, vcc, s8, v18
	v_addc_co_u32_e32 v19, vcc, v6, v19, vcc
	s_waitcnt vmcnt(0)
	v_fma_f32 v14, -v3, v26, v14
	v_fma_f32 v1, -v4, v26, v15
	v_fmac_f32_e32 v14, v4, v27
	v_fma_f32 v15, -v3, v27, v1
	global_store_dwordx2 v[12:13], v[14:15], off
	global_load_dwordx2 v[12:13], v[18:19], off
	v_add_u32_e32 v1, s7, v5
	v_lshlrev_b64 v[5:6], 3, v[1:2]
	v_mov_b32_e32 v14, s9
	v_add_co_u32_e32 v5, vcc, s8, v5
	v_addc_co_u32_e32 v6, vcc, v14, v6, vcc
	s_waitcnt vmcnt(0)
	v_fma_f32 v12, -v3, v28, v12
	v_fma_f32 v1, -v4, v28, v13
	v_fmac_f32_e32 v12, v4, v29
	v_fma_f32 v13, -v3, v29, v1
	global_store_dwordx2 v[18:19], v[12:13], off
	global_load_dwordx2 v[12:13], v[5:6], off
	v_subrev_u32_e32 v1, s20, v7
	v_add_u32_e32 v14, v1, v0
	v_ashrrev_i32_e32 v15, 31, v14
	v_lshlrev_b64 v[15:16], 3, v[14:15]
	v_mov_b32_e32 v18, s11
	v_add_co_u32_e32 v15, vcc, s10, v15
	v_add_u32_e32 v1, s4, v14
	v_addc_co_u32_e32 v16, vcc, v18, v16, vcc
	v_lshlrev_b64 v[18:19], 3, v[1:2]
	global_load_dwordx2 v[15:16], v[15:16], off
	v_add_co_u32_e32 v18, vcc, s8, v18
	v_addc_co_u32_e32 v19, vcc, v20, v19, vcc
	s_waitcnt vmcnt(1)
	v_fma_f32 v12, -v3, v30, v12
	v_fma_f32 v1, -v4, v30, v13
	v_fmac_f32_e32 v12, v4, v31
	v_fma_f32 v13, -v3, v31, v1
	global_store_dwordx2 v[5:6], v[12:13], off
	global_load_dwordx2 v[3:4], v[18:19], off
	v_add_u32_e32 v1, s5, v14
	v_lshlrev_b64 v[5:6], 3, v[1:2]
	v_mov_b32_e32 v12, s9
	v_add_co_u32_e32 v5, vcc, s8, v5
	v_addc_co_u32_e32 v6, vcc, v12, v6, vcc
	s_waitcnt vmcnt(0)
	v_fma_f32 v3, -v15, v10, v3
	v_fma_f32 v1, -v16, v10, v4
	v_fmac_f32_e32 v3, v16, v11
	v_fma_f32 v4, -v15, v11, v1
	global_store_dwordx2 v[18:19], v[3:4], off
	global_load_dwordx2 v[3:4], v[5:6], off
	v_add_u32_e32 v1, s6, v14
	v_lshlrev_b64 v[10:11], 3, v[1:2]
	v_add_co_u32_e32 v10, vcc, s8, v10
	v_addc_co_u32_e32 v11, vcc, v12, v11, vcc
	s_waitcnt vmcnt(0)
	v_fma_f32 v3, -v15, v26, v3
	v_fma_f32 v1, -v16, v26, v4
	v_fmac_f32_e32 v3, v16, v27
	v_fma_f32 v4, -v15, v27, v1
	global_store_dwordx2 v[5:6], v[3:4], off
	global_load_dwordx2 v[3:4], v[10:11], off
	v_add_u32_e32 v1, s7, v14
	v_lshlrev_b64 v[5:6], 3, v[1:2]
	v_add_co_u32_e32 v5, vcc, s8, v5
	v_addc_co_u32_e32 v6, vcc, v12, v6, vcc
	s_waitcnt vmcnt(0)
	v_fma_f32 v3, -v15, v28, v3
	v_fma_f32 v1, -v16, v28, v4
	v_fmac_f32_e32 v3, v16, v29
	v_fma_f32 v4, -v15, v29, v1
	global_store_dwordx2 v[10:11], v[3:4], off
	global_load_dwordx2 v[3:4], v[5:6], off
	s_waitcnt vmcnt(0)
	v_fma_f32 v3, -v15, v30, v3
	v_fma_f32 v1, -v16, v30, v4
	v_fmac_f32_e32 v3, v16, v31
	v_fma_f32 v4, -v15, v31, v1
	global_store_dwordx2 v[5:6], v[3:4], off
                                        ; implicit-def: $vgpr5
                                        ; implicit-def: $vgpr3_vgpr4
.LBB181_21:                             ;   in Loop: Header=BB181_19 Depth=1
	s_or_saveexec_b64 s[2:3], s[2:3]
	v_mov_b32_e32 v1, s12
	s_xor_b64 exec, exec, s[2:3]
	s_cbranch_execz .LBB181_18
; %bb.22:                               ;   in Loop: Header=BB181_19 Depth=1
	v_add_u32_e32 v6, v17, v7
	v_add_u32_e32 v1, s4, v6
	v_lshlrev_b64 v[10:11], 3, v[1:2]
	v_mov_b32_e32 v1, s9
	v_add_co_u32_e32 v10, vcc, s8, v10
	v_addc_co_u32_e32 v11, vcc, v1, v11, vcc
	v_add_u32_e32 v1, s4, v5
	v_lshlrev_b64 v[12:13], 3, v[1:2]
	v_mov_b32_e32 v1, s9
	v_add_co_u32_e32 v12, vcc, s8, v12
	v_addc_co_u32_e32 v13, vcc, v1, v13, vcc
	global_load_dwordx2 v[14:15], v[10:11], off
	global_load_dwordx2 v[18:19], v[12:13], off
	v_add_u32_e32 v1, s5, v6
	v_lshlrev_b64 v[10:11], 3, v[1:2]
	v_add_u32_e32 v1, s5, v5
	v_mov_b32_e32 v16, s9
	v_lshlrev_b64 v[20:21], 3, v[1:2]
	v_add_co_u32_e32 v10, vcc, s8, v10
	v_addc_co_u32_e32 v11, vcc, v16, v11, vcc
	v_mov_b32_e32 v22, s9
	v_add_co_u32_e32 v20, vcc, s8, v20
	v_addc_co_u32_e32 v21, vcc, v22, v21, vcc
	s_waitcnt vmcnt(0)
	v_fma_f32 v18, -v3, v14, v18
	v_fma_f32 v1, -v4, v14, v19
	v_fmac_f32_e32 v18, v4, v15
	v_fma_f32 v19, -v3, v15, v1
	global_store_dwordx2 v[12:13], v[18:19], off
	global_load_dwordx2 v[12:13], v[10:11], off
	s_nop 0
	global_load_dwordx2 v[14:15], v[20:21], off
	v_add_u32_e32 v1, s6, v6
	v_lshlrev_b64 v[10:11], 3, v[1:2]
	v_add_u32_e32 v1, s6, v5
	v_lshlrev_b64 v[18:19], 3, v[1:2]
	v_add_co_u32_e32 v10, vcc, s8, v10
	v_addc_co_u32_e32 v11, vcc, v16, v11, vcc
	v_add_co_u32_e32 v18, vcc, s8, v18
	v_addc_co_u32_e32 v19, vcc, v22, v19, vcc
	s_waitcnt vmcnt(0)
	v_fma_f32 v14, -v3, v12, v14
	v_fma_f32 v1, -v4, v12, v15
	v_fmac_f32_e32 v14, v4, v13
	v_fma_f32 v15, -v3, v13, v1
	global_store_dwordx2 v[20:21], v[14:15], off
	global_load_dwordx2 v[12:13], v[10:11], off
	s_nop 0
	global_load_dwordx2 v[14:15], v[18:19], off
	v_add_u32_e32 v1, s7, v6
	v_lshlrev_b64 v[10:11], 3, v[1:2]
	v_add_u32_e32 v1, s7, v5
	v_lshlrev_b64 v[5:6], 3, v[1:2]
	v_add_co_u32_e32 v10, vcc, s8, v10
	v_addc_co_u32_e32 v11, vcc, v16, v11, vcc
	v_mov_b32_e32 v20, s9
	v_add_co_u32_e32 v5, vcc, s8, v5
	v_addc_co_u32_e32 v6, vcc, v20, v6, vcc
	s_waitcnt vmcnt(0)
	v_fma_f32 v14, -v3, v12, v14
	v_fma_f32 v1, -v4, v12, v15
	v_fmac_f32_e32 v14, v4, v13
	v_fma_f32 v15, -v3, v13, v1
	global_store_dwordx2 v[18:19], v[14:15], off
	global_load_dwordx2 v[12:13], v[10:11], off
	s_nop 0
	global_load_dwordx2 v[14:15], v[5:6], off
	s_waitcnt vmcnt(0)
	v_fma_f32 v10, -v3, v12, v14
	v_fma_f32 v1, -v4, v12, v15
	v_fmac_f32_e32 v10, v4, v13
	v_fma_f32 v11, -v3, v13, v1
	v_mov_b32_e32 v1, s20
	global_store_dwordx2 v[5:6], v[10:11], off
	s_branch .LBB181_18
.LBB181_23:
	s_endpgm
	.section	.rodata,"a",@progbits
	.p2align	6, 0x0
	.amdhsa_kernel _ZN9rocsparseL19gtsv_LBM_rhs_kernelILj256ELj2ELj4E21rocsparse_complex_numIfEEEviiiPKT2_S5_S5_PS3_S5_PKi
		.amdhsa_group_segment_fixed_size 0
		.amdhsa_private_segment_fixed_size 0
		.amdhsa_kernarg_size 64
		.amdhsa_user_sgpr_count 6
		.amdhsa_user_sgpr_private_segment_buffer 1
		.amdhsa_user_sgpr_dispatch_ptr 0
		.amdhsa_user_sgpr_queue_ptr 0
		.amdhsa_user_sgpr_kernarg_segment_ptr 1
		.amdhsa_user_sgpr_dispatch_id 0
		.amdhsa_user_sgpr_flat_scratch_init 0
		.amdhsa_user_sgpr_private_segment_size 0
		.amdhsa_uses_dynamic_stack 0
		.amdhsa_system_sgpr_private_segment_wavefront_offset 0
		.amdhsa_system_sgpr_workgroup_id_x 1
		.amdhsa_system_sgpr_workgroup_id_y 1
		.amdhsa_system_sgpr_workgroup_id_z 0
		.amdhsa_system_sgpr_workgroup_info 0
		.amdhsa_system_vgpr_workitem_id 0
		.amdhsa_next_free_vgpr 51
		.amdhsa_next_free_sgpr 28
		.amdhsa_reserve_vcc 1
		.amdhsa_reserve_flat_scratch 0
		.amdhsa_float_round_mode_32 0
		.amdhsa_float_round_mode_16_64 0
		.amdhsa_float_denorm_mode_32 3
		.amdhsa_float_denorm_mode_16_64 3
		.amdhsa_dx10_clamp 1
		.amdhsa_ieee_mode 1
		.amdhsa_fp16_overflow 0
		.amdhsa_exception_fp_ieee_invalid_op 0
		.amdhsa_exception_fp_denorm_src 0
		.amdhsa_exception_fp_ieee_div_zero 0
		.amdhsa_exception_fp_ieee_overflow 0
		.amdhsa_exception_fp_ieee_underflow 0
		.amdhsa_exception_fp_ieee_inexact 0
		.amdhsa_exception_int_div_zero 0
	.end_amdhsa_kernel
	.section	.text._ZN9rocsparseL19gtsv_LBM_rhs_kernelILj256ELj2ELj4E21rocsparse_complex_numIfEEEviiiPKT2_S5_S5_PS3_S5_PKi,"axG",@progbits,_ZN9rocsparseL19gtsv_LBM_rhs_kernelILj256ELj2ELj4E21rocsparse_complex_numIfEEEviiiPKT2_S5_S5_PS3_S5_PKi,comdat
.Lfunc_end181:
	.size	_ZN9rocsparseL19gtsv_LBM_rhs_kernelILj256ELj2ELj4E21rocsparse_complex_numIfEEEviiiPKT2_S5_S5_PS3_S5_PKi, .Lfunc_end181-_ZN9rocsparseL19gtsv_LBM_rhs_kernelILj256ELj2ELj4E21rocsparse_complex_numIfEEEviiiPKT2_S5_S5_PS3_S5_PKi
                                        ; -- End function
	.set _ZN9rocsparseL19gtsv_LBM_rhs_kernelILj256ELj2ELj4E21rocsparse_complex_numIfEEEviiiPKT2_S5_S5_PS3_S5_PKi.num_vgpr, 51
	.set _ZN9rocsparseL19gtsv_LBM_rhs_kernelILj256ELj2ELj4E21rocsparse_complex_numIfEEEviiiPKT2_S5_S5_PS3_S5_PKi.num_agpr, 0
	.set _ZN9rocsparseL19gtsv_LBM_rhs_kernelILj256ELj2ELj4E21rocsparse_complex_numIfEEEviiiPKT2_S5_S5_PS3_S5_PKi.numbered_sgpr, 28
	.set _ZN9rocsparseL19gtsv_LBM_rhs_kernelILj256ELj2ELj4E21rocsparse_complex_numIfEEEviiiPKT2_S5_S5_PS3_S5_PKi.num_named_barrier, 0
	.set _ZN9rocsparseL19gtsv_LBM_rhs_kernelILj256ELj2ELj4E21rocsparse_complex_numIfEEEviiiPKT2_S5_S5_PS3_S5_PKi.private_seg_size, 0
	.set _ZN9rocsparseL19gtsv_LBM_rhs_kernelILj256ELj2ELj4E21rocsparse_complex_numIfEEEviiiPKT2_S5_S5_PS3_S5_PKi.uses_vcc, 1
	.set _ZN9rocsparseL19gtsv_LBM_rhs_kernelILj256ELj2ELj4E21rocsparse_complex_numIfEEEviiiPKT2_S5_S5_PS3_S5_PKi.uses_flat_scratch, 0
	.set _ZN9rocsparseL19gtsv_LBM_rhs_kernelILj256ELj2ELj4E21rocsparse_complex_numIfEEEviiiPKT2_S5_S5_PS3_S5_PKi.has_dyn_sized_stack, 0
	.set _ZN9rocsparseL19gtsv_LBM_rhs_kernelILj256ELj2ELj4E21rocsparse_complex_numIfEEEviiiPKT2_S5_S5_PS3_S5_PKi.has_recursion, 0
	.set _ZN9rocsparseL19gtsv_LBM_rhs_kernelILj256ELj2ELj4E21rocsparse_complex_numIfEEEviiiPKT2_S5_S5_PS3_S5_PKi.has_indirect_call, 0
	.section	.AMDGPU.csdata,"",@progbits
; Kernel info:
; codeLenInByte = 3656
; TotalNumSgprs: 32
; NumVgprs: 51
; ScratchSize: 0
; MemoryBound: 0
; FloatMode: 240
; IeeeMode: 1
; LDSByteSize: 0 bytes/workgroup (compile time only)
; SGPRBlocks: 3
; VGPRBlocks: 12
; NumSGPRsForWavesPerEU: 32
; NumVGPRsForWavesPerEU: 51
; Occupancy: 4
; WaveLimiterHint : 0
; COMPUTE_PGM_RSRC2:SCRATCH_EN: 0
; COMPUTE_PGM_RSRC2:USER_SGPR: 6
; COMPUTE_PGM_RSRC2:TRAP_HANDLER: 0
; COMPUTE_PGM_RSRC2:TGID_X_EN: 1
; COMPUTE_PGM_RSRC2:TGID_Y_EN: 1
; COMPUTE_PGM_RSRC2:TGID_Z_EN: 0
; COMPUTE_PGM_RSRC2:TIDIG_COMP_CNT: 0
	.section	.text._ZN9rocsparseL19gtsv_LBM_rhs_kernelILj256ELj2ELj2E21rocsparse_complex_numIfEEEviiiPKT2_S5_S5_PS3_S5_PKi,"axG",@progbits,_ZN9rocsparseL19gtsv_LBM_rhs_kernelILj256ELj2ELj2E21rocsparse_complex_numIfEEEviiiPKT2_S5_S5_PS3_S5_PKi,comdat
	.globl	_ZN9rocsparseL19gtsv_LBM_rhs_kernelILj256ELj2ELj2E21rocsparse_complex_numIfEEEviiiPKT2_S5_S5_PS3_S5_PKi ; -- Begin function _ZN9rocsparseL19gtsv_LBM_rhs_kernelILj256ELj2ELj2E21rocsparse_complex_numIfEEEviiiPKT2_S5_S5_PS3_S5_PKi
	.p2align	8
	.type	_ZN9rocsparseL19gtsv_LBM_rhs_kernelILj256ELj2ELj2E21rocsparse_complex_numIfEEEviiiPKT2_S5_S5_PS3_S5_PKi,@function
_ZN9rocsparseL19gtsv_LBM_rhs_kernelILj256ELj2ELj2E21rocsparse_complex_numIfEEEviiiPKT2_S5_S5_PS3_S5_PKi: ; @_ZN9rocsparseL19gtsv_LBM_rhs_kernelILj256ELj2ELj2E21rocsparse_complex_numIfEEEviiiPKT2_S5_S5_PS3_S5_PKi
; %bb.0:
	s_load_dword s21, s[4:5], 0x0
	v_lshl_or_b32 v0, s6, 8, v0
	s_waitcnt lgkmcnt(0)
	s_lshr_b32 s20, s21, 1
	v_cmp_gt_i32_e32 vcc, s20, v0
	s_and_saveexec_b64 s[0:1], vcc
	s_cbranch_execz .LBB182_23
; %bb.1:
	s_load_dwordx4 s[8:11], s[4:5], 0x28
	s_load_dwordx2 s[16:17], s[4:5], 0x38
	s_cmp_lt_i32 s21, 1
	v_add_u32_e32 v13, s20, v0
	s_mul_i32 s22, s7, s21
	s_cbranch_scc1 .LBB182_15
; %bb.2:
	s_load_dwordx4 s[12:15], s[4:5], 0x10
	s_load_dwordx2 s[6:7], s[4:5], 0x20
	v_ashrrev_i32_e32 v1, 31, v0
	v_lshlrev_b64 v[1:2], 3, v[0:1]
	s_lshl_b32 s23, s22, 1
	s_waitcnt lgkmcnt(0)
	v_mov_b32_e32 v3, s15
	v_add_co_u32_e32 v1, vcc, s14, v1
	v_addc_co_u32_e32 v2, vcc, v3, v2, vcc
	global_load_dwordx2 v[9:10], v[1:2], off
	s_add_i32 s24, s23, s21
	s_and_b32 s25, s21, 0x7ffffffe
	v_mov_b32_e32 v2, 0
	s_mov_b64 s[4:5], 0
	v_mov_b32_e32 v15, s7
	v_mov_b32_e32 v14, 0
	s_branch .LBB182_5
.LBB182_3:                              ;   in Loop: Header=BB182_5 Depth=1
	s_or_b64 exec, exec, s[18:19]
	v_fmac_f32_e32 v17, v3, v5
	v_fmac_f32_e32 v16, v4, v5
	v_mul_f32_e64 v1, v18, -v16
	v_mul_f32_e32 v3, v18, v17
	v_fmac_f32_e32 v1, v17, v6
	v_fmac_f32_e32 v3, v16, v6
	v_sub_f32_e32 v6, v7, v1
	v_sub_f32_e32 v12, v8, v3
	v_mov_b32_e32 v18, s20
.LBB182_4:                              ;   in Loop: Header=BB182_5 Depth=1
	s_or_b64 exec, exec, s[2:3]
	v_add_u32_e32 v14, v18, v14
	v_cmp_le_i32_e32 vcc, s21, v14
	s_or_b64 s[4:5], vcc, s[4:5]
	v_mov_b32_e32 v10, v12
	v_mov_b32_e32 v9, v6
	s_andn2_b64 exec, exec, s[4:5]
	s_cbranch_execz .LBB182_14
.LBB182_5:                              ; =>This Inner Loop Header: Depth=1
	v_add_u32_e32 v11, v14, v0
	v_ashrrev_i32_e32 v12, 31, v11
	v_lshlrev_b64 v[3:4], 3, v[11:12]
	v_cmp_gt_u32_e64 s[0:1], s20, v14
	v_add_co_u32_e32 v3, vcc, s6, v3
	v_addc_co_u32_e32 v4, vcc, v15, v4, vcc
	global_load_dwordx2 v[5:6], v[3:4], off
	v_mov_b32_e32 v3, 0
	v_mov_b32_e32 v4, 0
	s_and_saveexec_b64 s[2:3], s[0:1]
	s_cbranch_execz .LBB182_7
; %bb.6:                                ;   in Loop: Header=BB182_5 Depth=1
	v_add_u32_e32 v3, v13, v14
	v_ashrrev_i32_e32 v4, 31, v3
	v_lshlrev_b64 v[3:4], 3, v[3:4]
	v_mov_b32_e32 v1, s13
	v_add_co_u32_e32 v3, vcc, s12, v3
	v_addc_co_u32_e32 v4, vcc, v1, v4, vcc
	global_load_dwordx2 v[3:4], v[3:4], off
.LBB182_7:                              ;   in Loop: Header=BB182_5 Depth=1
	s_or_b64 exec, exec, s[2:3]
	v_mov_b32_e32 v7, 0
	v_mov_b32_e32 v8, 0
	s_and_saveexec_b64 s[2:3], s[0:1]
	s_cbranch_execz .LBB182_9
; %bb.8:                                ;   in Loop: Header=BB182_5 Depth=1
	v_add_u32_e32 v7, v13, v14
	v_ashrrev_i32_e32 v8, 31, v7
	v_lshlrev_b64 v[7:8], 3, v[7:8]
	v_mov_b32_e32 v1, s15
	v_add_co_u32_e32 v7, vcc, s14, v7
	v_addc_co_u32_e32 v8, vcc, v1, v8, vcc
	global_load_dwordx2 v[7:8], v[7:8], off
.LBB182_9:                              ;   in Loop: Header=BB182_5 Depth=1
	s_or_b64 exec, exec, s[2:3]
	v_lshlrev_b64 v[16:17], 2, v[11:12]
	v_mov_b32_e32 v1, s17
	v_add_co_u32_e32 v16, vcc, s16, v16
	v_addc_co_u32_e32 v17, vcc, v1, v17, vcc
	global_load_dword v12, v[16:17], off
	v_cmp_ne_u32_e32 vcc, s20, v14
	s_waitcnt vmcnt(1)
	v_mul_f32_e64 v17, v6, -v4
	v_mul_f32_e32 v16, v3, v6
	v_add_u32_e32 v1, s23, v11
	v_add_u32_e32 v11, s24, v11
	s_waitcnt vmcnt(0)
	v_cmp_ne_u32_e64 s[2:3], 1, v12
	s_and_b64 s[2:3], vcc, s[2:3]
	s_and_saveexec_b64 s[18:19], s[2:3]
	s_xor_b64 s[18:19], exec, s[18:19]
	s_cbranch_execz .LBB182_11
; %bb.10:                               ;   in Loop: Header=BB182_5 Depth=1
	v_mul_f32_e64 v20, v8, -v10
	v_fmac_f32_e32 v20, v9, v7
	v_fmac_f32_e32 v17, v3, v5
	v_sub_f32_e32 v26, v20, v17
	v_mul_f32_e32 v17, v9, v8
	v_fmac_f32_e32 v17, v10, v7
	v_fmac_f32_e32 v16, v4, v5
	v_sub_f32_e32 v27, v17, v16
	v_mul_f32_e32 v30, v27, v27
	v_fmac_f32_e32 v30, v26, v26
	v_lshlrev_b64 v[18:19], 3, v[1:2]
	v_div_scale_f32 v24, s[2:3], v30, v30, 1.0
	v_mov_b32_e32 v12, v2
	v_mov_b32_e32 v1, s9
	v_add_co_u32_e32 v18, vcc, s8, v18
	v_lshlrev_b64 v[11:12], 3, v[11:12]
	v_addc_co_u32_e32 v19, vcc, v1, v19, vcc
	v_add_co_u32_e32 v11, vcc, s8, v11
	v_addc_co_u32_e32 v12, vcc, v1, v12, vcc
	v_div_scale_f32 v25, vcc, 1.0, v30, 1.0
	v_add_u32_e32 v20, v13, v14
	v_add_u32_e32 v1, s23, v20
	v_lshlrev_b64 v[16:17], 3, v[1:2]
	v_mov_b32_e32 v21, s9
	v_add_co_u32_e64 v16, s[2:3], s8, v16
	v_add_u32_e32 v1, s24, v20
	v_addc_co_u32_e64 v17, s[2:3], v21, v17, s[2:3]
	v_lshlrev_b64 v[20:21], 3, v[1:2]
	v_rcp_f32_e32 v1, v24
	v_mov_b32_e32 v22, s9
	v_add_co_u32_e64 v20, s[2:3], s8, v20
	v_addc_co_u32_e64 v21, s[2:3], v22, v21, s[2:3]
	v_fma_f32 v22, -v24, v1, 1.0
	v_fmac_f32_e32 v1, v22, v1
	v_mul_f32_e32 v28, v25, v1
	v_fma_f32 v22, -v24, v28, v25
	v_fmac_f32_e32 v28, v22, v1
	v_fma_f32 v24, -v24, v28, v25
	global_load_dwordx2 v[22:23], v[18:19], off
	v_div_fmas_f32 v1, v24, v1, v28
	global_load_dwordx2 v[24:25], v[16:17], off
	v_fma_f32 v31, 0, v27, v26
	v_fma_f32 v32, v26, 0, -v27
	global_load_dwordx2 v[26:27], v[20:21], off
	global_load_dwordx2 v[28:29], v[11:12], off
	v_div_fixup_f32 v1, v1, v30, 1.0
	v_mul_f32_e32 v30, v31, v1
	v_mul_f32_e32 v1, v32, v1
	s_waitcnt vmcnt(3)
	v_mul_f32_e32 v32, v1, v22
	v_mul_f32_e64 v31, v1, -v23
	s_waitcnt vmcnt(2)
	v_mul_f32_e64 v33, v1, -v25
	v_mul_f32_e32 v34, v1, v24
	v_fmac_f32_e32 v33, v24, v30
	s_waitcnt vmcnt(0)
	v_mul_f32_e64 v24, v1, -v29
	v_fmac_f32_e32 v32, v23, v30
	v_fmac_f32_e32 v34, v25, v30
	v_mul_f32_e32 v25, v1, v28
	v_fmac_f32_e32 v24, v28, v30
	v_mul_f32_e64 v28, v1, -v27
	v_mul_f32_e32 v1, v1, v26
	v_fmac_f32_e32 v31, v22, v30
	v_mul_f32_e64 v22, v32, -v8
	v_fmac_f32_e32 v28, v26, v30
	v_fmac_f32_e32 v1, v27, v30
	v_mul_f32_e32 v23, v7, v32
	v_mul_f32_e64 v26, v34, -v6
	v_mul_f32_e32 v27, v34, v5
	v_fmac_f32_e32 v25, v29, v30
	v_fmac_f32_e32 v22, v7, v31
	;; [unrolled: 1-line block ×5, first 2 shown]
	v_sub_f32_e32 v22, v22, v26
	v_sub_f32_e32 v23, v23, v27
	v_mul_f32_e64 v26, v25, -v8
	v_mul_f32_e32 v27, v7, v25
	v_fmac_f32_e32 v26, v7, v24
	v_fmac_f32_e32 v27, v8, v24
	v_mul_f32_e64 v7, v1, -v6
	v_mul_f32_e32 v8, v1, v5
	v_fmac_f32_e32 v7, v5, v28
	v_fmac_f32_e32 v8, v6, v28
	v_sub_f32_e32 v5, v26, v7
	v_sub_f32_e32 v6, v27, v8
	global_store_dwordx2 v[18:19], v[22:23], off
	global_store_dwordx2 v[11:12], v[5:6], off
	v_mul_f32_e32 v5, v4, v32
	v_mul_f32_e64 v6, v32, -v3
	v_mul_f32_e64 v7, v34, -v10
	v_mul_f32_e32 v8, v9, v34
	v_fma_f32 v5, -v3, v31, v5
	v_fma_f32 v6, -v4, v31, v6
	v_fmac_f32_e32 v7, v9, v33
	v_fmac_f32_e32 v8, v10, v33
	v_add_f32_e32 v5, v5, v7
	v_add_f32_e32 v6, v6, v8
	global_store_dwordx2 v[16:17], v[5:6], off
	v_mul_f32_e32 v5, v4, v25
	v_fma_f32 v5, -v3, v24, v5
	v_mul_f32_e64 v3, v25, -v3
	v_fma_f32 v4, -v4, v24, v3
	v_mul_f32_e64 v3, v1, -v10
	v_mul_f32_e32 v1, v9, v1
	v_fmac_f32_e32 v3, v9, v28
	v_fmac_f32_e32 v1, v10, v28
	v_add_f32_e32 v3, v5, v3
	v_add_f32_e32 v4, v4, v1
	global_store_dwordx2 v[20:21], v[3:4], off
                                        ; implicit-def: $vgpr10
                                        ; implicit-def: $vgpr5_vgpr6
                                        ; implicit-def: $vgpr3
                                        ; implicit-def: $vgpr7
                                        ; implicit-def: $vgpr17
                                        ; implicit-def: $vgpr16
                                        ; implicit-def: $vgpr11
.LBB182_11:                             ;   in Loop: Header=BB182_5 Depth=1
	s_or_saveexec_b64 s[2:3], s[18:19]
	v_mov_b32_e32 v6, 0
	v_mov_b32_e32 v18, s25
	;; [unrolled: 1-line block ×3, first 2 shown]
	s_xor_b64 exec, exec, s[2:3]
	s_cbranch_execz .LBB182_4
; %bb.12:                               ;   in Loop: Header=BB182_5 Depth=1
	v_mul_f32_e32 v6, v10, v10
	v_fmac_f32_e32 v6, v9, v9
	v_div_scale_f32 v12, s[18:19], v6, v6, 1.0
	v_rcp_f32_e32 v18, v12
	v_fma_f32 v19, -v12, v18, 1.0
	v_fmac_f32_e32 v18, v19, v18
	v_div_scale_f32 v19, vcc, 1.0, v6, 1.0
	v_mul_f32_e32 v20, v19, v18
	v_fma_f32 v21, -v12, v20, v19
	v_fmac_f32_e32 v20, v21, v18
	v_fma_f32 v12, -v12, v20, v19
	v_div_fmas_f32 v12, v12, v18, v20
	v_div_fixup_f32 v12, v12, v6, 1.0
	v_fma_f32 v6, 0, v10, v9
	v_fma_f32 v9, v9, 0, -v10
	v_mul_f32_e32 v18, v9, v12
	v_lshlrev_b64 v[9:10], 3, v[1:2]
	v_mov_b32_e32 v1, s9
	v_add_co_u32_e32 v19, vcc, s8, v9
	v_addc_co_u32_e32 v20, vcc, v1, v10, vcc
	global_load_dwordx2 v[21:22], v[19:20], off
	v_mul_f32_e32 v6, v6, v12
	v_mov_b32_e32 v12, v2
	v_lshlrev_b64 v[11:12], 3, v[11:12]
	s_waitcnt vmcnt(0)
	v_mul_f32_e64 v9, v18, -v22
	v_fmac_f32_e32 v9, v21, v6
	v_mul_f32_e32 v10, v18, v21
	v_add_co_u32_e32 v21, vcc, s8, v11
	v_fmac_f32_e32 v10, v22, v6
	v_addc_co_u32_e32 v22, vcc, v1, v12, vcc
	global_load_dwordx2 v[23:24], v[21:22], off
	s_waitcnt vmcnt(0)
	v_mul_f32_e64 v11, v18, -v24
	v_mul_f32_e32 v12, v18, v23
	v_fmac_f32_e32 v11, v23, v6
	v_fmac_f32_e32 v12, v24, v6
	global_store_dwordx2 v[19:20], v[9:10], off
	global_store_dwordx2 v[21:22], v[11:12], off
	s_and_saveexec_b64 s[18:19], s[0:1]
	s_cbranch_execz .LBB182_3
; %bb.13:                               ;   in Loop: Header=BB182_5 Depth=1
	v_add_u32_e32 v23, v13, v14
	v_add_u32_e32 v1, s23, v23
	v_lshlrev_b64 v[19:20], 3, v[1:2]
	v_mov_b32_e32 v1, s9
	v_add_co_u32_e32 v19, vcc, s8, v19
	v_addc_co_u32_e32 v20, vcc, v1, v20, vcc
	v_add_u32_e32 v1, s24, v23
	v_lshlrev_b64 v[23:24], 3, v[1:2]
	v_mov_b32_e32 v1, s9
	v_add_co_u32_e32 v23, vcc, s8, v23
	global_load_dwordx2 v[21:22], v[19:20], off
	v_addc_co_u32_e32 v24, vcc, v1, v24, vcc
	global_load_dwordx2 v[25:26], v[23:24], off
	s_waitcnt vmcnt(1)
	v_fma_f32 v1, -v4, v9, v22
	v_fma_f32 v21, -v3, v9, v21
	;; [unrolled: 1-line block ×3, first 2 shown]
	s_waitcnt vmcnt(0)
	v_fma_f32 v9, -v3, v11, v25
	v_fma_f32 v1, -v4, v11, v26
	v_fmac_f32_e32 v21, v4, v10
	v_fmac_f32_e32 v9, v4, v12
	v_fma_f32 v10, -v3, v12, v1
	global_store_dwordx2 v[19:20], v[21:22], off
	global_store_dwordx2 v[23:24], v[9:10], off
	s_branch .LBB182_3
.LBB182_14:
	s_or_b64 exec, exec, s[4:5]
	s_branch .LBB182_16
.LBB182_15:
	v_mov_b32_e32 v14, 0
.LBB182_16:
	v_subrev_u32_e32 v3, s20, v14
	v_add_u32_e32 v1, v3, v0
	v_ashrrev_i32_e32 v2, 31, v1
	v_lshlrev_b64 v[1:2], 2, v[1:2]
	s_waitcnt lgkmcnt(0)
	v_mov_b32_e32 v4, s17
	v_add_co_u32_e32 v1, vcc, s16, v1
	v_addc_co_u32_e32 v2, vcc, v4, v2, vcc
	s_waitcnt vmcnt(0)
	buffer_wbinvl1_vol
	global_load_dword v1, v[1:2], off
	s_waitcnt vmcnt(0)
	v_mul_lo_u32 v1, v1, s20
	v_sub_u32_e32 v7, v3, v1
	v_cmp_lt_i32_e32 vcc, -1, v7
	s_and_b64 exec, exec, vcc
	s_cbranch_execz .LBB182_23
; %bb.17:
	s_lshl_b32 s4, s22, 1
	s_add_i32 s5, s4, s21
	s_and_b32 s6, s21, -2
	s_mov_b64 s[0:1], 0
	v_mov_b32_e32 v8, s17
	v_mov_b32_e32 v9, s11
	v_mov_b32_e32 v2, 0
	s_branch .LBB182_19
.LBB182_18:                             ;   in Loop: Header=BB182_19 Depth=1
	s_or_b64 exec, exec, s[2:3]
	v_sub_u32_e32 v7, v7, v1
	v_cmp_gt_i32_e32 vcc, 0, v7
	s_or_b64 s[0:1], vcc, s[0:1]
	s_andn2_b64 exec, exec, s[0:1]
	s_cbranch_execz .LBB182_23
.LBB182_19:                             ; =>This Inner Loop Header: Depth=1
	v_add_u32_e32 v5, v7, v0
	v_ashrrev_i32_e32 v6, 31, v5
	s_waitcnt vmcnt(0)
	v_lshlrev_b64 v[3:4], 2, v[5:6]
	v_add_co_u32_e32 v3, vcc, s16, v3
	v_addc_co_u32_e32 v4, vcc, v8, v4, vcc
	global_load_dword v1, v[3:4], off
	v_lshlrev_b64 v[3:4], 3, v[5:6]
	v_add_co_u32_e32 v3, vcc, s10, v3
	v_addc_co_u32_e32 v4, vcc, v9, v4, vcc
	global_load_dwordx2 v[3:4], v[3:4], off
	s_waitcnt vmcnt(1)
	v_cmp_ne_u32_e32 vcc, 1, v1
	s_and_saveexec_b64 s[2:3], vcc
	s_xor_b64 s[2:3], exec, s[2:3]
	s_cbranch_execz .LBB182_21
; %bb.20:                               ;   in Loop: Header=BB182_19 Depth=1
	v_add_u32_e32 v6, v13, v7
	v_add_u32_e32 v1, s4, v6
	v_lshlrev_b64 v[10:11], 3, v[1:2]
	v_mov_b32_e32 v1, s9
	v_add_co_u32_e32 v10, vcc, s8, v10
	v_addc_co_u32_e32 v11, vcc, v1, v11, vcc
	v_add_u32_e32 v1, s5, v6
	v_lshlrev_b64 v[14:15], 3, v[1:2]
	v_add_u32_e32 v1, s4, v5
	v_lshlrev_b64 v[16:17], 3, v[1:2]
	v_mov_b32_e32 v1, s9
	v_add_co_u32_e32 v16, vcc, s8, v16
	v_addc_co_u32_e32 v17, vcc, v1, v17, vcc
	global_load_dwordx2 v[18:19], v[10:11], off
	global_load_dwordx2 v[20:21], v[16:17], off
	v_add_co_u32_e32 v10, vcc, s8, v14
	v_addc_co_u32_e32 v11, vcc, v1, v15, vcc
	v_add_u32_e32 v1, s5, v5
	v_lshlrev_b64 v[5:6], 3, v[1:2]
	v_mov_b32_e32 v12, s9
	v_add_co_u32_e32 v5, vcc, s8, v5
	global_load_dwordx2 v[10:11], v[10:11], off
	v_addc_co_u32_e32 v6, vcc, v12, v6, vcc
	v_mov_b32_e32 v12, s11
	v_mov_b32_e32 v24, s9
	s_waitcnt vmcnt(1)
	v_fma_f32 v14, -v3, v18, v20
	v_fma_f32 v1, -v4, v18, v21
	v_fmac_f32_e32 v14, v4, v19
	v_fma_f32 v15, -v3, v19, v1
	global_store_dwordx2 v[16:17], v[14:15], off
	global_load_dwordx2 v[14:15], v[5:6], off
	v_subrev_u32_e32 v1, s20, v7
	v_add_u32_e32 v16, v1, v0
	v_ashrrev_i32_e32 v17, 31, v16
	v_lshlrev_b64 v[20:21], 3, v[16:17]
	v_add_u32_e32 v1, s4, v16
	v_add_co_u32_e32 v20, vcc, s10, v20
	v_lshlrev_b64 v[22:23], 3, v[1:2]
	v_addc_co_u32_e32 v21, vcc, v12, v21, vcc
	v_add_co_u32_e32 v22, vcc, s8, v22
	v_addc_co_u32_e32 v23, vcc, v24, v23, vcc
	global_load_dwordx2 v[20:21], v[20:21], off
	v_mov_b32_e32 v12, s9
	s_waitcnt vmcnt(1)
	v_fma_f32 v14, -v3, v10, v14
	v_fma_f32 v1, -v4, v10, v15
	v_fmac_f32_e32 v14, v4, v11
	v_fma_f32 v15, -v3, v11, v1
	global_store_dwordx2 v[5:6], v[14:15], off
	global_load_dwordx2 v[3:4], v[22:23], off
	v_add_u32_e32 v1, s5, v16
	v_lshlrev_b64 v[5:6], 3, v[1:2]
	v_add_co_u32_e32 v5, vcc, s8, v5
	v_addc_co_u32_e32 v6, vcc, v12, v6, vcc
	s_waitcnt vmcnt(0)
	v_fma_f32 v3, -v20, v18, v3
	v_fma_f32 v1, -v21, v18, v4
	v_fmac_f32_e32 v3, v21, v19
	v_fma_f32 v4, -v20, v19, v1
	global_store_dwordx2 v[22:23], v[3:4], off
	global_load_dwordx2 v[3:4], v[5:6], off
	s_waitcnt vmcnt(0)
	v_fma_f32 v3, -v20, v10, v3
	v_fma_f32 v1, -v21, v10, v4
	v_fmac_f32_e32 v3, v21, v11
	v_fma_f32 v4, -v20, v11, v1
	global_store_dwordx2 v[5:6], v[3:4], off
                                        ; implicit-def: $vgpr5
                                        ; implicit-def: $vgpr3_vgpr4
.LBB182_21:                             ;   in Loop: Header=BB182_19 Depth=1
	s_or_saveexec_b64 s[2:3], s[2:3]
	v_mov_b32_e32 v1, s6
	s_xor_b64 exec, exec, s[2:3]
	s_cbranch_execz .LBB182_18
; %bb.22:                               ;   in Loop: Header=BB182_19 Depth=1
	v_add_u32_e32 v6, v13, v7
	v_add_u32_e32 v1, s4, v6
	v_lshlrev_b64 v[10:11], 3, v[1:2]
	v_mov_b32_e32 v1, s9
	v_add_co_u32_e32 v10, vcc, s8, v10
	v_addc_co_u32_e32 v11, vcc, v1, v11, vcc
	v_add_u32_e32 v1, s4, v5
	v_lshlrev_b64 v[14:15], 3, v[1:2]
	v_mov_b32_e32 v1, s9
	v_add_co_u32_e32 v14, vcc, s8, v14
	v_addc_co_u32_e32 v15, vcc, v1, v15, vcc
	global_load_dwordx2 v[16:17], v[10:11], off
	global_load_dwordx2 v[18:19], v[14:15], off
	v_add_u32_e32 v1, s5, v6
	v_lshlrev_b64 v[10:11], 3, v[1:2]
	v_add_u32_e32 v1, s5, v5
	v_mov_b32_e32 v12, s9
	v_lshlrev_b64 v[5:6], 3, v[1:2]
	v_add_co_u32_e32 v10, vcc, s8, v10
	v_addc_co_u32_e32 v11, vcc, v12, v11, vcc
	v_mov_b32_e32 v20, s9
	v_add_co_u32_e32 v5, vcc, s8, v5
	v_addc_co_u32_e32 v6, vcc, v20, v6, vcc
	s_waitcnt vmcnt(0)
	v_fma_f32 v18, -v3, v16, v18
	v_fma_f32 v1, -v4, v16, v19
	v_fmac_f32_e32 v18, v4, v17
	v_fma_f32 v19, -v3, v17, v1
	global_store_dwordx2 v[14:15], v[18:19], off
	global_load_dwordx2 v[14:15], v[10:11], off
	s_nop 0
	global_load_dwordx2 v[16:17], v[5:6], off
	s_waitcnt vmcnt(0)
	v_fma_f32 v10, -v3, v14, v16
	v_fma_f32 v1, -v4, v14, v17
	v_fmac_f32_e32 v10, v4, v15
	v_fma_f32 v11, -v3, v15, v1
	v_mov_b32_e32 v1, s20
	global_store_dwordx2 v[5:6], v[10:11], off
	s_branch .LBB182_18
.LBB182_23:
	s_endpgm
	.section	.rodata,"a",@progbits
	.p2align	6, 0x0
	.amdhsa_kernel _ZN9rocsparseL19gtsv_LBM_rhs_kernelILj256ELj2ELj2E21rocsparse_complex_numIfEEEviiiPKT2_S5_S5_PS3_S5_PKi
		.amdhsa_group_segment_fixed_size 0
		.amdhsa_private_segment_fixed_size 0
		.amdhsa_kernarg_size 64
		.amdhsa_user_sgpr_count 6
		.amdhsa_user_sgpr_private_segment_buffer 1
		.amdhsa_user_sgpr_dispatch_ptr 0
		.amdhsa_user_sgpr_queue_ptr 0
		.amdhsa_user_sgpr_kernarg_segment_ptr 1
		.amdhsa_user_sgpr_dispatch_id 0
		.amdhsa_user_sgpr_flat_scratch_init 0
		.amdhsa_user_sgpr_private_segment_size 0
		.amdhsa_uses_dynamic_stack 0
		.amdhsa_system_sgpr_private_segment_wavefront_offset 0
		.amdhsa_system_sgpr_workgroup_id_x 1
		.amdhsa_system_sgpr_workgroup_id_y 1
		.amdhsa_system_sgpr_workgroup_id_z 0
		.amdhsa_system_sgpr_workgroup_info 0
		.amdhsa_system_vgpr_workitem_id 0
		.amdhsa_next_free_vgpr 35
		.amdhsa_next_free_sgpr 26
		.amdhsa_reserve_vcc 1
		.amdhsa_reserve_flat_scratch 0
		.amdhsa_float_round_mode_32 0
		.amdhsa_float_round_mode_16_64 0
		.amdhsa_float_denorm_mode_32 3
		.amdhsa_float_denorm_mode_16_64 3
		.amdhsa_dx10_clamp 1
		.amdhsa_ieee_mode 1
		.amdhsa_fp16_overflow 0
		.amdhsa_exception_fp_ieee_invalid_op 0
		.amdhsa_exception_fp_denorm_src 0
		.amdhsa_exception_fp_ieee_div_zero 0
		.amdhsa_exception_fp_ieee_overflow 0
		.amdhsa_exception_fp_ieee_underflow 0
		.amdhsa_exception_fp_ieee_inexact 0
		.amdhsa_exception_int_div_zero 0
	.end_amdhsa_kernel
	.section	.text._ZN9rocsparseL19gtsv_LBM_rhs_kernelILj256ELj2ELj2E21rocsparse_complex_numIfEEEviiiPKT2_S5_S5_PS3_S5_PKi,"axG",@progbits,_ZN9rocsparseL19gtsv_LBM_rhs_kernelILj256ELj2ELj2E21rocsparse_complex_numIfEEEviiiPKT2_S5_S5_PS3_S5_PKi,comdat
.Lfunc_end182:
	.size	_ZN9rocsparseL19gtsv_LBM_rhs_kernelILj256ELj2ELj2E21rocsparse_complex_numIfEEEviiiPKT2_S5_S5_PS3_S5_PKi, .Lfunc_end182-_ZN9rocsparseL19gtsv_LBM_rhs_kernelILj256ELj2ELj2E21rocsparse_complex_numIfEEEviiiPKT2_S5_S5_PS3_S5_PKi
                                        ; -- End function
	.set _ZN9rocsparseL19gtsv_LBM_rhs_kernelILj256ELj2ELj2E21rocsparse_complex_numIfEEEviiiPKT2_S5_S5_PS3_S5_PKi.num_vgpr, 35
	.set _ZN9rocsparseL19gtsv_LBM_rhs_kernelILj256ELj2ELj2E21rocsparse_complex_numIfEEEviiiPKT2_S5_S5_PS3_S5_PKi.num_agpr, 0
	.set _ZN9rocsparseL19gtsv_LBM_rhs_kernelILj256ELj2ELj2E21rocsparse_complex_numIfEEEviiiPKT2_S5_S5_PS3_S5_PKi.numbered_sgpr, 26
	.set _ZN9rocsparseL19gtsv_LBM_rhs_kernelILj256ELj2ELj2E21rocsparse_complex_numIfEEEviiiPKT2_S5_S5_PS3_S5_PKi.num_named_barrier, 0
	.set _ZN9rocsparseL19gtsv_LBM_rhs_kernelILj256ELj2ELj2E21rocsparse_complex_numIfEEEviiiPKT2_S5_S5_PS3_S5_PKi.private_seg_size, 0
	.set _ZN9rocsparseL19gtsv_LBM_rhs_kernelILj256ELj2ELj2E21rocsparse_complex_numIfEEEviiiPKT2_S5_S5_PS3_S5_PKi.uses_vcc, 1
	.set _ZN9rocsparseL19gtsv_LBM_rhs_kernelILj256ELj2ELj2E21rocsparse_complex_numIfEEEviiiPKT2_S5_S5_PS3_S5_PKi.uses_flat_scratch, 0
	.set _ZN9rocsparseL19gtsv_LBM_rhs_kernelILj256ELj2ELj2E21rocsparse_complex_numIfEEEviiiPKT2_S5_S5_PS3_S5_PKi.has_dyn_sized_stack, 0
	.set _ZN9rocsparseL19gtsv_LBM_rhs_kernelILj256ELj2ELj2E21rocsparse_complex_numIfEEEviiiPKT2_S5_S5_PS3_S5_PKi.has_recursion, 0
	.set _ZN9rocsparseL19gtsv_LBM_rhs_kernelILj256ELj2ELj2E21rocsparse_complex_numIfEEEviiiPKT2_S5_S5_PS3_S5_PKi.has_indirect_call, 0
	.section	.AMDGPU.csdata,"",@progbits
; Kernel info:
; codeLenInByte = 2356
; TotalNumSgprs: 30
; NumVgprs: 35
; ScratchSize: 0
; MemoryBound: 0
; FloatMode: 240
; IeeeMode: 1
; LDSByteSize: 0 bytes/workgroup (compile time only)
; SGPRBlocks: 3
; VGPRBlocks: 8
; NumSGPRsForWavesPerEU: 30
; NumVGPRsForWavesPerEU: 35
; Occupancy: 7
; WaveLimiterHint : 0
; COMPUTE_PGM_RSRC2:SCRATCH_EN: 0
; COMPUTE_PGM_RSRC2:USER_SGPR: 6
; COMPUTE_PGM_RSRC2:TRAP_HANDLER: 0
; COMPUTE_PGM_RSRC2:TGID_X_EN: 1
; COMPUTE_PGM_RSRC2:TGID_Y_EN: 1
; COMPUTE_PGM_RSRC2:TGID_Z_EN: 0
; COMPUTE_PGM_RSRC2:TIDIG_COMP_CNT: 0
	.section	.text._ZN9rocsparseL19gtsv_LBM_rhs_kernelILj256ELj2ELj1E21rocsparse_complex_numIfEEEviiiPKT2_S5_S5_PS3_S5_PKi,"axG",@progbits,_ZN9rocsparseL19gtsv_LBM_rhs_kernelILj256ELj2ELj1E21rocsparse_complex_numIfEEEviiiPKT2_S5_S5_PS3_S5_PKi,comdat
	.globl	_ZN9rocsparseL19gtsv_LBM_rhs_kernelILj256ELj2ELj1E21rocsparse_complex_numIfEEEviiiPKT2_S5_S5_PS3_S5_PKi ; -- Begin function _ZN9rocsparseL19gtsv_LBM_rhs_kernelILj256ELj2ELj1E21rocsparse_complex_numIfEEEviiiPKT2_S5_S5_PS3_S5_PKi
	.p2align	8
	.type	_ZN9rocsparseL19gtsv_LBM_rhs_kernelILj256ELj2ELj1E21rocsparse_complex_numIfEEEviiiPKT2_S5_S5_PS3_S5_PKi,@function
_ZN9rocsparseL19gtsv_LBM_rhs_kernelILj256ELj2ELj1E21rocsparse_complex_numIfEEEviiiPKT2_S5_S5_PS3_S5_PKi: ; @_ZN9rocsparseL19gtsv_LBM_rhs_kernelILj256ELj2ELj1E21rocsparse_complex_numIfEEEviiiPKT2_S5_S5_PS3_S5_PKi
; %bb.0:
	s_load_dword s22, s[4:5], 0x0
	v_lshl_or_b32 v0, s6, 8, v0
	s_waitcnt lgkmcnt(0)
	s_lshr_b32 s20, s22, 1
	v_cmp_gt_i32_e32 vcc, s20, v0
	s_and_saveexec_b64 s[0:1], vcc
	s_cbranch_execz .LBB183_23
; %bb.1:
	s_load_dwordx4 s[8:11], s[4:5], 0x28
	s_load_dwordx2 s[16:17], s[4:5], 0x38
	s_cmp_lt_i32 s22, 1
	s_mul_i32 s21, s22, s7
	s_cbranch_scc1 .LBB183_15
; %bb.2:
	s_load_dwordx4 s[12:15], s[4:5], 0x10
	s_load_dwordx2 s[6:7], s[4:5], 0x20
	v_ashrrev_i32_e32 v1, 31, v0
	v_lshlrev_b64 v[1:2], 3, v[0:1]
	v_add_u32_e32 v16, s20, v0
	s_waitcnt lgkmcnt(0)
	v_mov_b32_e32 v3, s15
	v_add_co_u32_e32 v1, vcc, s14, v1
	v_addc_co_u32_e32 v2, vcc, v3, v2, vcc
	global_load_dwordx2 v[9:10], v[1:2], off
	v_add_u32_e32 v17, s21, v16
	s_and_b32 s23, s22, 0x7ffffffe
	v_mov_b32_e32 v2, 0
	s_mov_b64 s[4:5], 0
	v_mov_b32_e32 v18, s7
	v_mov_b32_e32 v15, 0
	s_branch .LBB183_5
.LBB183_3:                              ;   in Loop: Header=BB183_5 Depth=1
	s_or_b64 exec, exec, s[18:19]
	v_fmac_f32_e32 v13, v5, v3
	v_fmac_f32_e32 v12, v6, v3
	v_mul_f32_e64 v1, v11, -v12
	v_mul_f32_e32 v3, v11, v13
	v_fmac_f32_e32 v1, v13, v4
	v_fmac_f32_e32 v3, v12, v4
	v_sub_f32_e32 v4, v7, v1
	v_sub_f32_e32 v11, v8, v3
	v_mov_b32_e32 v14, s20
.LBB183_4:                              ;   in Loop: Header=BB183_5 Depth=1
	s_or_b64 exec, exec, s[2:3]
	v_add_u32_e32 v15, v14, v15
	v_cmp_le_i32_e32 vcc, s22, v15
	s_or_b64 s[4:5], vcc, s[4:5]
	v_mov_b32_e32 v10, v11
	v_mov_b32_e32 v9, v4
	s_andn2_b64 exec, exec, s[4:5]
	s_cbranch_execz .LBB183_14
.LBB183_5:                              ; =>This Inner Loop Header: Depth=1
	v_add_u32_e32 v11, v15, v0
	v_ashrrev_i32_e32 v12, 31, v11
	v_lshlrev_b64 v[3:4], 3, v[11:12]
	v_cmp_gt_u32_e64 s[0:1], s20, v15
	v_add_co_u32_e32 v3, vcc, s6, v3
	v_addc_co_u32_e32 v4, vcc, v18, v4, vcc
	global_load_dwordx2 v[3:4], v[3:4], off
	v_add_u32_e32 v13, v16, v15
	v_mov_b32_e32 v5, 0
	v_mov_b32_e32 v6, 0
	s_and_saveexec_b64 s[2:3], s[0:1]
	s_cbranch_execz .LBB183_7
; %bb.6:                                ;   in Loop: Header=BB183_5 Depth=1
	v_ashrrev_i32_e32 v14, 31, v13
	v_lshlrev_b64 v[5:6], 3, v[13:14]
	v_mov_b32_e32 v1, s13
	v_add_co_u32_e32 v5, vcc, s12, v5
	v_addc_co_u32_e32 v6, vcc, v1, v6, vcc
	global_load_dwordx2 v[5:6], v[5:6], off
.LBB183_7:                              ;   in Loop: Header=BB183_5 Depth=1
	s_or_b64 exec, exec, s[2:3]
	v_mov_b32_e32 v7, 0
	v_mov_b32_e32 v8, 0
	s_and_saveexec_b64 s[2:3], s[0:1]
	s_cbranch_execz .LBB183_9
; %bb.8:                                ;   in Loop: Header=BB183_5 Depth=1
	v_ashrrev_i32_e32 v14, 31, v13
	v_lshlrev_b64 v[7:8], 3, v[13:14]
	v_mov_b32_e32 v1, s15
	v_add_co_u32_e32 v7, vcc, s14, v7
	v_addc_co_u32_e32 v8, vcc, v1, v8, vcc
	global_load_dwordx2 v[7:8], v[7:8], off
.LBB183_9:                              ;   in Loop: Header=BB183_5 Depth=1
	s_or_b64 exec, exec, s[2:3]
	v_lshlrev_b64 v[12:13], 2, v[11:12]
	v_mov_b32_e32 v1, s17
	v_add_co_u32_e32 v12, vcc, s16, v12
	v_addc_co_u32_e32 v13, vcc, v1, v13, vcc
	global_load_dword v1, v[12:13], off
	v_cmp_ne_u32_e32 vcc, s20, v15
	s_waitcnt vmcnt(1)
	v_mul_f32_e64 v13, v4, -v6
	v_mul_f32_e32 v12, v5, v4
	s_waitcnt vmcnt(0)
	v_cmp_ne_u32_e64 s[2:3], 1, v1
	s_and_b64 s[2:3], vcc, s[2:3]
	v_add_u32_e32 v1, s21, v11
	s_and_saveexec_b64 s[18:19], s[2:3]
	s_xor_b64 s[18:19], exec, s[18:19]
	s_cbranch_execz .LBB183_11
; %bb.10:                               ;   in Loop: Header=BB183_5 Depth=1
	v_mul_f32_e32 v14, v9, v8
	v_mul_f32_e64 v11, v8, -v10
	v_fmac_f32_e32 v14, v10, v7
	v_fmac_f32_e32 v12, v6, v3
	v_fmac_f32_e32 v11, v9, v7
	v_fmac_f32_e32 v13, v5, v3
	v_sub_f32_e32 v22, v14, v12
	v_sub_f32_e32 v21, v11, v13
	v_mul_f32_e32 v23, v22, v22
	v_fmac_f32_e32 v23, v21, v21
	v_div_scale_f32 v19, s[2:3], v23, v23, 1.0
	v_div_scale_f32 v20, vcc, 1.0, v23, 1.0
	v_lshlrev_b64 v[11:12], 3, v[1:2]
	v_mov_b32_e32 v1, s9
	v_add_co_u32_e64 v11, s[2:3], s8, v11
	v_addc_co_u32_e64 v12, s[2:3], v1, v12, s[2:3]
	v_add_u32_e32 v1, v17, v15
	v_lshlrev_b64 v[13:14], 3, v[1:2]
	v_mov_b32_e32 v1, s9
	v_add_co_u32_e64 v13, s[2:3], s8, v13
	v_addc_co_u32_e64 v14, s[2:3], v1, v14, s[2:3]
	v_rcp_f32_e32 v1, v19
	v_fma_f32 v24, -v19, v1, 1.0
	v_fmac_f32_e32 v1, v24, v1
	v_mul_f32_e32 v24, v20, v1
	v_fma_f32 v25, -v19, v24, v20
	v_fmac_f32_e32 v24, v25, v1
	v_fma_f32 v25, -v19, v24, v20
	global_load_dwordx2 v[19:20], v[11:12], off
	v_div_fmas_f32 v1, v25, v1, v24
	v_fma_f32 v24, 0, v22, v21
	v_fma_f32 v25, v21, 0, -v22
	global_load_dwordx2 v[21:22], v[13:14], off
	v_div_fixup_f32 v1, v1, v23, 1.0
	v_mul_f32_e32 v23, v24, v1
	v_mul_f32_e32 v1, v25, v1
	s_waitcnt vmcnt(1)
	v_mul_f32_e64 v24, v1, -v20
	v_mul_f32_e32 v25, v1, v19
	v_fmac_f32_e32 v24, v19, v23
	v_fmac_f32_e32 v25, v20, v23
	s_waitcnt vmcnt(0)
	v_mul_f32_e64 v19, v1, -v22
	v_mul_f32_e32 v1, v1, v21
	v_fmac_f32_e32 v19, v21, v23
	v_fmac_f32_e32 v1, v22, v23
	v_mul_f32_e64 v20, v25, -v8
	v_mul_f32_e32 v21, v7, v25
	v_mul_f32_e32 v22, v6, v25
	v_mul_f32_e64 v23, v25, -v5
	v_fmac_f32_e32 v20, v7, v24
	v_fmac_f32_e32 v21, v8, v24
	v_fma_f32 v5, -v5, v24, v22
	v_mul_f32_e64 v7, v1, -v4
	v_mul_f32_e32 v8, v1, v3
	v_mul_f32_e64 v22, v1, -v10
	v_mul_f32_e32 v1, v9, v1
	v_fma_f32 v6, -v6, v24, v23
	v_fmac_f32_e32 v7, v3, v19
	v_fmac_f32_e32 v8, v4, v19
	;; [unrolled: 1-line block ×4, first 2 shown]
	v_sub_f32_e32 v3, v20, v7
	v_sub_f32_e32 v4, v21, v8
	v_add_f32_e32 v5, v5, v22
	v_add_f32_e32 v6, v6, v1
	global_store_dwordx2 v[11:12], v[3:4], off
	global_store_dwordx2 v[13:14], v[5:6], off
                                        ; implicit-def: $vgpr10
                                        ; implicit-def: $vgpr3_vgpr4
                                        ; implicit-def: $vgpr5
                                        ; implicit-def: $vgpr7
                                        ; implicit-def: $vgpr13
                                        ; implicit-def: $vgpr12
.LBB183_11:                             ;   in Loop: Header=BB183_5 Depth=1
	s_or_saveexec_b64 s[2:3], s[18:19]
	v_mov_b32_e32 v4, 0
	v_mov_b32_e32 v14, s23
	;; [unrolled: 1-line block ×3, first 2 shown]
	s_xor_b64 exec, exec, s[2:3]
	s_cbranch_execz .LBB183_4
; %bb.12:                               ;   in Loop: Header=BB183_5 Depth=1
	v_mul_f32_e32 v4, v10, v10
	v_fmac_f32_e32 v4, v9, v9
	v_div_scale_f32 v11, s[18:19], v4, v4, 1.0
	v_rcp_f32_e32 v14, v11
	v_fma_f32 v19, -v11, v14, 1.0
	v_fmac_f32_e32 v14, v19, v14
	v_div_scale_f32 v19, vcc, 1.0, v4, 1.0
	v_mul_f32_e32 v20, v19, v14
	v_fma_f32 v21, -v11, v20, v19
	v_fmac_f32_e32 v20, v21, v14
	v_fma_f32 v11, -v11, v20, v19
	v_div_fmas_f32 v11, v11, v14, v20
	v_div_fixup_f32 v11, v11, v4, 1.0
	v_fma_f32 v4, 0, v10, v9
	v_fma_f32 v9, v9, 0, -v10
	v_mul_f32_e32 v4, v4, v11
	v_mul_f32_e32 v11, v9, v11
	v_lshlrev_b64 v[9:10], 3, v[1:2]
	v_mov_b32_e32 v1, s9
	v_add_co_u32_e32 v19, vcc, s8, v9
	v_addc_co_u32_e32 v20, vcc, v1, v10, vcc
	global_load_dwordx2 v[21:22], v[19:20], off
	s_waitcnt vmcnt(0)
	v_mul_f32_e64 v9, v11, -v22
	v_mul_f32_e32 v10, v11, v21
	v_fmac_f32_e32 v9, v21, v4
	v_fmac_f32_e32 v10, v22, v4
	global_store_dwordx2 v[19:20], v[9:10], off
	s_and_saveexec_b64 s[18:19], s[0:1]
	s_cbranch_execz .LBB183_3
; %bb.13:                               ;   in Loop: Header=BB183_5 Depth=1
	v_add_u32_e32 v1, v17, v15
	v_lshlrev_b64 v[19:20], 3, v[1:2]
	v_mov_b32_e32 v1, s9
	v_add_co_u32_e32 v19, vcc, s8, v19
	v_addc_co_u32_e32 v20, vcc, v1, v20, vcc
	global_load_dwordx2 v[21:22], v[19:20], off
	s_waitcnt vmcnt(0)
	v_fma_f32 v21, -v5, v9, v21
	v_fma_f32 v1, -v6, v9, v22
	v_fmac_f32_e32 v21, v6, v10
	v_fma_f32 v22, -v5, v10, v1
	global_store_dwordx2 v[19:20], v[21:22], off
	s_branch .LBB183_3
.LBB183_14:
	s_or_b64 exec, exec, s[4:5]
	s_branch .LBB183_16
.LBB183_15:
	v_mov_b32_e32 v15, 0
.LBB183_16:
	v_subrev_u32_e32 v3, s20, v15
	v_add_u32_e32 v1, v3, v0
	v_ashrrev_i32_e32 v2, 31, v1
	v_lshlrev_b64 v[1:2], 2, v[1:2]
	s_waitcnt lgkmcnt(0)
	v_mov_b32_e32 v4, s17
	v_add_co_u32_e32 v1, vcc, s16, v1
	v_addc_co_u32_e32 v2, vcc, v4, v2, vcc
	s_waitcnt vmcnt(0)
	buffer_wbinvl1_vol
	global_load_dword v1, v[1:2], off
	s_waitcnt vmcnt(0)
	v_mul_lo_u32 v1, v1, s20
	v_sub_u32_e32 v7, v3, v1
	v_cmp_lt_i32_e32 vcc, -1, v7
	s_and_b64 exec, exec, vcc
	s_cbranch_execz .LBB183_23
; %bb.17:
	s_add_i32 s0, s21, s20
	v_add_u32_e32 v8, s0, v0
	s_and_b32 s4, s22, -2
	s_mov_b64 s[0:1], 0
	v_mov_b32_e32 v9, s17
	v_mov_b32_e32 v10, s11
	;; [unrolled: 1-line block ×3, first 2 shown]
	s_branch .LBB183_19
.LBB183_18:                             ;   in Loop: Header=BB183_19 Depth=1
	s_or_b64 exec, exec, s[2:3]
	v_sub_u32_e32 v7, v7, v1
	v_cmp_gt_i32_e32 vcc, 0, v7
	s_or_b64 s[0:1], vcc, s[0:1]
	s_andn2_b64 exec, exec, s[0:1]
	s_cbranch_execz .LBB183_23
.LBB183_19:                             ; =>This Inner Loop Header: Depth=1
	v_add_u32_e32 v5, v7, v0
	v_ashrrev_i32_e32 v6, 31, v5
	s_waitcnt vmcnt(0)
	v_lshlrev_b64 v[3:4], 2, v[5:6]
	v_add_co_u32_e32 v3, vcc, s16, v3
	v_addc_co_u32_e32 v4, vcc, v9, v4, vcc
	global_load_dword v1, v[3:4], off
	v_lshlrev_b64 v[3:4], 3, v[5:6]
	v_add_co_u32_e32 v3, vcc, s10, v3
	v_addc_co_u32_e32 v4, vcc, v10, v4, vcc
	global_load_dwordx2 v[3:4], v[3:4], off
	s_waitcnt vmcnt(1)
	v_cmp_ne_u32_e32 vcc, 1, v1
	s_and_saveexec_b64 s[2:3], vcc
	s_xor_b64 s[2:3], exec, s[2:3]
	s_cbranch_execz .LBB183_21
; %bb.20:                               ;   in Loop: Header=BB183_19 Depth=1
	v_add_u32_e32 v1, v8, v7
	v_lshlrev_b64 v[11:12], 3, v[1:2]
	v_mov_b32_e32 v1, s9
	v_add_co_u32_e32 v11, vcc, s8, v11
	v_addc_co_u32_e32 v12, vcc, v1, v12, vcc
	v_add_u32_e32 v1, s21, v5
	v_lshlrev_b64 v[5:6], 3, v[1:2]
	v_mov_b32_e32 v1, s9
	v_add_co_u32_e32 v5, vcc, s8, v5
	v_addc_co_u32_e32 v6, vcc, v1, v6, vcc
	global_load_dwordx2 v[13:14], v[11:12], off
	global_load_dwordx2 v[15:16], v[5:6], off
	v_subrev_u32_e32 v1, s20, v7
	v_add_u32_e32 v11, v1, v0
	v_ashrrev_i32_e32 v12, 31, v11
	v_add_u32_e32 v1, s21, v11
	v_lshlrev_b64 v[11:12], 3, v[11:12]
	v_mov_b32_e32 v19, s11
	v_lshlrev_b64 v[17:18], 3, v[1:2]
	v_add_co_u32_e32 v11, vcc, s10, v11
	v_addc_co_u32_e32 v12, vcc, v19, v12, vcc
	v_mov_b32_e32 v20, s9
	v_add_co_u32_e32 v17, vcc, s8, v17
	v_addc_co_u32_e32 v18, vcc, v20, v18, vcc
	global_load_dwordx2 v[11:12], v[11:12], off
	s_waitcnt vmcnt(1)
	v_fma_f32 v15, -v3, v13, v15
	v_fma_f32 v1, -v4, v13, v16
	v_fmac_f32_e32 v15, v4, v14
	v_fma_f32 v16, -v3, v14, v1
	global_store_dwordx2 v[5:6], v[15:16], off
	global_load_dwordx2 v[3:4], v[17:18], off
                                        ; implicit-def: $vgpr5
	s_waitcnt vmcnt(0)
	v_fma_f32 v3, -v11, v13, v3
	v_fma_f32 v1, -v12, v13, v4
	v_fmac_f32_e32 v3, v12, v14
	v_fma_f32 v4, -v11, v14, v1
	global_store_dwordx2 v[17:18], v[3:4], off
                                        ; implicit-def: $vgpr3_vgpr4
.LBB183_21:                             ;   in Loop: Header=BB183_19 Depth=1
	s_or_saveexec_b64 s[2:3], s[2:3]
	v_mov_b32_e32 v1, s4
	s_xor_b64 exec, exec, s[2:3]
	s_cbranch_execz .LBB183_18
; %bb.22:                               ;   in Loop: Header=BB183_19 Depth=1
	v_add_u32_e32 v1, v8, v7
	v_lshlrev_b64 v[11:12], 3, v[1:2]
	v_mov_b32_e32 v1, s9
	v_add_co_u32_e32 v11, vcc, s8, v11
	v_addc_co_u32_e32 v12, vcc, v1, v12, vcc
	v_add_u32_e32 v1, s21, v5
	v_lshlrev_b64 v[5:6], 3, v[1:2]
	v_mov_b32_e32 v1, s9
	v_add_co_u32_e32 v5, vcc, s8, v5
	v_addc_co_u32_e32 v6, vcc, v1, v6, vcc
	global_load_dwordx2 v[13:14], v[11:12], off
	global_load_dwordx2 v[15:16], v[5:6], off
	s_waitcnt vmcnt(0)
	v_fma_f32 v11, -v3, v13, v15
	v_fma_f32 v1, -v4, v13, v16
	v_fmac_f32_e32 v11, v4, v14
	v_fma_f32 v12, -v3, v14, v1
	v_mov_b32_e32 v1, s20
	global_store_dwordx2 v[5:6], v[11:12], off
	s_branch .LBB183_18
.LBB183_23:
	s_endpgm
	.section	.rodata,"a",@progbits
	.p2align	6, 0x0
	.amdhsa_kernel _ZN9rocsparseL19gtsv_LBM_rhs_kernelILj256ELj2ELj1E21rocsparse_complex_numIfEEEviiiPKT2_S5_S5_PS3_S5_PKi
		.amdhsa_group_segment_fixed_size 0
		.amdhsa_private_segment_fixed_size 0
		.amdhsa_kernarg_size 64
		.amdhsa_user_sgpr_count 6
		.amdhsa_user_sgpr_private_segment_buffer 1
		.amdhsa_user_sgpr_dispatch_ptr 0
		.amdhsa_user_sgpr_queue_ptr 0
		.amdhsa_user_sgpr_kernarg_segment_ptr 1
		.amdhsa_user_sgpr_dispatch_id 0
		.amdhsa_user_sgpr_flat_scratch_init 0
		.amdhsa_user_sgpr_private_segment_size 0
		.amdhsa_uses_dynamic_stack 0
		.amdhsa_system_sgpr_private_segment_wavefront_offset 0
		.amdhsa_system_sgpr_workgroup_id_x 1
		.amdhsa_system_sgpr_workgroup_id_y 1
		.amdhsa_system_sgpr_workgroup_id_z 0
		.amdhsa_system_sgpr_workgroup_info 0
		.amdhsa_system_vgpr_workitem_id 0
		.amdhsa_next_free_vgpr 26
		.amdhsa_next_free_sgpr 24
		.amdhsa_reserve_vcc 1
		.amdhsa_reserve_flat_scratch 0
		.amdhsa_float_round_mode_32 0
		.amdhsa_float_round_mode_16_64 0
		.amdhsa_float_denorm_mode_32 3
		.amdhsa_float_denorm_mode_16_64 3
		.amdhsa_dx10_clamp 1
		.amdhsa_ieee_mode 1
		.amdhsa_fp16_overflow 0
		.amdhsa_exception_fp_ieee_invalid_op 0
		.amdhsa_exception_fp_denorm_src 0
		.amdhsa_exception_fp_ieee_div_zero 0
		.amdhsa_exception_fp_ieee_overflow 0
		.amdhsa_exception_fp_ieee_underflow 0
		.amdhsa_exception_fp_ieee_inexact 0
		.amdhsa_exception_int_div_zero 0
	.end_amdhsa_kernel
	.section	.text._ZN9rocsparseL19gtsv_LBM_rhs_kernelILj256ELj2ELj1E21rocsparse_complex_numIfEEEviiiPKT2_S5_S5_PS3_S5_PKi,"axG",@progbits,_ZN9rocsparseL19gtsv_LBM_rhs_kernelILj256ELj2ELj1E21rocsparse_complex_numIfEEEviiiPKT2_S5_S5_PS3_S5_PKi,comdat
.Lfunc_end183:
	.size	_ZN9rocsparseL19gtsv_LBM_rhs_kernelILj256ELj2ELj1E21rocsparse_complex_numIfEEEviiiPKT2_S5_S5_PS3_S5_PKi, .Lfunc_end183-_ZN9rocsparseL19gtsv_LBM_rhs_kernelILj256ELj2ELj1E21rocsparse_complex_numIfEEEviiiPKT2_S5_S5_PS3_S5_PKi
                                        ; -- End function
	.set _ZN9rocsparseL19gtsv_LBM_rhs_kernelILj256ELj2ELj1E21rocsparse_complex_numIfEEEviiiPKT2_S5_S5_PS3_S5_PKi.num_vgpr, 26
	.set _ZN9rocsparseL19gtsv_LBM_rhs_kernelILj256ELj2ELj1E21rocsparse_complex_numIfEEEviiiPKT2_S5_S5_PS3_S5_PKi.num_agpr, 0
	.set _ZN9rocsparseL19gtsv_LBM_rhs_kernelILj256ELj2ELj1E21rocsparse_complex_numIfEEEviiiPKT2_S5_S5_PS3_S5_PKi.numbered_sgpr, 24
	.set _ZN9rocsparseL19gtsv_LBM_rhs_kernelILj256ELj2ELj1E21rocsparse_complex_numIfEEEviiiPKT2_S5_S5_PS3_S5_PKi.num_named_barrier, 0
	.set _ZN9rocsparseL19gtsv_LBM_rhs_kernelILj256ELj2ELj1E21rocsparse_complex_numIfEEEviiiPKT2_S5_S5_PS3_S5_PKi.private_seg_size, 0
	.set _ZN9rocsparseL19gtsv_LBM_rhs_kernelILj256ELj2ELj1E21rocsparse_complex_numIfEEEviiiPKT2_S5_S5_PS3_S5_PKi.uses_vcc, 1
	.set _ZN9rocsparseL19gtsv_LBM_rhs_kernelILj256ELj2ELj1E21rocsparse_complex_numIfEEEviiiPKT2_S5_S5_PS3_S5_PKi.uses_flat_scratch, 0
	.set _ZN9rocsparseL19gtsv_LBM_rhs_kernelILj256ELj2ELj1E21rocsparse_complex_numIfEEEviiiPKT2_S5_S5_PS3_S5_PKi.has_dyn_sized_stack, 0
	.set _ZN9rocsparseL19gtsv_LBM_rhs_kernelILj256ELj2ELj1E21rocsparse_complex_numIfEEEviiiPKT2_S5_S5_PS3_S5_PKi.has_recursion, 0
	.set _ZN9rocsparseL19gtsv_LBM_rhs_kernelILj256ELj2ELj1E21rocsparse_complex_numIfEEEviiiPKT2_S5_S5_PS3_S5_PKi.has_indirect_call, 0
	.section	.AMDGPU.csdata,"",@progbits
; Kernel info:
; codeLenInByte = 1692
; TotalNumSgprs: 28
; NumVgprs: 26
; ScratchSize: 0
; MemoryBound: 0
; FloatMode: 240
; IeeeMode: 1
; LDSByteSize: 0 bytes/workgroup (compile time only)
; SGPRBlocks: 3
; VGPRBlocks: 6
; NumSGPRsForWavesPerEU: 28
; NumVGPRsForWavesPerEU: 26
; Occupancy: 9
; WaveLimiterHint : 0
; COMPUTE_PGM_RSRC2:SCRATCH_EN: 0
; COMPUTE_PGM_RSRC2:USER_SGPR: 6
; COMPUTE_PGM_RSRC2:TRAP_HANDLER: 0
; COMPUTE_PGM_RSRC2:TGID_X_EN: 1
; COMPUTE_PGM_RSRC2:TGID_Y_EN: 1
; COMPUTE_PGM_RSRC2:TGID_Z_EN: 0
; COMPUTE_PGM_RSRC2:TIDIG_COMP_CNT: 0
	.section	.text._ZN9rocsparseL29gtsv_spike_block_level_kernelILj256ELj2E21rocsparse_complex_numIfEEEviiiPT1_PKS3_S6_S4_S4_S4_S4_S4_,"axG",@progbits,_ZN9rocsparseL29gtsv_spike_block_level_kernelILj256ELj2E21rocsparse_complex_numIfEEEviiiPT1_PKS3_S6_S4_S4_S4_S4_S4_,comdat
	.globl	_ZN9rocsparseL29gtsv_spike_block_level_kernelILj256ELj2E21rocsparse_complex_numIfEEEviiiPT1_PKS3_S6_S4_S4_S4_S4_S4_ ; -- Begin function _ZN9rocsparseL29gtsv_spike_block_level_kernelILj256ELj2E21rocsparse_complex_numIfEEEviiiPT1_PKS3_S6_S4_S4_S4_S4_S4_
	.p2align	8
	.type	_ZN9rocsparseL29gtsv_spike_block_level_kernelILj256ELj2E21rocsparse_complex_numIfEEEviiiPT1_PKS3_S6_S4_S4_S4_S4_S4_,@function
_ZN9rocsparseL29gtsv_spike_block_level_kernelILj256ELj2E21rocsparse_complex_numIfEEEviiiPT1_PKS3_S6_S4_S4_S4_S4_S4_: ; @_ZN9rocsparseL29gtsv_spike_block_level_kernelILj256ELj2E21rocsparse_complex_numIfEEEviiiPT1_PKS3_S6_S4_S4_S4_S4_S4_
; %bb.0:
	s_load_dword s21, s[4:5], 0x0
	s_load_dwordx2 s[8:9], s[4:5], 0x18
	v_lshl_or_b32 v1, s6, 8, v0
	v_mov_b32_e32 v4, 0
	v_mov_b32_e32 v2, 0
	s_waitcnt lgkmcnt(0)
	s_lshr_b32 s20, s21, 1
	v_cmp_gt_i32_e64 s[0:1], s20, v1
	v_mov_b32_e32 v3, 0
	s_and_saveexec_b64 s[2:3], s[0:1]
	s_cbranch_execz .LBB184_2
; %bb.1:
	v_ashrrev_i32_e32 v2, 31, v1
	v_lshlrev_b64 v[2:3], 3, v[1:2]
	v_mov_b32_e32 v5, s9
	v_add_co_u32_e32 v2, vcc, s8, v2
	v_addc_co_u32_e32 v3, vcc, v5, v3, vcc
	global_load_dwordx2 v[2:3], v[2:3], off
.LBB184_2:
	s_or_b64 exec, exec, s[2:3]
	s_load_dwordx2 s[2:3], s[4:5], 0x20
	v_lshlrev_b32_e32 v10, 3, v0
	v_or_b32_e32 v11, 0x1000, v10
	s_waitcnt vmcnt(0)
	ds_write_b64 v10, v[2:3] offset:4096
	v_add_u32_e32 v3, s20, v1
	v_mov_b32_e32 v5, 0
	s_and_saveexec_b64 s[10:11], s[0:1]
	s_cbranch_execz .LBB184_4
; %bb.3:
	v_add_u32_e32 v4, s20, v1
	v_mov_b32_e32 v5, 0
	v_lshlrev_b64 v[4:5], 3, v[4:5]
	v_mov_b32_e32 v2, s9
	v_add_co_u32_e32 v4, vcc, s8, v4
	v_addc_co_u32_e32 v5, vcc, v2, v5, vcc
	global_load_dwordx2 v[4:5], v[4:5], off
.LBB184_4:
	s_or_b64 exec, exec, s[10:11]
	s_waitcnt vmcnt(0)
	ds_write_b64 v11, v[4:5] offset:2048
	v_mov_b32_e32 v4, 0
	v_mov_b32_e32 v5, 0
	;; [unrolled: 1-line block ×3, first 2 shown]
	s_and_saveexec_b64 s[8:9], s[0:1]
	s_cbranch_execz .LBB184_6
; %bb.5:
	v_ashrrev_i32_e32 v2, 31, v1
	v_lshlrev_b64 v[5:6], 3, v[1:2]
	s_waitcnt lgkmcnt(0)
	v_mov_b32_e32 v2, s3
	v_add_co_u32_e32 v5, vcc, s2, v5
	v_addc_co_u32_e32 v6, vcc, v2, v6, vcc
	global_load_dwordx2 v[5:6], v[5:6], off
.LBB184_6:
	s_or_b64 exec, exec, s[8:9]
	s_load_dwordx2 s[16:17], s[4:5], 0x10
	s_waitcnt vmcnt(0)
	ds_write_b64 v10, v[5:6]
	v_mov_b32_e32 v5, 0
	s_and_saveexec_b64 s[8:9], s[0:1]
	s_cbranch_execz .LBB184_8
; %bb.7:
	v_add_u32_e32 v4, s20, v1
	v_mov_b32_e32 v5, 0
	v_lshlrev_b64 v[4:5], 3, v[4:5]
	s_waitcnt lgkmcnt(0)
	v_mov_b32_e32 v2, s3
	v_add_co_u32_e32 v4, vcc, s2, v4
	v_addc_co_u32_e32 v5, vcc, v2, v5, vcc
	global_load_dwordx2 v[4:5], v[4:5], off
.LBB184_8:
	s_or_b64 exec, exec, s[8:9]
	s_mul_i32 s21, s21, s7
	s_waitcnt vmcnt(0)
	ds_write_b64 v10, v[4:5] offset:2048
	v_mov_b32_e32 v7, 0
	v_add_u32_e32 v5, s21, v1
	v_mov_b32_e32 v8, 0
	v_mov_b32_e32 v9, 0
	s_waitcnt lgkmcnt(0)
	s_and_saveexec_b64 s[2:3], s[0:1]
	s_cbranch_execz .LBB184_10
; %bb.9:
	v_ashrrev_i32_e32 v6, 31, v5
	v_lshlrev_b64 v[8:9], 3, v[5:6]
	v_mov_b32_e32 v2, s17
	v_add_co_u32_e32 v8, vcc, s16, v8
	v_addc_co_u32_e32 v9, vcc, v2, v9, vcc
	global_load_dwordx2 v[8:9], v[8:9], off
.LBB184_10:
	s_or_b64 exec, exec, s[2:3]
	s_load_dwordx2 s[2:3], s[4:5], 0x48
	s_load_dwordx8 s[8:15], s[4:5], 0x28
	v_or_b32_e32 v12, 0x2000, v10
	s_waitcnt vmcnt(0)
	ds_write_b64 v10, v[8:9] offset:8192
	v_mov_b32_e32 v8, 0
	s_and_saveexec_b64 s[18:19], s[0:1]
	s_cbranch_execz .LBB184_12
; %bb.11:
	s_add_i32 s22, s21, s20
	v_add_u32_e32 v6, s22, v1
	v_mov_b32_e32 v7, 0
	v_lshlrev_b64 v[6:7], 3, v[6:7]
	v_mov_b32_e32 v2, s17
	v_add_co_u32_e32 v6, vcc, s16, v6
	v_addc_co_u32_e32 v7, vcc, v2, v7, vcc
	global_load_dwordx2 v[7:8], v[6:7], off
.LBB184_12:
	s_or_b64 exec, exec, s[18:19]
	s_mov_b32 s22, 2
	s_waitcnt vmcnt(0)
	ds_write_b64 v12, v[7:8] offset:2048
	s_waitcnt lgkmcnt(0)
	s_barrier
	s_branch .LBB184_14
.LBB184_13:                             ;   in Loop: Header=BB184_14 Depth=1
	s_or_b64 exec, exec, s[18:19]
	s_lshl_b32 s18, s22, 1
	s_cmpk_lt_u32 s22, 0x81
	s_mov_b32 s22, s18
	s_waitcnt lgkmcnt(0)
	s_barrier
	s_cbranch_scc0 .LBB184_16
.LBB184_14:                             ; =>This Inner Loop Header: Depth=1
	s_ff1_i32_b32 s18, s22
	s_lshr_b32 s18, 0x100, s18
	v_cmp_gt_u32_e32 vcc, s18, v0
	s_and_saveexec_b64 s[18:19], vcc
	s_cbranch_execz .LBB184_13
; %bb.15:                               ;   in Loop: Header=BB184_14 Depth=1
	v_mul_lo_u32 v2, s22, v0
	s_lshr_b32 s23, s22, 1
	v_add_u32_e32 v4, s23, v2
	v_lshlrev_b32_e32 v25, 3, v4
	v_add_u32_e32 v26, 0x1000, v25
	ds_read2_b64 v[6:9], v25 offset1:255
	ds_read2_b64 v[13:16], v26 offset1:255
	v_add_u32_e32 v31, 0x2000, v25
	v_lshlrev_b32_e32 v2, 3, v2
	ds_read_b64 v[21:22], v2
	v_add_lshl_u32 v4, v4, s23, 3
	s_waitcnt lgkmcnt(1)
	v_mul_f32_e64 v17, v9, -v14
	v_mul_f32_e32 v23, v9, v13
	v_fmac_f32_e32 v17, v13, v8
	v_fmac_f32_e32 v23, v14, v8
	v_sub_f32_e32 v24, 1.0, v17
	v_mul_f32_e64 v27, -v23, -v23
	v_fmac_f32_e32 v27, v24, v24
	v_div_scale_f32 v28, s[24:25], v27, v27, 1.0
	v_div_scale_f32 v29, vcc, 1.0, v27, 1.0
	ds_read2_b64 v[17:20], v31 offset1:255
	v_sub_f32_e32 v23, 0, v23
	v_rcp_f32_e32 v30, v28
	v_fma_f32 v32, -v28, v30, 1.0
	v_fmac_f32_e32 v30, v32, v30
	v_mul_f32_e32 v32, v29, v30
	v_fma_f32 v33, -v28, v32, v29
	v_fmac_f32_e32 v32, v33, v30
	v_fma_f32 v28, -v28, v32, v29
	v_div_fmas_f32 v28, v28, v30, v32
	s_waitcnt lgkmcnt(0)
	v_mul_f32_e64 v29, v18, -v9
	v_mul_f32_e32 v33, v14, v19
	v_mul_f32_e32 v30, v18, v8
	v_mul_f32_e64 v32, v14, -v20
	v_fmac_f32_e32 v29, v8, v17
	v_fmac_f32_e32 v33, v20, v13
	;; [unrolled: 1-line block ×4, first 2 shown]
	v_sub_f32_e32 v29, v19, v29
	v_sub_f32_e32 v33, v18, v33
	v_fma_f32 v18, v24, 0, -v23
	v_sub_f32_e32 v30, v20, v30
	v_sub_f32_e32 v32, v17, v32
	v_fma_f32 v17, 0, v23, v24
	v_div_fixup_f32 v19, v28, v27, 1.0
	v_mul_f32_e32 v28, v18, v19
	v_mul_f32_e32 v27, v17, v19
	v_mul_f32_e64 v17, v28, -v30
	v_mul_f32_e32 v18, v28, v29
	v_mul_f32_e64 v19, v28, -v33
	v_mul_f32_e32 v20, v28, v32
	v_fmac_f32_e32 v17, v29, v27
	v_fmac_f32_e32 v18, v30, v27
	;; [unrolled: 1-line block ×4, first 2 shown]
	ds_write2_b64 v31, v[19:20], v[17:18] offset1:255
	v_mul_f32_e64 v29, v20, -v22
	v_mul_f32_e32 v30, v20, v21
	v_mul_f32_e32 v20, v7, v8
	v_fmac_f32_e32 v29, v21, v19
	v_fmac_f32_e32 v30, v22, v19
	v_mul_f32_e64 v19, v7, -v9
	v_fmac_f32_e32 v20, v9, v6
	v_fmac_f32_e32 v19, v8, v6
	v_mul_f32_e32 v8, v28, v20
	v_mul_f32_e64 v9, v20, -v27
	v_fma_f32 v8, -v27, v19, v8
	v_fma_f32 v9, -v28, v19, v9
	v_mul_f32_e64 v19, v7, -v28
	v_mul_f32_e32 v20, v27, v7
	v_mul_f32_e32 v7, v14, v15
	v_fmac_f32_e32 v19, v27, v6
	v_fmac_f32_e32 v20, v28, v6
	v_mul_f32_e64 v6, v14, -v16
	v_fmac_f32_e32 v7, v16, v13
	ds_read_b64 v[17:18], v2 offset:8192
	ds_read_b64 v[23:24], v4 offset:6136
	ds_write2_b64 v25, v[19:20], v[8:9] offset1:255
	v_fmac_f32_e32 v6, v15, v13
	v_mul_f32_e32 v8, v28, v7
	v_mul_f32_e64 v7, v7, -v27
	v_fma_f32 v13, -v27, v6, v8
	v_fma_f32 v14, -v28, v6, v7
	v_mul_f32_e64 v6, v16, -v28
	v_mul_f32_e32 v7, v27, v16
	v_fmac_f32_e32 v6, v27, v15
	v_fmac_f32_e32 v7, v28, v15
	ds_write2_b64 v26, v[13:14], v[6:7] offset1:255
	ds_read2st64_b64 v[6:9], v2 offset1:8
	s_waitcnt lgkmcnt(4)
	v_sub_f32_e32 v15, v17, v29
	v_sub_f32_e32 v16, v18, v30
	ds_write_b64 v2, v[15:16] offset:8192
	ds_read_b64 v[15:16], v25 offset:10232
	s_waitcnt lgkmcnt(2)
	v_mul_f32_e64 v17, v14, -v7
	v_mul_f32_e32 v14, v14, v6
	v_fmac_f32_e32 v17, v6, v13
	v_fmac_f32_e32 v14, v7, v13
	v_mul_f32_e32 v13, v20, v7
	v_fma_f32 v13, -v6, v19, v13
	v_mul_f32_e64 v6, v20, -v6
	v_sub_f32_e32 v8, v8, v17
	v_sub_f32_e32 v9, v9, v14
	v_fma_f32 v14, -v7, v19, v6
	ds_write2st64_b64 v2, v[13:14], v[8:9] offset1:8
	ds_read_b64 v[6:7], v25 offset:2040
	ds_read_b64 v[8:9], v4 offset:2040
	;; [unrolled: 1-line block ×5, first 2 shown]
	s_waitcnt lgkmcnt(6)
	v_mul_f32_e64 v2, v16, -v24
	v_fmac_f32_e32 v2, v23, v15
	v_mul_f32_e32 v16, v16, v23
	v_fmac_f32_e32 v16, v24, v15
	s_waitcnt lgkmcnt(1)
	v_sub_f32_e32 v15, v17, v2
	s_waitcnt lgkmcnt(0)
	v_mul_f32_e64 v2, v20, -v7
	v_sub_f32_e32 v16, v18, v16
	v_fmac_f32_e32 v2, v6, v19
	ds_write_b64 v4, v[15:16] offset:10232
	v_mul_f32_e32 v15, v20, v6
	v_sub_f32_e32 v6, v8, v2
	v_mul_f32_e32 v2, v20, v14
	v_fmac_f32_e32 v15, v7, v19
	v_fma_f32 v8, -v19, v13, v2
	v_mul_f32_e64 v2, v14, -v19
	v_sub_f32_e32 v7, v9, v15
	v_fma_f32 v9, -v20, v13, v2
	v_add_u32_e32 v2, 0x1f8, v4
	ds_write2st64_b64 v2, v[6:7], v[8:9] offset0:3 offset1:11
	s_branch .LBB184_13
.LBB184_16:
	s_and_saveexec_b64 s[18:19], s[0:1]
	s_cbranch_execnz .LBB184_19
; %bb.17:
	s_or_b64 exec, exec, s[18:19]
	v_cmp_eq_u32_e32 vcc, 0, v0
	s_and_saveexec_b64 s[0:1], vcc
	s_cbranch_execnz .LBB184_23
.LBB184_18:
	s_endpgm
.LBB184_19:
	s_cmp_eq_u32 s7, 0
	s_cbranch_scc1 .LBB184_27
; %bb.20:
	v_add_u32_e32 v2, s20, v1
	s_cbranch_execnz .LBB184_22
.LBB184_21:
	v_ashrrev_i32_e32 v2, 31, v1
	ds_read2st64_b64 v[6:9], v11 offset1:4
	v_lshlrev_b64 v[1:2], 3, v[1:2]
	v_mov_b32_e32 v4, s9
	v_add_co_u32_e32 v13, vcc, s8, v1
	v_addc_co_u32_e32 v14, vcc, v4, v2, vcc
	v_mov_b32_e32 v4, 0
	s_waitcnt lgkmcnt(0)
	global_store_dwordx2 v[13:14], v[6:7], off
	v_lshlrev_b64 v[13:14], 3, v[3:4]
	v_mov_b32_e32 v4, s9
	v_add_co_u32_e32 v6, vcc, s8, v13
	v_addc_co_u32_e32 v7, vcc, v4, v14, vcc
	global_store_dwordx2 v[6:7], v[8:9], off
	ds_read2st64_b64 v[6:9], v10 offset1:4
	v_mov_b32_e32 v4, s11
	v_add_co_u32_e32 v1, vcc, s10, v1
	v_addc_co_u32_e32 v2, vcc, v4, v2, vcc
	s_waitcnt lgkmcnt(0)
	global_store_dwordx2 v[1:2], v[6:7], off
	v_mov_b32_e32 v2, s11
	v_add_co_u32_e32 v1, vcc, s10, v13
	v_addc_co_u32_e32 v2, vcc, v2, v14, vcc
	global_store_dwordx2 v[1:2], v[8:9], off
	v_mov_b32_e32 v2, v3
.LBB184_22:
	v_ashrrev_i32_e32 v6, 31, v5
	v_lshlrev_b64 v[7:8], 3, v[5:6]
	ds_read2st64_b64 v[3:6], v12 offset1:4
	v_mov_b32_e32 v1, s17
	v_add_co_u32_e32 v7, vcc, s16, v7
	v_addc_co_u32_e32 v8, vcc, v1, v8, vcc
	v_add_u32_e32 v1, s21, v2
	v_mov_b32_e32 v2, 0
	v_lshlrev_b64 v[1:2], 3, v[1:2]
	s_waitcnt lgkmcnt(0)
	global_store_dwordx2 v[7:8], v[3:4], off
	v_mov_b32_e32 v3, s17
	v_add_co_u32_e32 v1, vcc, s16, v1
	v_addc_co_u32_e32 v2, vcc, v3, v2, vcc
	global_store_dwordx2 v[1:2], v[5:6], off
	s_or_b64 exec, exec, s[18:19]
	v_cmp_eq_u32_e32 vcc, 0, v0
	s_and_saveexec_b64 s[0:1], vcc
	s_cbranch_execz .LBB184_18
.LBB184_23:
	s_cmp_eq_u32 s7, 0
	s_cbranch_scc1 .LBB184_28
; %bb.24:
	s_load_dword s8, s[4:5], 0x50
	s_cbranch_execnz .LBB184_26
.LBB184_25:
	v_mov_b32_e32 v0, 0xff8
	ds_read2_b64 v[0:3], v0 offset1:1
	s_mov_b32 s0, s7
	s_ashr_i32 s7, s6, 31
	s_waitcnt lgkmcnt(0)
	s_load_dword s8, s[4:5], 0x50
	s_lshl_b64 s[10:11], s[6:7], 3
	s_mov_b32 s7, s0
	s_add_u32 s0, s14, s10
	s_addc_u32 s1, s15, s11
	v_mov_b32_e32 v6, 0
	ds_read_b64 v[4:5], v6
	global_store_dwordx2 v6, v[2:3], s[0:1]
	ds_read_b64 v[2:3], v6 offset:8184
	s_waitcnt lgkmcnt(0)
	s_add_i32 s0, s8, s6
	s_mov_b32 s1, 0
	s_lshl_b64 s[0:1], s[0:1], 3
	s_add_u32 s4, s14, s0
	s_addc_u32 s5, s15, s1
	global_store_dwordx2 v6, v[2:3], s[4:5]
	s_add_u32 s4, s2, s10
	s_addc_u32 s5, s3, s11
	s_add_u32 s0, s2, s0
	s_addc_u32 s1, s3, s1
	global_store_dwordx2 v6, v[4:5], s[4:5]
	global_store_dwordx2 v6, v[0:1], s[0:1]
.LBB184_26:
	s_waitcnt lgkmcnt(0)
	s_mul_i32 s0, s8, s7
	s_lshl_b32 s0, s0, 1
	s_add_i32 s0, s0, s6
	s_mov_b32 s1, 0
	v_mov_b32_e32 v4, 0
	s_lshl_b64 s[2:3], s[0:1], 3
	ds_read_b64 v[0:1], v4 offset:8192
	ds_read_b64 v[2:3], v4 offset:12280
	s_add_u32 s2, s12, s2
	s_addc_u32 s3, s13, s3
	s_add_i32 s0, s0, s8
	s_lshl_b64 s[0:1], s[0:1], 3
	s_add_u32 s0, s12, s0
	s_addc_u32 s1, s13, s1
	s_waitcnt lgkmcnt(1)
	global_store_dwordx2 v4, v[0:1], s[2:3]
	s_waitcnt lgkmcnt(0)
	global_store_dwordx2 v4, v[2:3], s[0:1]
	s_endpgm
.LBB184_27:
                                        ; implicit-def: $vgpr2
	s_branch .LBB184_21
.LBB184_28:
                                        ; implicit-def: $sgpr8
	s_branch .LBB184_25
	.section	.rodata,"a",@progbits
	.p2align	6, 0x0
	.amdhsa_kernel _ZN9rocsparseL29gtsv_spike_block_level_kernelILj256ELj2E21rocsparse_complex_numIfEEEviiiPT1_PKS3_S6_S4_S4_S4_S4_S4_
		.amdhsa_group_segment_fixed_size 12288
		.amdhsa_private_segment_fixed_size 0
		.amdhsa_kernarg_size 336
		.amdhsa_user_sgpr_count 6
		.amdhsa_user_sgpr_private_segment_buffer 1
		.amdhsa_user_sgpr_dispatch_ptr 0
		.amdhsa_user_sgpr_queue_ptr 0
		.amdhsa_user_sgpr_kernarg_segment_ptr 1
		.amdhsa_user_sgpr_dispatch_id 0
		.amdhsa_user_sgpr_flat_scratch_init 0
		.amdhsa_user_sgpr_private_segment_size 0
		.amdhsa_uses_dynamic_stack 0
		.amdhsa_system_sgpr_private_segment_wavefront_offset 0
		.amdhsa_system_sgpr_workgroup_id_x 1
		.amdhsa_system_sgpr_workgroup_id_y 1
		.amdhsa_system_sgpr_workgroup_id_z 0
		.amdhsa_system_sgpr_workgroup_info 0
		.amdhsa_system_vgpr_workitem_id 0
		.amdhsa_next_free_vgpr 41
		.amdhsa_next_free_sgpr 98
		.amdhsa_reserve_vcc 1
		.amdhsa_reserve_flat_scratch 0
		.amdhsa_float_round_mode_32 0
		.amdhsa_float_round_mode_16_64 0
		.amdhsa_float_denorm_mode_32 3
		.amdhsa_float_denorm_mode_16_64 3
		.amdhsa_dx10_clamp 1
		.amdhsa_ieee_mode 1
		.amdhsa_fp16_overflow 0
		.amdhsa_exception_fp_ieee_invalid_op 0
		.amdhsa_exception_fp_denorm_src 0
		.amdhsa_exception_fp_ieee_div_zero 0
		.amdhsa_exception_fp_ieee_overflow 0
		.amdhsa_exception_fp_ieee_underflow 0
		.amdhsa_exception_fp_ieee_inexact 0
		.amdhsa_exception_int_div_zero 0
	.end_amdhsa_kernel
	.section	.text._ZN9rocsparseL29gtsv_spike_block_level_kernelILj256ELj2E21rocsparse_complex_numIfEEEviiiPT1_PKS3_S6_S4_S4_S4_S4_S4_,"axG",@progbits,_ZN9rocsparseL29gtsv_spike_block_level_kernelILj256ELj2E21rocsparse_complex_numIfEEEviiiPT1_PKS3_S6_S4_S4_S4_S4_S4_,comdat
.Lfunc_end184:
	.size	_ZN9rocsparseL29gtsv_spike_block_level_kernelILj256ELj2E21rocsparse_complex_numIfEEEviiiPT1_PKS3_S6_S4_S4_S4_S4_S4_, .Lfunc_end184-_ZN9rocsparseL29gtsv_spike_block_level_kernelILj256ELj2E21rocsparse_complex_numIfEEEviiiPT1_PKS3_S6_S4_S4_S4_S4_S4_
                                        ; -- End function
	.set _ZN9rocsparseL29gtsv_spike_block_level_kernelILj256ELj2E21rocsparse_complex_numIfEEEviiiPT1_PKS3_S6_S4_S4_S4_S4_S4_.num_vgpr, 34
	.set _ZN9rocsparseL29gtsv_spike_block_level_kernelILj256ELj2E21rocsparse_complex_numIfEEEviiiPT1_PKS3_S6_S4_S4_S4_S4_S4_.num_agpr, 0
	.set _ZN9rocsparseL29gtsv_spike_block_level_kernelILj256ELj2E21rocsparse_complex_numIfEEEviiiPT1_PKS3_S6_S4_S4_S4_S4_S4_.numbered_sgpr, 26
	.set _ZN9rocsparseL29gtsv_spike_block_level_kernelILj256ELj2E21rocsparse_complex_numIfEEEviiiPT1_PKS3_S6_S4_S4_S4_S4_S4_.num_named_barrier, 0
	.set _ZN9rocsparseL29gtsv_spike_block_level_kernelILj256ELj2E21rocsparse_complex_numIfEEEviiiPT1_PKS3_S6_S4_S4_S4_S4_S4_.private_seg_size, 0
	.set _ZN9rocsparseL29gtsv_spike_block_level_kernelILj256ELj2E21rocsparse_complex_numIfEEEviiiPT1_PKS3_S6_S4_S4_S4_S4_S4_.uses_vcc, 1
	.set _ZN9rocsparseL29gtsv_spike_block_level_kernelILj256ELj2E21rocsparse_complex_numIfEEEviiiPT1_PKS3_S6_S4_S4_S4_S4_S4_.uses_flat_scratch, 0
	.set _ZN9rocsparseL29gtsv_spike_block_level_kernelILj256ELj2E21rocsparse_complex_numIfEEEviiiPT1_PKS3_S6_S4_S4_S4_S4_S4_.has_dyn_sized_stack, 0
	.set _ZN9rocsparseL29gtsv_spike_block_level_kernelILj256ELj2E21rocsparse_complex_numIfEEEviiiPT1_PKS3_S6_S4_S4_S4_S4_S4_.has_recursion, 0
	.set _ZN9rocsparseL29gtsv_spike_block_level_kernelILj256ELj2E21rocsparse_complex_numIfEEEviiiPT1_PKS3_S6_S4_S4_S4_S4_S4_.has_indirect_call, 0
	.section	.AMDGPU.csdata,"",@progbits
; Kernel info:
; codeLenInByte = 1908
; TotalNumSgprs: 30
; NumVgprs: 34
; ScratchSize: 0
; MemoryBound: 0
; FloatMode: 240
; IeeeMode: 1
; LDSByteSize: 12288 bytes/workgroup (compile time only)
; SGPRBlocks: 12
; VGPRBlocks: 10
; NumSGPRsForWavesPerEU: 102
; NumVGPRsForWavesPerEU: 41
; Occupancy: 5
; WaveLimiterHint : 0
; COMPUTE_PGM_RSRC2:SCRATCH_EN: 0
; COMPUTE_PGM_RSRC2:USER_SGPR: 6
; COMPUTE_PGM_RSRC2:TRAP_HANDLER: 0
; COMPUTE_PGM_RSRC2:TGID_X_EN: 1
; COMPUTE_PGM_RSRC2:TGID_Y_EN: 1
; COMPUTE_PGM_RSRC2:TGID_Z_EN: 0
; COMPUTE_PGM_RSRC2:TIDIG_COMP_CNT: 0
	.section	.text._ZN9rocsparseL34gtsv_solve_spike_grid_level_kernelILj2E21rocsparse_complex_numIfEEEviiiPT0_PKS3_S6_,"axG",@progbits,_ZN9rocsparseL34gtsv_solve_spike_grid_level_kernelILj2E21rocsparse_complex_numIfEEEviiiPT0_PKS3_S6_,comdat
	.globl	_ZN9rocsparseL34gtsv_solve_spike_grid_level_kernelILj2E21rocsparse_complex_numIfEEEviiiPT0_PKS3_S6_ ; -- Begin function _ZN9rocsparseL34gtsv_solve_spike_grid_level_kernelILj2E21rocsparse_complex_numIfEEEviiiPT0_PKS3_S6_
	.p2align	8
	.type	_ZN9rocsparseL34gtsv_solve_spike_grid_level_kernelILj2E21rocsparse_complex_numIfEEEviiiPT0_PKS3_S6_,@function
_ZN9rocsparseL34gtsv_solve_spike_grid_level_kernelILj2E21rocsparse_complex_numIfEEEviiiPT0_PKS3_S6_: ; @_ZN9rocsparseL34gtsv_solve_spike_grid_level_kernelILj2E21rocsparse_complex_numIfEEEviiiPT0_PKS3_S6_
; %bb.0:
	s_load_dwordx4 s[0:3], s[4:5], 0x10
	s_load_dwordx2 s[8:9], s[4:5], 0x20
	v_lshl_or_b32 v3, s7, 2, v0
	v_mov_b32_e32 v4, 0
	v_lshlrev_b64 v[1:2], 3, v[3:4]
	v_or_b32_e32 v3, 2, v3
	s_waitcnt lgkmcnt(0)
	v_mov_b32_e32 v15, s1
	v_add_co_u32_e32 v1, vcc, s0, v1
	v_lshlrev_b64 v[5:6], 3, v[3:4]
	v_addc_co_u32_e32 v2, vcc, v15, v2, vcc
	v_lshlrev_b32_e32 v19, 3, v0
	v_add_co_u32_e32 v5, vcc, s0, v5
	global_load_dwordx2 v[7:8], v19, s[2:3]
	global_load_dwordx2 v[9:10], v19, s[2:3] offset:16
	global_load_dwordx2 v[11:12], v19, s[8:9]
	global_load_dwordx2 v[13:14], v19, s[8:9] offset:16
	v_addc_co_u32_e32 v6, vcc, v15, v6, vcc
	global_load_dwordx2 v[15:16], v[1:2], off
	global_load_dwordx2 v[17:18], v[5:6], off
	v_or_b32_e32 v3, 64, v19
	v_cmp_eq_u32_e32 vcc, 0, v0
	s_waitcnt vmcnt(4)
	ds_write2_b64 v19, v[7:8], v[9:10] offset0:4 offset1:6
	s_waitcnt vmcnt(2)
	ds_write2_b64 v19, v[11:12], v[13:14] offset1:2
	s_waitcnt vmcnt(0)
	ds_write2_b64 v19, v[15:16], v[17:18] offset0:8 offset1:10
	s_waitcnt lgkmcnt(0)
	; wave barrier
	s_and_saveexec_b64 s[0:1], vcc
	s_cbranch_execz .LBB185_2
; %bb.1:
	ds_read_b128 v[7:10], v4 offset:32
	ds_read2_b64 v[11:14], v4 offset0:1 offset1:2
	s_waitcnt lgkmcnt(0)
	v_mul_f32_e64 v0, v14, -v10
	v_mul_f32_e32 v25, v14, v9
	v_fmac_f32_e32 v0, v9, v13
	v_fmac_f32_e32 v25, v10, v13
	v_sub_f32_e32 v0, 1.0, v0
	v_mul_f32_e64 v26, -v25, -v25
	v_fmac_f32_e32 v26, v0, v0
	v_div_scale_f32 v13, s[2:3], v26, v26, 1.0
	v_div_scale_f32 v14, vcc, 1.0, v26, 1.0
	v_sub_f32_e32 v25, 0, v25
	v_rcp_f32_e32 v15, v13
	v_fma_f32 v16, -v13, v15, 1.0
	v_fmac_f32_e32 v15, v16, v15
	v_mul_f32_e32 v16, v14, v15
	v_fma_f32 v17, -v13, v16, v14
	v_fmac_f32_e32 v16, v17, v15
	v_fma_f32 v13, -v13, v16, v14
	v_div_fmas_f32 v27, v13, v15, v16
	ds_read_b128 v[13:16], v4 offset:80
	ds_read2_b64 v[17:20], v4 offset0:8 offset1:9
	ds_read2_b64 v[21:24], v4 offset1:2
	s_waitcnt lgkmcnt(2)
	v_mul_f32_e64 v28, v10, -v14
	v_fmac_f32_e32 v28, v13, v9
	v_mul_f32_e32 v29, v10, v13
	s_waitcnt lgkmcnt(1)
	v_sub_f32_e32 v32, v19, v28
	v_fma_f32 v28, 0, v25, v0
	v_fma_f32 v0, v0, 0, -v25
	v_fmac_f32_e32 v29, v14, v9
	s_waitcnt lgkmcnt(0)
	v_mul_f32_e64 v30, v20, -v24
	v_mul_f32_e32 v31, v20, v23
	v_sub_f32_e32 v20, v20, v29
	v_fmac_f32_e32 v30, v23, v19
	v_fmac_f32_e32 v31, v24, v19
	v_div_fixup_f32 v25, v27, v26, 1.0
	v_mul_f32_e32 v0, v0, v25
	v_mul_f32_e32 v35, v28, v25
	;; [unrolled: 1-line block ×3, first 2 shown]
	v_mul_f32_e64 v27, v0, -v20
	v_fmac_f32_e32 v28, v20, v35
	v_fmac_f32_e32 v27, v32, v35
	v_sub_f32_e32 v19, v13, v30
	v_mul_f32_e64 v13, v28, -v22
	v_fmac_f32_e32 v13, v21, v27
	v_sub_f32_e32 v25, v17, v13
	v_mul_f32_e32 v13, v28, v21
	v_sub_f32_e32 v30, v14, v31
	v_fmac_f32_e32 v13, v22, v27
	v_mul_f32_e32 v17, v12, v23
	v_mul_f32_e64 v29, v12, -v24
	v_sub_f32_e32 v26, v18, v13
	v_mul_f32_e64 v13, v0, -v30
	v_fmac_f32_e32 v17, v24, v11
	v_mul_f32_e32 v14, v0, v19
	v_fmac_f32_e32 v13, v19, v35
	v_fmac_f32_e32 v29, v23, v11
	v_mul_f32_e32 v18, v0, v17
	v_mul_f32_e64 v19, v17, -v35
	v_fma_f32 v17, -v35, v29, v18
	v_fma_f32 v18, -v0, v29, v19
	ds_write_b64 v4, v[17:18] offset:16
	v_fmac_f32_e32 v14, v30, v35
	ds_read_b128 v[17:20], v4 offset:48
	ds_read_b128 v[29:32], v4 offset:16
	s_waitcnt lgkmcnt(1)
	v_mul_f32_e64 v23, v14, -v20
	v_fmac_f32_e32 v23, v19, v13
	v_mul_f32_e64 v24, v10, -v18
	v_mul_f32_e32 v10, v10, v17
	v_sub_f32_e32 v15, v15, v23
	v_mul_f32_e32 v23, v14, v19
	v_fmac_f32_e32 v10, v18, v9
	v_fmac_f32_e32 v23, v20, v13
	;; [unrolled: 1-line block ×3, first 2 shown]
	v_mul_f32_e32 v9, v0, v10
	v_mul_f32_e64 v10, v10, -v35
	v_sub_f32_e32 v16, v16, v23
	v_fma_f32 v23, -v35, v24, v9
	v_fma_f32 v24, -v0, v24, v10
	v_mul_f32_e32 v10, v24, v21
	v_mul_f32_e64 v9, v24, -v22
	v_fmac_f32_e32 v10, v22, v23
	v_fmac_f32_e32 v9, v21, v23
	v_sub_f32_e32 v34, v8, v10
	v_mul_f32_e32 v10, v35, v12
	v_sub_f32_e32 v33, v7, v9
	v_mul_f32_e64 v9, v12, -v0
	v_fmac_f32_e32 v10, v0, v11
	v_fmac_f32_e32 v9, v35, v11
	v_mul_f32_e64 v8, v10, -v21
	v_mul_f32_e64 v11, v18, -v0
	v_mul_f32_e32 v12, v35, v18
	v_mul_f32_e32 v7, v22, v10
	v_fma_f32 v8, -v22, v9, v8
	v_fmac_f32_e32 v11, v35, v17
	v_fmac_f32_e32 v12, v0, v17
	v_fma_f32 v7, -v21, v9, v7
	ds_write_b128 v4, v[25:28] offset:64
	ds_write_b128 v4, v[13:16] offset:80
	ds_write2_b64 v4, v[23:24], v[11:12] offset0:5 offset1:6
	ds_write_b128 v4, v[7:10]
	s_waitcnt lgkmcnt(4)
	v_mul_f32_e64 v0, v20, -v30
	v_mul_f32_e32 v8, v20, v29
	v_fmac_f32_e32 v0, v29, v19
	v_fmac_f32_e32 v8, v30, v19
	v_sub_f32_e32 v7, v31, v0
	v_sub_f32_e32 v8, v32, v8
	v_mul_f32_e32 v0, v12, v20
	ds_write2_b64 v4, v[7:8], v[33:34] offset0:3 offset1:4
	v_fma_f32 v7, -v19, v11, v0
	v_mul_f32_e64 v0, v12, -v19
	v_fma_f32 v8, -v20, v11, v0
	ds_write_b64 v4, v[7:8] offset:56
.LBB185_2:
	s_or_b64 exec, exec, s[0:1]
	s_waitcnt lgkmcnt(0)
	; wave barrier
	ds_read2_b64 v[7:10], v3 offset1:2
	s_waitcnt lgkmcnt(0)
	global_store_dwordx2 v[1:2], v[7:8], off
	global_store_dwordx2 v[5:6], v[9:10], off
	s_endpgm
	.section	.rodata,"a",@progbits
	.p2align	6, 0x0
	.amdhsa_kernel _ZN9rocsparseL34gtsv_solve_spike_grid_level_kernelILj2E21rocsparse_complex_numIfEEEviiiPT0_PKS3_S6_
		.amdhsa_group_segment_fixed_size 96
		.amdhsa_private_segment_fixed_size 0
		.amdhsa_kernarg_size 40
		.amdhsa_user_sgpr_count 6
		.amdhsa_user_sgpr_private_segment_buffer 1
		.amdhsa_user_sgpr_dispatch_ptr 0
		.amdhsa_user_sgpr_queue_ptr 0
		.amdhsa_user_sgpr_kernarg_segment_ptr 1
		.amdhsa_user_sgpr_dispatch_id 0
		.amdhsa_user_sgpr_flat_scratch_init 0
		.amdhsa_user_sgpr_private_segment_size 0
		.amdhsa_uses_dynamic_stack 0
		.amdhsa_system_sgpr_private_segment_wavefront_offset 0
		.amdhsa_system_sgpr_workgroup_id_x 1
		.amdhsa_system_sgpr_workgroup_id_y 1
		.amdhsa_system_sgpr_workgroup_id_z 0
		.amdhsa_system_sgpr_workgroup_info 0
		.amdhsa_system_vgpr_workitem_id 0
		.amdhsa_next_free_vgpr 36
		.amdhsa_next_free_sgpr 10
		.amdhsa_reserve_vcc 1
		.amdhsa_reserve_flat_scratch 0
		.amdhsa_float_round_mode_32 0
		.amdhsa_float_round_mode_16_64 0
		.amdhsa_float_denorm_mode_32 3
		.amdhsa_float_denorm_mode_16_64 3
		.amdhsa_dx10_clamp 1
		.amdhsa_ieee_mode 1
		.amdhsa_fp16_overflow 0
		.amdhsa_exception_fp_ieee_invalid_op 0
		.amdhsa_exception_fp_denorm_src 0
		.amdhsa_exception_fp_ieee_div_zero 0
		.amdhsa_exception_fp_ieee_overflow 0
		.amdhsa_exception_fp_ieee_underflow 0
		.amdhsa_exception_fp_ieee_inexact 0
		.amdhsa_exception_int_div_zero 0
	.end_amdhsa_kernel
	.section	.text._ZN9rocsparseL34gtsv_solve_spike_grid_level_kernelILj2E21rocsparse_complex_numIfEEEviiiPT0_PKS3_S6_,"axG",@progbits,_ZN9rocsparseL34gtsv_solve_spike_grid_level_kernelILj2E21rocsparse_complex_numIfEEEviiiPT0_PKS3_S6_,comdat
.Lfunc_end185:
	.size	_ZN9rocsparseL34gtsv_solve_spike_grid_level_kernelILj2E21rocsparse_complex_numIfEEEviiiPT0_PKS3_S6_, .Lfunc_end185-_ZN9rocsparseL34gtsv_solve_spike_grid_level_kernelILj2E21rocsparse_complex_numIfEEEviiiPT0_PKS3_S6_
                                        ; -- End function
	.set _ZN9rocsparseL34gtsv_solve_spike_grid_level_kernelILj2E21rocsparse_complex_numIfEEEviiiPT0_PKS3_S6_.num_vgpr, 36
	.set _ZN9rocsparseL34gtsv_solve_spike_grid_level_kernelILj2E21rocsparse_complex_numIfEEEviiiPT0_PKS3_S6_.num_agpr, 0
	.set _ZN9rocsparseL34gtsv_solve_spike_grid_level_kernelILj2E21rocsparse_complex_numIfEEEviiiPT0_PKS3_S6_.numbered_sgpr, 10
	.set _ZN9rocsparseL34gtsv_solve_spike_grid_level_kernelILj2E21rocsparse_complex_numIfEEEviiiPT0_PKS3_S6_.num_named_barrier, 0
	.set _ZN9rocsparseL34gtsv_solve_spike_grid_level_kernelILj2E21rocsparse_complex_numIfEEEviiiPT0_PKS3_S6_.private_seg_size, 0
	.set _ZN9rocsparseL34gtsv_solve_spike_grid_level_kernelILj2E21rocsparse_complex_numIfEEEviiiPT0_PKS3_S6_.uses_vcc, 1
	.set _ZN9rocsparseL34gtsv_solve_spike_grid_level_kernelILj2E21rocsparse_complex_numIfEEEviiiPT0_PKS3_S6_.uses_flat_scratch, 0
	.set _ZN9rocsparseL34gtsv_solve_spike_grid_level_kernelILj2E21rocsparse_complex_numIfEEEviiiPT0_PKS3_S6_.has_dyn_sized_stack, 0
	.set _ZN9rocsparseL34gtsv_solve_spike_grid_level_kernelILj2E21rocsparse_complex_numIfEEEviiiPT0_PKS3_S6_.has_recursion, 0
	.set _ZN9rocsparseL34gtsv_solve_spike_grid_level_kernelILj2E21rocsparse_complex_numIfEEEviiiPT0_PKS3_S6_.has_indirect_call, 0
	.section	.AMDGPU.csdata,"",@progbits
; Kernel info:
; codeLenInByte = 892
; TotalNumSgprs: 14
; NumVgprs: 36
; ScratchSize: 0
; MemoryBound: 0
; FloatMode: 240
; IeeeMode: 1
; LDSByteSize: 96 bytes/workgroup (compile time only)
; SGPRBlocks: 1
; VGPRBlocks: 8
; NumSGPRsForWavesPerEU: 14
; NumVGPRsForWavesPerEU: 36
; Occupancy: 7
; WaveLimiterHint : 0
; COMPUTE_PGM_RSRC2:SCRATCH_EN: 0
; COMPUTE_PGM_RSRC2:USER_SGPR: 6
; COMPUTE_PGM_RSRC2:TRAP_HANDLER: 0
; COMPUTE_PGM_RSRC2:TGID_X_EN: 1
; COMPUTE_PGM_RSRC2:TGID_Y_EN: 1
; COMPUTE_PGM_RSRC2:TGID_Z_EN: 0
; COMPUTE_PGM_RSRC2:TIDIG_COMP_CNT: 0
	.section	.text._ZN9rocsparseL34gtsv_solve_spike_grid_level_kernelILj4E21rocsparse_complex_numIfEEEviiiPT0_PKS3_S6_,"axG",@progbits,_ZN9rocsparseL34gtsv_solve_spike_grid_level_kernelILj4E21rocsparse_complex_numIfEEEviiiPT0_PKS3_S6_,comdat
	.globl	_ZN9rocsparseL34gtsv_solve_spike_grid_level_kernelILj4E21rocsparse_complex_numIfEEEviiiPT0_PKS3_S6_ ; -- Begin function _ZN9rocsparseL34gtsv_solve_spike_grid_level_kernelILj4E21rocsparse_complex_numIfEEEviiiPT0_PKS3_S6_
	.p2align	8
	.type	_ZN9rocsparseL34gtsv_solve_spike_grid_level_kernelILj4E21rocsparse_complex_numIfEEEviiiPT0_PKS3_S6_,@function
_ZN9rocsparseL34gtsv_solve_spike_grid_level_kernelILj4E21rocsparse_complex_numIfEEEviiiPT0_PKS3_S6_: ; @_ZN9rocsparseL34gtsv_solve_spike_grid_level_kernelILj4E21rocsparse_complex_numIfEEEviiiPT0_PKS3_S6_
; %bb.0:
	s_load_dwordx4 s[0:3], s[4:5], 0x10
	s_load_dwordx2 s[8:9], s[4:5], 0x20
	v_lshl_or_b32 v3, s7, 3, v0
	v_mov_b32_e32 v4, 0
	v_lshlrev_b64 v[1:2], 3, v[3:4]
	v_or_b32_e32 v3, 4, v3
	s_waitcnt lgkmcnt(0)
	v_mov_b32_e32 v5, s1
	v_add_co_u32_e32 v1, vcc, s0, v1
	v_lshlrev_b64 v[3:4], 3, v[3:4]
	v_addc_co_u32_e32 v2, vcc, v5, v2, vcc
	v_lshlrev_b32_e32 v6, 3, v0
	v_add_co_u32_e32 v3, vcc, s0, v3
	global_load_dwordx2 v[7:8], v6, s[2:3]
	global_load_dwordx2 v[9:10], v6, s[2:3] offset:32
	global_load_dwordx2 v[11:12], v6, s[8:9]
	global_load_dwordx2 v[13:14], v6, s[8:9] offset:32
	v_addc_co_u32_e32 v4, vcc, v5, v4, vcc
	global_load_dwordx2 v[15:16], v[1:2], off
	global_load_dwordx2 v[17:18], v[3:4], off
	v_or_b32_e32 v5, 0x80, v6
	v_cmp_gt_u32_e64 s[0:1], 2, v0
	s_waitcnt vmcnt(4)
	ds_write2_b64 v6, v[7:8], v[9:10] offset0:8 offset1:12
	s_waitcnt vmcnt(2)
	ds_write2_b64 v6, v[11:12], v[13:14] offset1:4
	s_waitcnt vmcnt(0)
	ds_write2_b64 v6, v[15:16], v[17:18] offset0:16 offset1:20
	s_waitcnt lgkmcnt(0)
	; wave barrier
	s_and_saveexec_b64 s[2:3], s[0:1]
	s_cbranch_execz .LBB186_2
; %bb.1:
	v_or_b32_e32 v7, 64, v6
	v_add_u32_e32 v29, v7, v6
	v_add_u32_e32 v30, v6, v6
	ds_read_b128 v[7:10], v29
	ds_read_b64 v[27:28], v30 offset:32
	ds_read2_b64 v[11:14], v30 offset1:1
	ds_read_b128 v[15:18], v29 offset:32
	v_add_u32_e32 v6, v5, v6
	s_waitcnt lgkmcnt(2)
	v_mul_f32_e64 v19, v28, -v10
	v_mul_f32_e32 v31, v28, v9
	v_fmac_f32_e32 v19, v9, v27
	v_fmac_f32_e32 v31, v10, v27
	v_sub_f32_e32 v32, 1.0, v19
	v_mul_f32_e64 v33, -v31, -v31
	v_fmac_f32_e32 v33, v32, v32
	v_div_scale_f32 v34, s[4:5], v33, v33, 1.0
	v_div_scale_f32 v35, vcc, 1.0, v33, 1.0
	ds_read_b128 v[19:22], v6 offset:32
	ds_read2_b64 v[23:26], v6 offset1:1
	v_rcp_f32_e32 v36, v34
	v_fma_f32 v37, -v34, v36, 1.0
	v_fmac_f32_e32 v36, v37, v36
	v_mul_f32_e32 v37, v35, v36
	v_fma_f32 v38, -v34, v37, v35
	v_fmac_f32_e32 v37, v38, v36
	v_fma_f32 v34, -v34, v37, v35
	v_div_fmas_f32 v34, v34, v36, v37
	s_waitcnt lgkmcnt(0)
	v_mul_f32_e64 v35, v26, -v28
	v_mul_f32_e32 v36, v26, v27
	v_mul_f32_e64 v37, v10, -v20
	v_mul_f32_e32 v38, v10, v19
	v_fmac_f32_e32 v35, v27, v25
	v_fmac_f32_e32 v36, v28, v25
	;; [unrolled: 1-line block ×4, first 2 shown]
	v_sub_f32_e32 v35, v19, v35
	v_sub_f32_e32 v19, 0, v31
	;; [unrolled: 1-line block ×5, first 2 shown]
	v_fma_f32 v25, 0, v19, v32
	v_fma_f32 v19, v32, 0, -v19
	v_div_fixup_f32 v26, v34, v33, 1.0
	v_mul_f32_e32 v33, v19, v26
	v_mul_f32_e32 v32, v25, v26
	;; [unrolled: 1-line block ×3, first 2 shown]
	v_mul_f32_e64 v25, v33, -v31
	v_fmac_f32_e32 v26, v31, v32
	v_fmac_f32_e32 v25, v20, v32
	v_mul_f32_e32 v20, v26, v11
	v_mul_f32_e64 v19, v26, -v12
	v_fmac_f32_e32 v20, v12, v25
	v_fmac_f32_e32 v19, v11, v25
	v_sub_f32_e32 v24, v24, v20
	v_mul_f32_e32 v20, v33, v35
	v_sub_f32_e32 v23, v23, v19
	v_mul_f32_e64 v19, v33, -v36
	v_fmac_f32_e32 v20, v36, v32
	v_fmac_f32_e32 v19, v35, v32
	v_mul_f32_e64 v31, v20, -v18
	v_fmac_f32_e32 v31, v17, v19
	v_sub_f32_e32 v21, v21, v31
	v_mul_f32_e32 v31, v20, v17
	v_fmac_f32_e32 v31, v18, v19
	v_sub_f32_e32 v22, v22, v31
	ds_write_b128 v6, v[23:26]
	ds_write_b128 v6, v[19:22] offset:32
	v_mul_f32_e64 v6, v10, -v16
	v_mul_f32_e32 v10, v10, v15
	v_fmac_f32_e32 v10, v16, v9
	v_fmac_f32_e32 v6, v15, v9
	v_mul_f32_e32 v9, v33, v10
	v_mul_f32_e64 v10, v10, -v32
	v_fma_f32 v10, -v33, v6, v10
	v_fma_f32 v9, -v32, v6, v9
	v_mul_f32_e64 v6, v10, -v12
	v_fmac_f32_e32 v6, v11, v9
	v_sub_f32_e32 v7, v7, v6
	v_mul_f32_e32 v6, v10, v11
	v_fmac_f32_e32 v6, v12, v9
	v_mul_f32_e32 v22, v32, v14
	v_sub_f32_e32 v8, v8, v6
	v_mul_f32_e64 v6, v14, -v28
	v_mul_f32_e32 v23, v14, v27
	v_mul_f32_e64 v21, v14, -v33
	v_fmac_f32_e32 v22, v33, v13
	v_fmac_f32_e32 v6, v27, v13
	;; [unrolled: 1-line block ×4, first 2 shown]
	v_mul_f32_e32 v13, v22, v12
	v_fma_f32 v19, -v11, v21, v13
	v_mul_f32_e64 v11, v22, -v11
	v_fma_f32 v20, -v12, v21, v11
	v_mul_f32_e32 v11, v33, v23
	v_mul_f32_e64 v12, v23, -v32
	v_fma_f32 v11, -v32, v6, v11
	v_fma_f32 v12, -v33, v6, v12
	ds_write_b64 v30, v[11:12] offset:32
	ds_read_b128 v[23:26], v30 offset:32
	ds_write_b128 v29, v[7:10]
	v_mul_f32_e32 v12, v32, v16
	v_mul_f32_e64 v11, v16, -v33
	v_fmac_f32_e32 v12, v33, v15
	s_waitcnt lgkmcnt(1)
	v_mul_f32_e64 v6, v18, -v24
	v_mul_f32_e32 v7, v18, v23
	v_fmac_f32_e32 v6, v23, v17
	v_fmac_f32_e32 v7, v24, v17
	v_sub_f32_e32 v6, v25, v6
	v_sub_f32_e32 v7, v26, v7
	v_fmac_f32_e32 v11, v32, v15
	ds_write_b64 v30, v[6:7] offset:40
	v_mul_f32_e32 v6, v18, v12
	v_fma_f32 v13, -v17, v11, v6
	v_mul_f32_e64 v6, v12, -v17
	v_fma_f32 v14, -v18, v11, v6
	ds_write_b128 v30, v[19:22]
	ds_write_b128 v29, v[11:14] offset:32
.LBB186_2:
	s_or_b64 exec, exec, s[2:3]
	v_cmp_eq_u32_e64 s[2:3], 0, v0
	s_waitcnt lgkmcnt(0)
	; wave barrier
	s_and_saveexec_b64 s[4:5], s[2:3]
	s_cbranch_execz .LBB186_4
; %bb.3:
	v_mov_b32_e32 v30, 0
	ds_read2_b64 v[6:9], v30 offset0:8 offset1:10
	ds_read2_b64 v[10:13], v30 offset0:5 offset1:7
	s_waitcnt lgkmcnt(0)
	v_mul_f32_e64 v14, v11, -v9
	v_mul_f32_e32 v22, v11, v8
	v_fmac_f32_e32 v14, v8, v10
	v_fmac_f32_e32 v22, v9, v10
	v_sub_f32_e32 v23, 1.0, v14
	v_mul_f32_e64 v24, -v22, -v22
	v_fmac_f32_e32 v24, v23, v23
	v_div_scale_f32 v14, s[6:7], v24, v24, 1.0
	v_div_scale_f32 v15, vcc, 1.0, v24, 1.0
	v_sub_f32_e32 v22, 0, v22
	v_rcp_f32_e32 v16, v14
	v_fma_f32 v17, -v14, v16, 1.0
	v_fmac_f32_e32 v16, v17, v16
	v_mul_f32_e32 v17, v15, v16
	v_fma_f32 v18, -v14, v17, v15
	v_fmac_f32_e32 v17, v18, v16
	v_fma_f32 v14, -v14, v17, v15
	v_div_fmas_f32 v25, v14, v16, v17
	ds_read2_b64 v[14:17], v30 offset0:13 offset1:18
	ds_read2_b64 v[18:21], v30 offset0:21 offset1:23
	s_waitcnt lgkmcnt(1)
	v_mul_f32_e64 v26, v17, -v11
	v_fmac_f32_e32 v26, v10, v16
	s_waitcnt lgkmcnt(0)
	v_sub_f32_e32 v28, v18, v26
	v_fma_f32 v26, 0, v22, v23
	v_fma_f32 v22, v23, 0, -v22
	v_mul_f32_e32 v27, v17, v10
	v_fmac_f32_e32 v27, v11, v16
	v_sub_f32_e32 v29, v19, v27
	v_mul_f32_e64 v33, v9, -v19
	v_fmac_f32_e32 v33, v18, v8
	v_mul_f32_e32 v34, v9, v18
	v_div_fixup_f32 v23, v25, v24, 1.0
	v_mul_f32_e32 v31, v26, v23
	v_mul_f32_e32 v32, v22, v23
	ds_read2_b64 v[22:25], v30 offset0:15 offset1:16
	v_mul_f32_e32 v27, v32, v28
	v_mul_f32_e64 v26, v32, -v29
	v_fmac_f32_e32 v27, v29, v31
	v_mul_f32_e64 v18, v9, -v15
	v_mul_f32_e32 v9, v9, v14
	v_fmac_f32_e32 v26, v28, v31
	s_waitcnt lgkmcnt(0)
	v_mul_f32_e64 v28, v27, -v23
	v_mul_f32_e32 v29, v27, v22
	v_fmac_f32_e32 v9, v15, v8
	v_fmac_f32_e32 v28, v22, v26
	v_fmac_f32_e32 v29, v23, v26
	v_fmac_f32_e32 v34, v19, v8
	v_fmac_f32_e32 v18, v14, v8
	v_mul_f32_e32 v8, v32, v9
	v_mul_f32_e64 v9, v9, -v31
	v_sub_f32_e32 v28, v20, v28
	v_sub_f32_e32 v29, v21, v29
	v_fma_f32 v8, -v31, v18, v8
	v_fma_f32 v9, -v32, v18, v9
	ds_read2_b64 v[18:21], v30 offset1:2
	v_sub_f32_e32 v33, v16, v33
	v_sub_f32_e32 v34, v17, v34
	v_mul_f32_e32 v17, v32, v33
	v_mul_f32_e64 v16, v32, -v34
	v_fmac_f32_e32 v17, v34, v31
	v_fmac_f32_e32 v16, v33, v31
	s_waitcnt lgkmcnt(0)
	v_mul_f32_e64 v33, v17, -v19
	v_mul_f32_e32 v34, v17, v18
	v_fmac_f32_e32 v33, v18, v16
	v_fmac_f32_e32 v34, v19, v16
	v_sub_f32_e32 v24, v24, v33
	v_sub_f32_e32 v25, v25, v34
	ds_write2_b64 v30, v[24:25], v[16:17] offset0:16 offset1:18
	ds_write2_b64 v30, v[26:27], v[28:29] offset0:21 offset1:23
	v_mul_f32_e64 v16, v15, -v32
	v_mul_f32_e32 v17, v31, v15
	v_mul_f32_e32 v15, v21, v10
	v_fmac_f32_e32 v16, v31, v14
	v_fmac_f32_e32 v17, v32, v14
	v_mul_f32_e64 v14, v21, -v11
	v_fmac_f32_e32 v15, v11, v20
	v_fmac_f32_e32 v14, v10, v20
	v_mul_f32_e32 v10, v32, v15
	v_mul_f32_e64 v11, v15, -v31
	v_mul_f32_e32 v15, v31, v21
	v_mul_f32_e64 v35, v9, -v19
	v_mul_f32_e32 v36, v9, v18
	v_fma_f32 v10, -v31, v14, v10
	v_fma_f32 v11, -v32, v14, v11
	v_mul_f32_e64 v14, v21, -v32
	v_fmac_f32_e32 v15, v32, v20
	v_fmac_f32_e32 v35, v18, v8
	v_fmac_f32_e32 v36, v19, v8
	v_fmac_f32_e32 v14, v31, v20
	ds_write2_b64 v30, v[10:11], v[8:9] offset0:5 offset1:10
	v_mul_f32_e32 v8, v15, v19
	v_mul_f32_e64 v9, v15, -v18
	v_fma_f32 v8, -v18, v14, v8
	v_fma_f32 v9, -v19, v14, v9
	ds_write2_b64 v30, v[8:9], v[14:15] offset1:2
	v_mul_f32_e64 v8, v23, -v11
	v_mul_f32_e32 v9, v23, v10
	v_fmac_f32_e32 v8, v10, v22
	v_fmac_f32_e32 v9, v11, v22
	v_sub_f32_e32 v6, v6, v35
	v_sub_f32_e32 v7, v7, v36
	;; [unrolled: 1-line block ×4, first 2 shown]
	ds_write2_b64 v30, v[8:9], v[6:7] offset0:7 offset1:8
	v_mul_f32_e32 v6, v23, v17
	v_mul_f32_e64 v7, v17, -v22
	v_fma_f32 v6, -v22, v16, v6
	v_fma_f32 v7, -v23, v16, v7
	ds_write2_b64 v30, v[16:17], v[6:7] offset0:13 offset1:15
.LBB186_4:
	s_or_b64 exec, exec, s[4:5]
	s_waitcnt lgkmcnt(0)
	; wave barrier
	s_and_saveexec_b64 s[4:5], s[0:1]
	s_cbranch_execz .LBB186_6
; %bb.5:
	v_lshlrev_b32_e32 v6, 1, v0
	v_lshlrev_b32_e32 v0, 4, v0
	v_max_u32_e32 v6, 1, v6
	v_lshlrev_b32_e32 v22, 3, v6
	ds_read2_b64 v[6:9], v0 offset0:9 offset1:12
	ds_read_b64 v[18:19], v22 offset:152
	v_mov_b32_e32 v10, 0x98
	v_mov_b32_e32 v11, 0x90
	v_cndmask_b32_e64 v23, v10, v11, s[2:3]
	ds_read_b64 v[20:21], v23
	ds_read2_b64 v[10:13], v0 offset0:17 offset1:20
	ds_read2_b64 v[14:17], v0 offset0:1 offset1:4
	s_waitcnt lgkmcnt(3)
	v_mul_f32_e64 v24, v19, -v9
	v_fmac_f32_e32 v24, v8, v18
	v_mul_f32_e32 v8, v19, v8
	v_fmac_f32_e32 v8, v9, v18
	s_waitcnt lgkmcnt(1)
	v_sub_f32_e32 v9, v12, v24
	v_sub_f32_e32 v12, v13, v8
	s_waitcnt lgkmcnt(0)
	v_mul_f32_e64 v8, v21, -v17
	v_mul_f32_e32 v13, v21, v16
	v_fmac_f32_e32 v8, v16, v20
	v_fmac_f32_e32 v13, v17, v20
	v_sub_f32_e32 v8, v9, v8
	v_sub_f32_e32 v9, v12, v13
	ds_write_b64 v0, v[8:9] offset:160
	ds_read_b64 v[8:9], v22 offset:152
	s_waitcnt lgkmcnt(0)
	v_mul_f32_e64 v12, v9, -v7
	v_mul_f32_e32 v9, v9, v6
	v_fmac_f32_e32 v12, v6, v8
	v_fmac_f32_e32 v9, v7, v8
	v_sub_f32_e32 v6, v10, v12
	v_sub_f32_e32 v7, v11, v9
	ds_write_b64 v0, v[6:7] offset:136
	ds_read_b64 v[8:9], v23
	s_waitcnt lgkmcnt(0)
	v_mul_f32_e64 v10, v9, -v15
	v_mul_f32_e32 v9, v9, v14
	v_fmac_f32_e32 v10, v14, v8
	v_fmac_f32_e32 v9, v15, v8
	v_sub_f32_e32 v6, v6, v10
	v_sub_f32_e32 v7, v7, v9
	ds_write_b64 v0, v[6:7] offset:136
.LBB186_6:
	s_or_b64 exec, exec, s[4:5]
	s_waitcnt lgkmcnt(0)
	; wave barrier
	ds_read2_b64 v[5:8], v5 offset1:4
	s_waitcnt lgkmcnt(0)
	global_store_dwordx2 v[1:2], v[5:6], off
	global_store_dwordx2 v[3:4], v[7:8], off
	s_endpgm
	.section	.rodata,"a",@progbits
	.p2align	6, 0x0
	.amdhsa_kernel _ZN9rocsparseL34gtsv_solve_spike_grid_level_kernelILj4E21rocsparse_complex_numIfEEEviiiPT0_PKS3_S6_
		.amdhsa_group_segment_fixed_size 192
		.amdhsa_private_segment_fixed_size 0
		.amdhsa_kernarg_size 40
		.amdhsa_user_sgpr_count 6
		.amdhsa_user_sgpr_private_segment_buffer 1
		.amdhsa_user_sgpr_dispatch_ptr 0
		.amdhsa_user_sgpr_queue_ptr 0
		.amdhsa_user_sgpr_kernarg_segment_ptr 1
		.amdhsa_user_sgpr_dispatch_id 0
		.amdhsa_user_sgpr_flat_scratch_init 0
		.amdhsa_user_sgpr_private_segment_size 0
		.amdhsa_uses_dynamic_stack 0
		.amdhsa_system_sgpr_private_segment_wavefront_offset 0
		.amdhsa_system_sgpr_workgroup_id_x 1
		.amdhsa_system_sgpr_workgroup_id_y 1
		.amdhsa_system_sgpr_workgroup_id_z 0
		.amdhsa_system_sgpr_workgroup_info 0
		.amdhsa_system_vgpr_workitem_id 0
		.amdhsa_next_free_vgpr 39
		.amdhsa_next_free_sgpr 10
		.amdhsa_reserve_vcc 1
		.amdhsa_reserve_flat_scratch 0
		.amdhsa_float_round_mode_32 0
		.amdhsa_float_round_mode_16_64 0
		.amdhsa_float_denorm_mode_32 3
		.amdhsa_float_denorm_mode_16_64 3
		.amdhsa_dx10_clamp 1
		.amdhsa_ieee_mode 1
		.amdhsa_fp16_overflow 0
		.amdhsa_exception_fp_ieee_invalid_op 0
		.amdhsa_exception_fp_denorm_src 0
		.amdhsa_exception_fp_ieee_div_zero 0
		.amdhsa_exception_fp_ieee_overflow 0
		.amdhsa_exception_fp_ieee_underflow 0
		.amdhsa_exception_fp_ieee_inexact 0
		.amdhsa_exception_int_div_zero 0
	.end_amdhsa_kernel
	.section	.text._ZN9rocsparseL34gtsv_solve_spike_grid_level_kernelILj4E21rocsparse_complex_numIfEEEviiiPT0_PKS3_S6_,"axG",@progbits,_ZN9rocsparseL34gtsv_solve_spike_grid_level_kernelILj4E21rocsparse_complex_numIfEEEviiiPT0_PKS3_S6_,comdat
.Lfunc_end186:
	.size	_ZN9rocsparseL34gtsv_solve_spike_grid_level_kernelILj4E21rocsparse_complex_numIfEEEviiiPT0_PKS3_S6_, .Lfunc_end186-_ZN9rocsparseL34gtsv_solve_spike_grid_level_kernelILj4E21rocsparse_complex_numIfEEEviiiPT0_PKS3_S6_
                                        ; -- End function
	.set _ZN9rocsparseL34gtsv_solve_spike_grid_level_kernelILj4E21rocsparse_complex_numIfEEEviiiPT0_PKS3_S6_.num_vgpr, 39
	.set _ZN9rocsparseL34gtsv_solve_spike_grid_level_kernelILj4E21rocsparse_complex_numIfEEEviiiPT0_PKS3_S6_.num_agpr, 0
	.set _ZN9rocsparseL34gtsv_solve_spike_grid_level_kernelILj4E21rocsparse_complex_numIfEEEviiiPT0_PKS3_S6_.numbered_sgpr, 10
	.set _ZN9rocsparseL34gtsv_solve_spike_grid_level_kernelILj4E21rocsparse_complex_numIfEEEviiiPT0_PKS3_S6_.num_named_barrier, 0
	.set _ZN9rocsparseL34gtsv_solve_spike_grid_level_kernelILj4E21rocsparse_complex_numIfEEEviiiPT0_PKS3_S6_.private_seg_size, 0
	.set _ZN9rocsparseL34gtsv_solve_spike_grid_level_kernelILj4E21rocsparse_complex_numIfEEEviiiPT0_PKS3_S6_.uses_vcc, 1
	.set _ZN9rocsparseL34gtsv_solve_spike_grid_level_kernelILj4E21rocsparse_complex_numIfEEEviiiPT0_PKS3_S6_.uses_flat_scratch, 0
	.set _ZN9rocsparseL34gtsv_solve_spike_grid_level_kernelILj4E21rocsparse_complex_numIfEEEviiiPT0_PKS3_S6_.has_dyn_sized_stack, 0
	.set _ZN9rocsparseL34gtsv_solve_spike_grid_level_kernelILj4E21rocsparse_complex_numIfEEEviiiPT0_PKS3_S6_.has_recursion, 0
	.set _ZN9rocsparseL34gtsv_solve_spike_grid_level_kernelILj4E21rocsparse_complex_numIfEEEviiiPT0_PKS3_S6_.has_indirect_call, 0
	.section	.AMDGPU.csdata,"",@progbits
; Kernel info:
; codeLenInByte = 1852
; TotalNumSgprs: 14
; NumVgprs: 39
; ScratchSize: 0
; MemoryBound: 0
; FloatMode: 240
; IeeeMode: 1
; LDSByteSize: 192 bytes/workgroup (compile time only)
; SGPRBlocks: 1
; VGPRBlocks: 9
; NumSGPRsForWavesPerEU: 14
; NumVGPRsForWavesPerEU: 39
; Occupancy: 6
; WaveLimiterHint : 0
; COMPUTE_PGM_RSRC2:SCRATCH_EN: 0
; COMPUTE_PGM_RSRC2:USER_SGPR: 6
; COMPUTE_PGM_RSRC2:TRAP_HANDLER: 0
; COMPUTE_PGM_RSRC2:TGID_X_EN: 1
; COMPUTE_PGM_RSRC2:TGID_Y_EN: 1
; COMPUTE_PGM_RSRC2:TGID_Z_EN: 0
; COMPUTE_PGM_RSRC2:TIDIG_COMP_CNT: 0
	.section	.text._ZN9rocsparseL34gtsv_solve_spike_grid_level_kernelILj8E21rocsparse_complex_numIfEEEviiiPT0_PKS3_S6_,"axG",@progbits,_ZN9rocsparseL34gtsv_solve_spike_grid_level_kernelILj8E21rocsparse_complex_numIfEEEviiiPT0_PKS3_S6_,comdat
	.globl	_ZN9rocsparseL34gtsv_solve_spike_grid_level_kernelILj8E21rocsparse_complex_numIfEEEviiiPT0_PKS3_S6_ ; -- Begin function _ZN9rocsparseL34gtsv_solve_spike_grid_level_kernelILj8E21rocsparse_complex_numIfEEEviiiPT0_PKS3_S6_
	.p2align	8
	.type	_ZN9rocsparseL34gtsv_solve_spike_grid_level_kernelILj8E21rocsparse_complex_numIfEEEviiiPT0_PKS3_S6_,@function
_ZN9rocsparseL34gtsv_solve_spike_grid_level_kernelILj8E21rocsparse_complex_numIfEEEviiiPT0_PKS3_S6_: ; @_ZN9rocsparseL34gtsv_solve_spike_grid_level_kernelILj8E21rocsparse_complex_numIfEEEviiiPT0_PKS3_S6_
; %bb.0:
	s_load_dwordx4 s[0:3], s[4:5], 0x10
	s_load_dwordx2 s[8:9], s[4:5], 0x20
	v_lshl_or_b32 v3, s7, 4, v0
	v_mov_b32_e32 v4, 0
	v_lshlrev_b64 v[1:2], 3, v[3:4]
	v_or_b32_e32 v3, 8, v3
	s_waitcnt lgkmcnt(0)
	v_mov_b32_e32 v5, s1
	v_add_co_u32_e32 v1, vcc, s0, v1
	v_lshlrev_b64 v[3:4], 3, v[3:4]
	v_addc_co_u32_e32 v2, vcc, v5, v2, vcc
	v_lshlrev_b32_e32 v6, 3, v0
	v_add_co_u32_e32 v3, vcc, s0, v3
	global_load_dwordx2 v[7:8], v6, s[2:3]
	global_load_dwordx2 v[9:10], v6, s[2:3] offset:64
	global_load_dwordx2 v[11:12], v6, s[8:9]
	global_load_dwordx2 v[13:14], v6, s[8:9] offset:64
	v_addc_co_u32_e32 v4, vcc, v5, v4, vcc
	global_load_dwordx2 v[15:16], v[1:2], off
	global_load_dwordx2 v[17:18], v[3:4], off
	v_or_b32_e32 v5, 0x100, v6
	v_cmp_gt_u32_e64 s[0:1], 4, v0
	s_waitcnt vmcnt(4)
	ds_write2_b64 v6, v[7:8], v[9:10] offset0:16 offset1:24
	s_waitcnt vmcnt(2)
	ds_write2_b64 v6, v[11:12], v[13:14] offset1:8
	s_waitcnt vmcnt(0)
	ds_write2_b64 v6, v[15:16], v[17:18] offset0:32 offset1:40
	s_waitcnt lgkmcnt(0)
	; wave barrier
	s_and_saveexec_b64 s[2:3], s[0:1]
	s_cbranch_execz .LBB187_2
; %bb.1:
	v_or_b32_e32 v7, 0x80, v6
	v_add_u32_e32 v29, v7, v6
	v_add_u32_e32 v30, v6, v6
	ds_read_b128 v[7:10], v29
	ds_read_b64 v[27:28], v30 offset:64
	ds_read2_b64 v[11:14], v30 offset1:1
	ds_read_b128 v[15:18], v29 offset:64
	v_add_u32_e32 v6, v5, v6
	s_waitcnt lgkmcnt(2)
	v_mul_f32_e64 v19, v28, -v10
	v_mul_f32_e32 v31, v28, v9
	v_fmac_f32_e32 v19, v9, v27
	v_fmac_f32_e32 v31, v10, v27
	v_sub_f32_e32 v32, 1.0, v19
	v_mul_f32_e64 v33, -v31, -v31
	v_fmac_f32_e32 v33, v32, v32
	v_div_scale_f32 v34, s[4:5], v33, v33, 1.0
	v_div_scale_f32 v35, vcc, 1.0, v33, 1.0
	ds_read_b128 v[19:22], v6 offset:64
	ds_read2_b64 v[23:26], v6 offset1:1
	v_rcp_f32_e32 v36, v34
	v_fma_f32 v37, -v34, v36, 1.0
	v_fmac_f32_e32 v36, v37, v36
	v_mul_f32_e32 v37, v35, v36
	v_fma_f32 v38, -v34, v37, v35
	v_fmac_f32_e32 v37, v38, v36
	v_fma_f32 v34, -v34, v37, v35
	v_div_fmas_f32 v34, v34, v36, v37
	s_waitcnt lgkmcnt(0)
	v_mul_f32_e64 v35, v26, -v28
	v_mul_f32_e32 v36, v26, v27
	v_fmac_f32_e32 v35, v27, v25
	v_mul_f32_e64 v37, v10, -v20
	v_mul_f32_e32 v38, v10, v19
	v_fmac_f32_e32 v36, v28, v25
	v_sub_f32_e32 v35, v19, v35
	v_fmac_f32_e32 v37, v19, v9
	v_fmac_f32_e32 v38, v20, v9
	v_sub_f32_e32 v19, 0, v31
	v_sub_f32_e32 v36, v20, v36
	;; [unrolled: 1-line block ×4, first 2 shown]
	v_fma_f32 v25, 0, v19, v32
	v_fma_f32 v19, v32, 0, -v19
	v_div_fixup_f32 v26, v34, v33, 1.0
	v_mul_f32_e32 v33, v19, v26
	v_mul_f32_e32 v32, v25, v26
	;; [unrolled: 1-line block ×3, first 2 shown]
	v_mul_f32_e64 v25, v33, -v31
	v_fmac_f32_e32 v26, v31, v32
	v_fmac_f32_e32 v25, v20, v32
	v_mul_f32_e32 v20, v26, v11
	v_mul_f32_e64 v19, v26, -v12
	v_fmac_f32_e32 v20, v12, v25
	v_fmac_f32_e32 v19, v11, v25
	v_sub_f32_e32 v24, v24, v20
	v_mul_f32_e32 v20, v33, v35
	v_sub_f32_e32 v23, v23, v19
	v_mul_f32_e64 v19, v33, -v36
	v_fmac_f32_e32 v20, v36, v32
	v_fmac_f32_e32 v19, v35, v32
	ds_write_b128 v6, v[23:26]
	v_mul_f32_e64 v23, v20, -v18
	v_mul_f32_e32 v24, v20, v17
	v_fmac_f32_e32 v23, v17, v19
	v_fmac_f32_e32 v24, v18, v19
	v_sub_f32_e32 v21, v21, v23
	v_sub_f32_e32 v22, v22, v24
	ds_write_b128 v6, v[19:22] offset:64
	v_mul_f32_e32 v20, v14, v27
	v_mul_f32_e64 v6, v14, -v28
	v_fmac_f32_e32 v20, v28, v13
	v_fmac_f32_e32 v6, v27, v13
	v_mul_f32_e32 v19, v33, v20
	v_mul_f32_e64 v20, v20, -v32
	v_fma_f32 v19, -v32, v6, v19
	v_fma_f32 v20, -v33, v6, v20
	v_mul_f32_e64 v6, v10, -v16
	v_mul_f32_e32 v10, v10, v15
	v_fmac_f32_e32 v10, v16, v9
	v_mul_f32_e64 v21, v14, -v33
	v_mul_f32_e32 v22, v32, v14
	v_fmac_f32_e32 v6, v15, v9
	v_mul_f32_e32 v9, v33, v10
	v_mul_f32_e64 v10, v10, -v32
	v_fmac_f32_e32 v21, v32, v13
	v_fmac_f32_e32 v22, v33, v13
	v_fma_f32 v10, -v33, v6, v10
	v_mul_f32_e64 v13, v16, -v33
	v_mul_f32_e32 v14, v32, v16
	v_fma_f32 v9, -v32, v6, v9
	v_fmac_f32_e32 v13, v32, v15
	v_fmac_f32_e32 v14, v33, v15
	v_mul_f32_e64 v6, v10, -v12
	v_mul_f32_e32 v15, v10, v11
	v_fmac_f32_e32 v6, v11, v9
	v_fmac_f32_e32 v15, v12, v9
	ds_write_b64 v30, v[19:20] offset:64
	v_sub_f32_e32 v7, v7, v6
	v_sub_f32_e32 v8, v8, v15
	ds_write_b128 v29, v[7:10]
	ds_read_b128 v[6:9], v30 offset:64
	v_mul_f32_e32 v10, v22, v12
	v_fma_f32 v19, -v11, v21, v10
	v_mul_f32_e64 v10, v22, -v11
	v_fma_f32 v20, -v12, v21, v10
	s_waitcnt lgkmcnt(0)
	v_mul_f32_e64 v10, v18, -v7
	v_mul_f32_e32 v11, v18, v6
	v_fmac_f32_e32 v10, v6, v17
	v_fmac_f32_e32 v11, v7, v17
	v_sub_f32_e32 v6, v8, v10
	v_sub_f32_e32 v7, v9, v11
	ds_write_b64 v30, v[6:7] offset:72
	v_mul_f32_e32 v6, v18, v14
	v_fma_f32 v15, -v17, v13, v6
	v_mul_f32_e64 v6, v14, -v17
	v_fma_f32 v16, -v18, v13, v6
	ds_write_b128 v30, v[19:22]
	ds_write_b128 v29, v[13:16] offset:64
.LBB187_2:
	s_or_b64 exec, exec, s[2:3]
	v_cmp_gt_u32_e64 s[2:3], 2, v0
	v_lshlrev_b32_e32 v6, 5, v0
	s_waitcnt lgkmcnt(0)
	; wave barrier
	s_and_saveexec_b64 s[4:5], s[2:3]
	s_cbranch_execz .LBB187_4
; %bb.3:
	ds_read2_b64 v[7:10], v6 offset0:16 offset1:18
	ds_read2_b64 v[11:14], v6 offset0:9 offset1:11
	s_waitcnt lgkmcnt(0)
	v_mul_f32_e64 v15, v12, -v10
	v_mul_f32_e32 v31, v12, v9
	v_fmac_f32_e32 v15, v9, v11
	v_fmac_f32_e32 v31, v10, v11
	v_sub_f32_e32 v32, 1.0, v15
	v_mul_f32_e64 v33, -v31, -v31
	v_fmac_f32_e32 v33, v32, v32
	v_div_scale_f32 v34, s[6:7], v33, v33, 1.0
	v_div_scale_f32 v35, vcc, 1.0, v33, 1.0
	ds_read2_b64 v[15:18], v6 offset0:41 offset1:43
	ds_read2_b64 v[19:22], v6 offset0:32 offset1:34
	ds_read2_b64 v[23:26], v6 offset1:2
	ds_read2_b64 v[27:30], v6 offset0:25 offset1:27
	v_sub_f32_e32 v31, 0, v31
	v_rcp_f32_e32 v36, v34
	v_fma_f32 v37, -v34, v36, 1.0
	v_fmac_f32_e32 v36, v37, v36
	v_mul_f32_e32 v37, v35, v36
	v_fma_f32 v38, -v34, v37, v35
	v_fmac_f32_e32 v37, v38, v36
	v_fma_f32 v34, -v34, v37, v35
	v_div_fmas_f32 v34, v34, v36, v37
	s_waitcnt lgkmcnt(2)
	v_mul_f32_e32 v36, v22, v11
	v_mul_f32_e64 v37, v10, -v16
	v_mul_f32_e64 v35, v22, -v12
	v_mul_f32_e32 v38, v10, v15
	v_fmac_f32_e32 v36, v12, v21
	v_fmac_f32_e32 v37, v15, v9
	v_fmac_f32_e32 v35, v11, v21
	v_fmac_f32_e32 v38, v16, v9
	v_sub_f32_e32 v36, v16, v36
	v_sub_f32_e32 v37, v21, v37
	v_fma_f32 v16, v32, 0, -v31
	v_sub_f32_e32 v35, v15, v35
	v_fma_f32 v15, 0, v31, v32
	v_sub_f32_e32 v38, v22, v38
	v_div_fixup_f32 v21, v34, v33, 1.0
	v_mul_f32_e32 v32, v16, v21
	v_mul_f32_e32 v31, v15, v21
	v_mul_f32_e32 v22, v32, v37
	v_mul_f32_e64 v21, v32, -v38
	v_fmac_f32_e32 v22, v38, v31
	v_fmac_f32_e32 v21, v37, v31
	s_waitcnt lgkmcnt(1)
	v_mul_f32_e64 v33, v22, -v24
	v_mul_f32_e32 v34, v22, v23
	v_mul_f32_e32 v16, v32, v35
	v_fmac_f32_e32 v33, v23, v21
	v_fmac_f32_e32 v34, v24, v21
	v_mul_f32_e64 v15, v32, -v36
	v_fmac_f32_e32 v16, v36, v31
	v_sub_f32_e32 v19, v19, v33
	v_sub_f32_e32 v20, v20, v34
	v_fmac_f32_e32 v15, v35, v31
	ds_write2_b64 v6, v[19:20], v[21:22] offset0:32 offset1:34
	s_waitcnt lgkmcnt(1)
	v_mul_f32_e64 v19, v16, -v30
	v_mul_f32_e32 v20, v16, v29
	v_fmac_f32_e32 v19, v29, v15
	v_fmac_f32_e32 v20, v30, v15
	v_sub_f32_e32 v17, v17, v19
	v_sub_f32_e32 v18, v18, v20
	ds_write2_b64 v6, v[15:16], v[17:18] offset0:41 offset1:43
	v_mul_f32_e64 v17, v10, -v28
	v_mul_f32_e32 v10, v10, v27
	v_fmac_f32_e32 v10, v28, v9
	v_fmac_f32_e32 v17, v27, v9
	v_mul_f32_e32 v9, v32, v10
	v_mul_f32_e64 v10, v10, -v31
	v_mul_f32_e32 v16, v26, v11
	v_fma_f32 v10, -v32, v17, v10
	v_mul_f32_e64 v15, v26, -v12
	v_fmac_f32_e32 v16, v12, v25
	v_fma_f32 v9, -v31, v17, v9
	v_mul_f32_e64 v19, v10, -v24
	v_mul_f32_e32 v20, v10, v23
	v_fmac_f32_e32 v15, v11, v25
	v_mul_f32_e32 v11, v32, v16
	v_mul_f32_e64 v12, v16, -v31
	v_mul_f32_e32 v16, v31, v26
	v_fmac_f32_e32 v19, v23, v9
	v_fmac_f32_e32 v20, v24, v9
	v_fma_f32 v11, -v31, v15, v11
	v_fma_f32 v12, -v32, v15, v12
	v_mul_f32_e64 v15, v26, -v32
	v_fmac_f32_e32 v16, v32, v25
	v_sub_f32_e32 v7, v7, v19
	v_sub_f32_e32 v8, v8, v20
	v_fmac_f32_e32 v15, v31, v25
	ds_write2_b64 v6, v[7:8], v[9:10] offset0:16 offset1:18
	v_mul_f32_e32 v7, v16, v24
	v_mul_f32_e64 v8, v16, -v23
	v_fma_f32 v7, -v23, v15, v7
	v_fma_f32 v8, -v24, v15, v8
	ds_write2_b64 v6, v[7:8], v[15:16] offset1:2
	v_mul_f32_e64 v7, v30, -v12
	v_mul_f32_e32 v8, v30, v11
	v_mul_f32_e32 v18, v31, v28
	v_fmac_f32_e32 v7, v11, v29
	v_fmac_f32_e32 v8, v12, v29
	v_mul_f32_e64 v17, v28, -v32
	v_fmac_f32_e32 v18, v32, v27
	v_sub_f32_e32 v7, v13, v7
	v_sub_f32_e32 v8, v14, v8
	v_fmac_f32_e32 v17, v31, v27
	ds_write2_b64 v6, v[11:12], v[7:8] offset0:9 offset1:11
	v_mul_f32_e32 v7, v30, v18
	v_mul_f32_e64 v8, v18, -v29
	v_fma_f32 v7, -v29, v17, v7
	v_fma_f32 v8, -v30, v17, v8
	ds_write2_b64 v6, v[17:18], v[7:8] offset0:25 offset1:27
.LBB187_4:
	s_or_b64 exec, exec, s[4:5]
	v_cmp_eq_u32_e32 vcc, 0, v0
	s_waitcnt lgkmcnt(0)
	; wave barrier
	s_and_saveexec_b64 s[4:5], vcc
	s_cbranch_execz .LBB187_6
; %bb.5:
	v_mov_b32_e32 v31, 0
	ds_read2_b64 v[7:10], v31 offset0:16 offset1:20
	ds_read2_b64 v[11:14], v31 offset0:11 offset1:15
	s_waitcnt lgkmcnt(0)
	v_mul_f32_e64 v15, v12, -v10
	v_mul_f32_e32 v23, v12, v9
	v_fmac_f32_e32 v15, v9, v11
	v_fmac_f32_e32 v23, v10, v11
	v_sub_f32_e32 v24, 1.0, v15
	v_mul_f32_e64 v25, -v23, -v23
	v_fmac_f32_e32 v25, v24, v24
	v_div_scale_f32 v15, s[6:7], v25, v25, 1.0
	v_div_scale_f32 v16, vcc, 1.0, v25, 1.0
	v_sub_f32_e32 v23, 0, v23
	v_rcp_f32_e32 v17, v15
	v_fma_f32 v18, -v15, v17, 1.0
	v_fmac_f32_e32 v17, v18, v17
	v_mul_f32_e32 v18, v16, v17
	v_fma_f32 v19, -v15, v18, v16
	v_fmac_f32_e32 v18, v19, v17
	v_fma_f32 v15, -v15, v18, v16
	v_div_fmas_f32 v26, v15, v17, v18
	ds_read2_b64 v[15:18], v31 offset0:27 offset1:36
	ds_read2_b64 v[19:22], v31 offset0:43 offset1:47
	s_waitcnt lgkmcnt(1)
	v_mul_f32_e64 v27, v18, -v12
	v_fmac_f32_e32 v27, v11, v17
	s_waitcnt lgkmcnt(0)
	v_sub_f32_e32 v29, v19, v27
	v_fma_f32 v27, 0, v23, v24
	v_fma_f32 v23, v24, 0, -v23
	v_mul_f32_e32 v28, v18, v11
	v_fmac_f32_e32 v28, v12, v17
	v_sub_f32_e32 v30, v20, v28
	v_mul_f32_e64 v34, v10, -v20
	v_fmac_f32_e32 v34, v19, v9
	v_mul_f32_e32 v35, v10, v19
	v_div_fixup_f32 v24, v26, v25, 1.0
	v_mul_f32_e32 v32, v27, v24
	v_mul_f32_e32 v33, v23, v24
	ds_read2_b64 v[23:26], v31 offset0:31 offset1:32
	v_mul_f32_e32 v28, v33, v29
	v_mul_f32_e64 v27, v33, -v30
	v_fmac_f32_e32 v28, v30, v32
	v_mul_f32_e64 v19, v10, -v16
	v_mul_f32_e32 v10, v10, v15
	v_fmac_f32_e32 v27, v29, v32
	s_waitcnt lgkmcnt(0)
	v_mul_f32_e64 v29, v28, -v24
	v_mul_f32_e32 v30, v28, v23
	v_fmac_f32_e32 v10, v16, v9
	v_fmac_f32_e32 v29, v23, v27
	;; [unrolled: 1-line block ×5, first 2 shown]
	v_mul_f32_e32 v9, v33, v10
	v_mul_f32_e64 v10, v10, -v32
	v_sub_f32_e32 v29, v21, v29
	v_sub_f32_e32 v30, v22, v30
	v_fma_f32 v9, -v32, v19, v9
	v_fma_f32 v10, -v33, v19, v10
	ds_read2_b64 v[19:22], v31 offset1:4
	v_sub_f32_e32 v34, v17, v34
	v_sub_f32_e32 v35, v18, v35
	v_mul_f32_e32 v18, v33, v34
	v_mul_f32_e64 v17, v33, -v35
	v_fmac_f32_e32 v18, v35, v32
	v_fmac_f32_e32 v17, v34, v32
	s_waitcnt lgkmcnt(0)
	v_mul_f32_e64 v34, v18, -v20
	v_mul_f32_e32 v35, v18, v19
	v_fmac_f32_e32 v34, v19, v17
	v_fmac_f32_e32 v35, v20, v17
	v_sub_f32_e32 v25, v25, v34
	v_sub_f32_e32 v26, v26, v35
	ds_write2_b64 v31, v[25:26], v[17:18] offset0:32 offset1:36
	ds_write2_b64 v31, v[27:28], v[29:30] offset0:43 offset1:47
	v_mul_f32_e64 v17, v16, -v33
	v_mul_f32_e32 v18, v32, v16
	v_mul_f32_e32 v16, v22, v11
	v_fmac_f32_e32 v17, v32, v15
	v_fmac_f32_e32 v18, v33, v15
	v_mul_f32_e64 v15, v22, -v12
	v_fmac_f32_e32 v16, v12, v21
	v_fmac_f32_e32 v15, v11, v21
	v_mul_f32_e32 v11, v33, v16
	v_mul_f32_e64 v12, v16, -v32
	v_mul_f32_e32 v16, v32, v22
	v_mul_f32_e64 v36, v10, -v20
	v_mul_f32_e32 v37, v10, v19
	v_fma_f32 v11, -v32, v15, v11
	v_fma_f32 v12, -v33, v15, v12
	v_mul_f32_e64 v15, v22, -v33
	v_fmac_f32_e32 v16, v33, v21
	v_fmac_f32_e32 v36, v19, v9
	;; [unrolled: 1-line block ×4, first 2 shown]
	ds_write2_b64 v31, v[11:12], v[9:10] offset0:11 offset1:20
	v_mul_f32_e32 v9, v16, v20
	v_mul_f32_e64 v10, v16, -v19
	v_fma_f32 v9, -v19, v15, v9
	v_fma_f32 v10, -v20, v15, v10
	ds_write2_b64 v31, v[9:10], v[15:16] offset1:4
	v_mul_f32_e64 v9, v24, -v12
	v_mul_f32_e32 v10, v24, v11
	v_fmac_f32_e32 v9, v11, v23
	v_fmac_f32_e32 v10, v12, v23
	v_sub_f32_e32 v7, v7, v36
	v_sub_f32_e32 v8, v8, v37
	;; [unrolled: 1-line block ×4, first 2 shown]
	ds_write2_b64 v31, v[9:10], v[7:8] offset0:15 offset1:16
	v_mul_f32_e32 v7, v24, v18
	v_mul_f32_e64 v8, v18, -v23
	v_fma_f32 v7, -v23, v17, v7
	v_fma_f32 v8, -v24, v17, v8
	ds_write2_b64 v31, v[17:18], v[7:8] offset0:27 offset1:31
.LBB187_6:
	s_or_b64 exec, exec, s[4:5]
	s_waitcnt lgkmcnt(0)
	; wave barrier
	s_and_saveexec_b64 s[4:5], s[2:3]
	s_cbranch_execz .LBB187_8
; %bb.7:
	v_lshlrev_b32_e32 v11, 2, v0
	v_max_u32_e32 v7, 1, v11
	v_lshlrev_b32_e32 v23, 3, v7
	ds_read2_b64 v[7:10], v6 offset0:18 offset1:25
	ds_read_b64 v[19:20], v23 offset:312
	v_min_u32_e32 v11, 3, v11
	v_lshlrev_b32_e32 v24, 3, v11
	ds_read_b64 v[21:22], v24 offset:288
	ds_read2_b64 v[11:14], v6 offset0:34 offset1:41
	ds_read2_b64 v[15:18], v6 offset0:2 offset1:9
	s_waitcnt lgkmcnt(3)
	v_mul_f32_e64 v25, v20, -v10
	v_fmac_f32_e32 v25, v9, v19
	v_mul_f32_e32 v9, v20, v9
	v_fmac_f32_e32 v9, v10, v19
	s_waitcnt lgkmcnt(1)
	v_sub_f32_e32 v10, v13, v25
	v_sub_f32_e32 v13, v14, v9
	s_waitcnt lgkmcnt(0)
	v_mul_f32_e64 v9, v22, -v18
	v_mul_f32_e32 v14, v22, v17
	v_fmac_f32_e32 v9, v17, v21
	v_fmac_f32_e32 v14, v18, v21
	v_sub_f32_e32 v9, v10, v9
	v_sub_f32_e32 v10, v13, v14
	ds_write_b64 v6, v[9:10] offset:328
	ds_read_b64 v[9:10], v23 offset:312
	s_waitcnt lgkmcnt(0)
	v_mul_f32_e64 v13, v10, -v8
	v_mul_f32_e32 v10, v10, v7
	v_fmac_f32_e32 v13, v7, v9
	v_fmac_f32_e32 v10, v8, v9
	v_sub_f32_e32 v7, v11, v13
	v_sub_f32_e32 v8, v12, v10
	ds_write_b64 v6, v[7:8] offset:272
	ds_read_b64 v[9:10], v24 offset:288
	s_waitcnt lgkmcnt(0)
	v_mul_f32_e64 v11, v10, -v16
	v_mul_f32_e32 v10, v10, v15
	v_fmac_f32_e32 v11, v15, v9
	v_fmac_f32_e32 v10, v16, v9
	v_sub_f32_e32 v7, v7, v11
	v_sub_f32_e32 v8, v8, v10
	ds_write_b64 v6, v[7:8] offset:272
.LBB187_8:
	s_or_b64 exec, exec, s[4:5]
	s_waitcnt lgkmcnt(0)
	; wave barrier
	s_and_saveexec_b64 s[2:3], s[0:1]
	s_cbranch_execz .LBB187_10
; %bb.9:
	v_lshlrev_b32_e32 v10, 1, v0
	v_max_u32_e32 v6, 1, v10
	v_lshlrev_b32_e32 v0, 4, v0
	v_lshlrev_b32_e32 v22, 3, v6
	ds_read2_b64 v[6:9], v0 offset0:17 offset1:24
	ds_read_b64 v[18:19], v22 offset:312
	v_min_u32_e32 v10, 5, v10
	v_lshlrev_b32_e32 v23, 3, v10
	ds_read_b64 v[20:21], v23 offset:272
	ds_read2_b64 v[10:13], v0 offset0:33 offset1:40
	ds_read2_b64 v[14:17], v0 offset0:1 offset1:8
	s_waitcnt lgkmcnt(3)
	v_mul_f32_e64 v24, v19, -v9
	v_fmac_f32_e32 v24, v8, v18
	v_mul_f32_e32 v8, v19, v8
	v_fmac_f32_e32 v8, v9, v18
	s_waitcnt lgkmcnt(1)
	v_sub_f32_e32 v9, v12, v24
	v_sub_f32_e32 v12, v13, v8
	s_waitcnt lgkmcnt(0)
	v_mul_f32_e64 v8, v21, -v17
	v_mul_f32_e32 v13, v21, v16
	v_fmac_f32_e32 v8, v16, v20
	v_fmac_f32_e32 v13, v17, v20
	v_sub_f32_e32 v8, v9, v8
	v_sub_f32_e32 v9, v12, v13
	ds_write_b64 v0, v[8:9] offset:320
	ds_read_b64 v[8:9], v22 offset:312
	s_waitcnt lgkmcnt(0)
	v_mul_f32_e64 v12, v9, -v7
	v_mul_f32_e32 v9, v9, v6
	v_fmac_f32_e32 v12, v6, v8
	v_fmac_f32_e32 v9, v7, v8
	v_sub_f32_e32 v6, v10, v12
	v_sub_f32_e32 v7, v11, v9
	ds_write_b64 v0, v[6:7] offset:264
	ds_read_b64 v[8:9], v23 offset:272
	s_waitcnt lgkmcnt(0)
	v_mul_f32_e64 v10, v9, -v15
	v_mul_f32_e32 v9, v9, v14
	v_fmac_f32_e32 v10, v14, v8
	v_fmac_f32_e32 v9, v15, v8
	v_sub_f32_e32 v6, v6, v10
	v_sub_f32_e32 v7, v7, v9
	ds_write_b64 v0, v[6:7] offset:264
.LBB187_10:
	s_or_b64 exec, exec, s[2:3]
	s_waitcnt lgkmcnt(0)
	; wave barrier
	ds_read2_b64 v[5:8], v5 offset1:8
	s_waitcnt lgkmcnt(0)
	global_store_dwordx2 v[1:2], v[5:6], off
	global_store_dwordx2 v[3:4], v[7:8], off
	s_endpgm
	.section	.rodata,"a",@progbits
	.p2align	6, 0x0
	.amdhsa_kernel _ZN9rocsparseL34gtsv_solve_spike_grid_level_kernelILj8E21rocsparse_complex_numIfEEEviiiPT0_PKS3_S6_
		.amdhsa_group_segment_fixed_size 384
		.amdhsa_private_segment_fixed_size 0
		.amdhsa_kernarg_size 40
		.amdhsa_user_sgpr_count 6
		.amdhsa_user_sgpr_private_segment_buffer 1
		.amdhsa_user_sgpr_dispatch_ptr 0
		.amdhsa_user_sgpr_queue_ptr 0
		.amdhsa_user_sgpr_kernarg_segment_ptr 1
		.amdhsa_user_sgpr_dispatch_id 0
		.amdhsa_user_sgpr_flat_scratch_init 0
		.amdhsa_user_sgpr_private_segment_size 0
		.amdhsa_uses_dynamic_stack 0
		.amdhsa_system_sgpr_private_segment_wavefront_offset 0
		.amdhsa_system_sgpr_workgroup_id_x 1
		.amdhsa_system_sgpr_workgroup_id_y 1
		.amdhsa_system_sgpr_workgroup_id_z 0
		.amdhsa_system_sgpr_workgroup_info 0
		.amdhsa_system_vgpr_workitem_id 0
		.amdhsa_next_free_vgpr 39
		.amdhsa_next_free_sgpr 10
		.amdhsa_reserve_vcc 1
		.amdhsa_reserve_flat_scratch 0
		.amdhsa_float_round_mode_32 0
		.amdhsa_float_round_mode_16_64 0
		.amdhsa_float_denorm_mode_32 3
		.amdhsa_float_denorm_mode_16_64 3
		.amdhsa_dx10_clamp 1
		.amdhsa_ieee_mode 1
		.amdhsa_fp16_overflow 0
		.amdhsa_exception_fp_ieee_invalid_op 0
		.amdhsa_exception_fp_denorm_src 0
		.amdhsa_exception_fp_ieee_div_zero 0
		.amdhsa_exception_fp_ieee_overflow 0
		.amdhsa_exception_fp_ieee_underflow 0
		.amdhsa_exception_fp_ieee_inexact 0
		.amdhsa_exception_int_div_zero 0
	.end_amdhsa_kernel
	.section	.text._ZN9rocsparseL34gtsv_solve_spike_grid_level_kernelILj8E21rocsparse_complex_numIfEEEviiiPT0_PKS3_S6_,"axG",@progbits,_ZN9rocsparseL34gtsv_solve_spike_grid_level_kernelILj8E21rocsparse_complex_numIfEEEviiiPT0_PKS3_S6_,comdat
.Lfunc_end187:
	.size	_ZN9rocsparseL34gtsv_solve_spike_grid_level_kernelILj8E21rocsparse_complex_numIfEEEviiiPT0_PKS3_S6_, .Lfunc_end187-_ZN9rocsparseL34gtsv_solve_spike_grid_level_kernelILj8E21rocsparse_complex_numIfEEEviiiPT0_PKS3_S6_
                                        ; -- End function
	.set _ZN9rocsparseL34gtsv_solve_spike_grid_level_kernelILj8E21rocsparse_complex_numIfEEEviiiPT0_PKS3_S6_.num_vgpr, 39
	.set _ZN9rocsparseL34gtsv_solve_spike_grid_level_kernelILj8E21rocsparse_complex_numIfEEEviiiPT0_PKS3_S6_.num_agpr, 0
	.set _ZN9rocsparseL34gtsv_solve_spike_grid_level_kernelILj8E21rocsparse_complex_numIfEEEviiiPT0_PKS3_S6_.numbered_sgpr, 10
	.set _ZN9rocsparseL34gtsv_solve_spike_grid_level_kernelILj8E21rocsparse_complex_numIfEEEviiiPT0_PKS3_S6_.num_named_barrier, 0
	.set _ZN9rocsparseL34gtsv_solve_spike_grid_level_kernelILj8E21rocsparse_complex_numIfEEEviiiPT0_PKS3_S6_.private_seg_size, 0
	.set _ZN9rocsparseL34gtsv_solve_spike_grid_level_kernelILj8E21rocsparse_complex_numIfEEEviiiPT0_PKS3_S6_.uses_vcc, 1
	.set _ZN9rocsparseL34gtsv_solve_spike_grid_level_kernelILj8E21rocsparse_complex_numIfEEEviiiPT0_PKS3_S6_.uses_flat_scratch, 0
	.set _ZN9rocsparseL34gtsv_solve_spike_grid_level_kernelILj8E21rocsparse_complex_numIfEEEviiiPT0_PKS3_S6_.has_dyn_sized_stack, 0
	.set _ZN9rocsparseL34gtsv_solve_spike_grid_level_kernelILj8E21rocsparse_complex_numIfEEEviiiPT0_PKS3_S6_.has_recursion, 0
	.set _ZN9rocsparseL34gtsv_solve_spike_grid_level_kernelILj8E21rocsparse_complex_numIfEEEviiiPT0_PKS3_S6_.has_indirect_call, 0
	.section	.AMDGPU.csdata,"",@progbits
; Kernel info:
; codeLenInByte = 2760
; TotalNumSgprs: 14
; NumVgprs: 39
; ScratchSize: 0
; MemoryBound: 0
; FloatMode: 240
; IeeeMode: 1
; LDSByteSize: 384 bytes/workgroup (compile time only)
; SGPRBlocks: 1
; VGPRBlocks: 9
; NumSGPRsForWavesPerEU: 14
; NumVGPRsForWavesPerEU: 39
; Occupancy: 6
; WaveLimiterHint : 0
; COMPUTE_PGM_RSRC2:SCRATCH_EN: 0
; COMPUTE_PGM_RSRC2:USER_SGPR: 6
; COMPUTE_PGM_RSRC2:TRAP_HANDLER: 0
; COMPUTE_PGM_RSRC2:TGID_X_EN: 1
; COMPUTE_PGM_RSRC2:TGID_Y_EN: 1
; COMPUTE_PGM_RSRC2:TGID_Z_EN: 0
; COMPUTE_PGM_RSRC2:TIDIG_COMP_CNT: 0
	.section	.text._ZN9rocsparseL34gtsv_solve_spike_grid_level_kernelILj16E21rocsparse_complex_numIfEEEviiiPT0_PKS3_S6_,"axG",@progbits,_ZN9rocsparseL34gtsv_solve_spike_grid_level_kernelILj16E21rocsparse_complex_numIfEEEviiiPT0_PKS3_S6_,comdat
	.globl	_ZN9rocsparseL34gtsv_solve_spike_grid_level_kernelILj16E21rocsparse_complex_numIfEEEviiiPT0_PKS3_S6_ ; -- Begin function _ZN9rocsparseL34gtsv_solve_spike_grid_level_kernelILj16E21rocsparse_complex_numIfEEEviiiPT0_PKS3_S6_
	.p2align	8
	.type	_ZN9rocsparseL34gtsv_solve_spike_grid_level_kernelILj16E21rocsparse_complex_numIfEEEviiiPT0_PKS3_S6_,@function
_ZN9rocsparseL34gtsv_solve_spike_grid_level_kernelILj16E21rocsparse_complex_numIfEEEviiiPT0_PKS3_S6_: ; @_ZN9rocsparseL34gtsv_solve_spike_grid_level_kernelILj16E21rocsparse_complex_numIfEEEviiiPT0_PKS3_S6_
; %bb.0:
	s_load_dwordx4 s[0:3], s[4:5], 0x10
	s_load_dwordx2 s[8:9], s[4:5], 0x20
	v_lshl_or_b32 v3, s7, 5, v0
	v_mov_b32_e32 v4, 0
	v_lshlrev_b64 v[1:2], 3, v[3:4]
	v_or_b32_e32 v3, 16, v3
	s_waitcnt lgkmcnt(0)
	v_mov_b32_e32 v5, s1
	v_add_co_u32_e32 v1, vcc, s0, v1
	v_lshlrev_b64 v[3:4], 3, v[3:4]
	v_addc_co_u32_e32 v2, vcc, v5, v2, vcc
	v_lshlrev_b32_e32 v6, 3, v0
	v_add_co_u32_e32 v3, vcc, s0, v3
	global_load_dwordx2 v[7:8], v6, s[2:3]
	global_load_dwordx2 v[9:10], v6, s[2:3] offset:128
	global_load_dwordx2 v[11:12], v6, s[8:9]
	global_load_dwordx2 v[13:14], v6, s[8:9] offset:128
	v_addc_co_u32_e32 v4, vcc, v5, v4, vcc
	global_load_dwordx2 v[15:16], v[1:2], off
	global_load_dwordx2 v[17:18], v[3:4], off
	v_or_b32_e32 v5, 0x200, v6
	v_cmp_gt_u32_e64 s[0:1], 8, v0
	s_waitcnt vmcnt(4)
	ds_write2_b64 v6, v[7:8], v[9:10] offset0:32 offset1:48
	s_waitcnt vmcnt(2)
	ds_write2_b64 v6, v[11:12], v[13:14] offset1:16
	s_waitcnt vmcnt(0)
	ds_write2_b64 v6, v[15:16], v[17:18] offset0:64 offset1:80
	s_waitcnt lgkmcnt(0)
	; wave barrier
	s_and_saveexec_b64 s[2:3], s[0:1]
	s_cbranch_execz .LBB188_2
; %bb.1:
	v_or_b32_e32 v7, 0x100, v6
	v_add_u32_e32 v33, v7, v6
	v_add_u32_e32 v34, v6, v6
	ds_read_b128 v[7:10], v33
	ds_read_b64 v[31:32], v34 offset:128
	ds_read2_b64 v[11:14], v34 offset1:1
	ds_read_b128 v[15:18], v33 offset:128
	v_add_u32_e32 v35, v5, v6
	s_waitcnt lgkmcnt(2)
	v_mul_f32_e64 v19, v32, -v10
	v_mul_f32_e32 v27, v32, v9
	v_fmac_f32_e32 v19, v9, v31
	v_fmac_f32_e32 v27, v10, v31
	v_sub_f32_e32 v28, 1.0, v19
	v_mul_f32_e64 v29, -v27, -v27
	v_fmac_f32_e32 v29, v28, v28
	v_div_scale_f32 v19, s[4:5], v29, v29, 1.0
	v_div_scale_f32 v20, vcc, 1.0, v29, 1.0
	v_sub_f32_e32 v27, 0, v27
	v_fma_f32 v39, 0, v27, v28
	v_fma_f32 v27, v28, 0, -v27
	v_rcp_f32_e32 v21, v19
	v_fma_f32 v22, -v19, v21, 1.0
	v_fmac_f32_e32 v21, v22, v21
	v_mul_f32_e32 v22, v20, v21
	v_fma_f32 v23, -v19, v22, v20
	v_fmac_f32_e32 v22, v23, v21
	v_fma_f32 v19, -v19, v22, v20
	v_div_fmas_f32 v30, v19, v21, v22
	ds_read2_b64 v[19:22], v35 offset1:1
	ds_read_b128 v[23:26], v35 offset:128
	s_waitcnt lgkmcnt(1)
	v_mul_f32_e64 v36, v22, -v32
	s_waitcnt lgkmcnt(0)
	v_mul_f32_e64 v37, v10, -v24
	v_mul_f32_e32 v38, v10, v23
	v_fmac_f32_e32 v37, v23, v9
	v_fmac_f32_e32 v38, v24, v9
	v_sub_f32_e32 v37, v21, v37
	v_sub_f32_e32 v38, v22, v38
	v_mul_f32_e32 v22, v22, v31
	v_fmac_f32_e32 v36, v31, v21
	v_fmac_f32_e32 v22, v32, v21
	v_sub_f32_e32 v21, v23, v36
	v_div_fixup_f32 v28, v30, v29, 1.0
	v_mul_f32_e32 v40, v27, v28
	v_mul_f32_e32 v39, v39, v28
	;; [unrolled: 1-line block ×3, first 2 shown]
	v_mul_f32_e64 v29, v40, -v38
	v_fmac_f32_e32 v30, v38, v39
	v_fmac_f32_e32 v29, v37, v39
	v_mul_f32_e64 v23, v30, -v12
	v_fmac_f32_e32 v23, v11, v29
	v_sub_f32_e32 v27, v19, v23
	v_mul_f32_e32 v19, v30, v11
	v_fmac_f32_e32 v19, v12, v29
	v_sub_f32_e32 v22, v24, v22
	v_sub_f32_e32 v28, v20, v19
	v_mul_f32_e32 v20, v40, v21
	v_mul_f32_e64 v19, v40, -v22
	v_fmac_f32_e32 v20, v22, v39
	v_fmac_f32_e32 v19, v21, v39
	v_mul_f32_e64 v21, v20, -v18
	v_mul_f32_e32 v22, v20, v17
	v_fmac_f32_e32 v21, v17, v19
	v_fmac_f32_e32 v22, v18, v19
	v_sub_f32_e32 v21, v25, v21
	v_sub_f32_e32 v22, v26, v22
	ds_write_b128 v35, v[27:30]
	ds_write_b128 v35, v[19:22] offset:128
	v_mul_f32_e64 v19, v10, -v16
	v_mul_f32_e32 v10, v10, v15
	v_fmac_f32_e32 v10, v16, v9
	v_fmac_f32_e32 v19, v15, v9
	v_mul_f32_e32 v9, v40, v10
	v_mul_f32_e64 v10, v10, -v39
	v_fma_f32 v10, -v40, v19, v10
	v_fma_f32 v9, -v39, v19, v9
	v_mul_f32_e64 v19, v10, -v12
	v_fmac_f32_e32 v19, v11, v9
	v_mul_f32_e32 v22, v39, v14
	v_sub_f32_e32 v7, v7, v19
	v_mul_f32_e32 v19, v10, v11
	v_mul_f32_e64 v23, v14, -v32
	v_mul_f32_e32 v24, v14, v31
	v_mul_f32_e64 v21, v14, -v40
	v_fmac_f32_e32 v22, v40, v13
	v_fmac_f32_e32 v19, v12, v9
	;; [unrolled: 1-line block ×5, first 2 shown]
	v_mul_f32_e32 v13, v22, v12
	v_sub_f32_e32 v8, v8, v19
	v_fma_f32 v19, -v11, v21, v13
	v_mul_f32_e64 v11, v22, -v11
	v_fma_f32 v20, -v12, v21, v11
	v_mul_f32_e32 v11, v40, v24
	v_mul_f32_e64 v12, v24, -v39
	v_fma_f32 v11, -v39, v23, v11
	v_fma_f32 v12, -v40, v23, v12
	ds_write_b64 v34, v[11:12] offset:128
	ds_read_b128 v[23:26], v34 offset:128
	ds_write_b128 v33, v[7:10]
	ds_write_b128 v34, v[19:22]
	v_mul_f32_e32 v12, v39, v16
	v_mul_f32_e64 v11, v16, -v40
	v_fmac_f32_e32 v12, v40, v15
	s_waitcnt lgkmcnt(2)
	v_mul_f32_e64 v7, v18, -v24
	v_mul_f32_e32 v8, v18, v23
	v_fmac_f32_e32 v7, v23, v17
	v_fmac_f32_e32 v8, v24, v17
	v_sub_f32_e32 v7, v25, v7
	v_sub_f32_e32 v8, v26, v8
	v_fmac_f32_e32 v11, v39, v15
	ds_write_b64 v34, v[7:8] offset:136
	v_mul_f32_e32 v7, v18, v12
	v_fma_f32 v13, -v17, v11, v7
	v_mul_f32_e64 v7, v12, -v17
	v_fma_f32 v14, -v18, v11, v7
	ds_write_b128 v33, v[11:14] offset:128
.LBB188_2:
	s_or_b64 exec, exec, s[2:3]
	v_cmp_gt_u32_e64 s[2:3], 4, v0
	v_lshlrev_b32_e32 v7, 5, v0
	s_waitcnt lgkmcnt(0)
	; wave barrier
	s_and_saveexec_b64 s[4:5], s[2:3]
	s_cbranch_execz .LBB188_4
; %bb.3:
	ds_read2_b64 v[8:11], v7 offset0:32 offset1:34
	ds_read2_b64 v[12:15], v7 offset0:17 offset1:19
	s_waitcnt lgkmcnt(0)
	v_mul_f32_e64 v16, v13, -v11
	v_mul_f32_e32 v32, v13, v10
	v_fmac_f32_e32 v16, v10, v12
	v_fmac_f32_e32 v32, v11, v12
	v_sub_f32_e32 v33, 1.0, v16
	v_mul_f32_e64 v34, -v32, -v32
	v_fmac_f32_e32 v34, v33, v33
	v_div_scale_f32 v35, s[6:7], v34, v34, 1.0
	v_div_scale_f32 v36, vcc, 1.0, v34, 1.0
	ds_read2_b64 v[16:19], v7 offset0:64 offset1:66
	ds_read2_b64 v[20:23], v7 offset0:81 offset1:83
	ds_read2_b64 v[24:27], v7 offset1:2
	ds_read2_b64 v[28:31], v7 offset0:49 offset1:51
	v_sub_f32_e32 v32, 0, v32
	v_rcp_f32_e32 v37, v35
	v_fma_f32 v38, -v35, v37, 1.0
	v_fmac_f32_e32 v37, v38, v37
	v_mul_f32_e32 v38, v36, v37
	v_fma_f32 v39, -v35, v38, v36
	v_fmac_f32_e32 v38, v39, v37
	v_fma_f32 v35, -v35, v38, v36
	v_div_fmas_f32 v35, v35, v37, v38
	s_waitcnt lgkmcnt(3)
	v_mul_f32_e64 v36, v19, -v13
	s_waitcnt lgkmcnt(2)
	v_mul_f32_e32 v38, v11, v20
	v_mul_f32_e64 v37, v11, -v21
	v_fmac_f32_e32 v38, v21, v10
	v_fmac_f32_e32 v36, v12, v18
	v_mul_f32_e32 v39, v19, v12
	v_fmac_f32_e32 v37, v20, v10
	v_sub_f32_e32 v38, v19, v38
	v_sub_f32_e32 v36, v20, v36
	v_fma_f32 v19, v33, 0, -v32
	v_fmac_f32_e32 v39, v13, v18
	v_sub_f32_e32 v37, v18, v37
	v_fma_f32 v18, 0, v32, v33
	v_sub_f32_e32 v39, v21, v39
	v_div_fixup_f32 v20, v35, v34, 1.0
	v_mul_f32_e32 v33, v19, v20
	v_mul_f32_e32 v32, v18, v20
	;; [unrolled: 1-line block ×3, first 2 shown]
	v_mul_f32_e64 v18, v33, -v38
	v_fmac_f32_e32 v19, v38, v32
	v_fmac_f32_e32 v18, v37, v32
	s_waitcnt lgkmcnt(1)
	v_mul_f32_e64 v34, v19, -v25
	v_mul_f32_e32 v35, v19, v24
	v_mul_f32_e32 v21, v33, v36
	v_fmac_f32_e32 v34, v24, v18
	v_fmac_f32_e32 v35, v25, v18
	v_mul_f32_e64 v20, v33, -v39
	v_fmac_f32_e32 v21, v39, v32
	v_sub_f32_e32 v16, v16, v34
	v_sub_f32_e32 v17, v17, v35
	v_fmac_f32_e32 v20, v36, v32
	ds_write2_b64 v7, v[16:17], v[18:19] offset0:64 offset1:66
	s_waitcnt lgkmcnt(1)
	v_mul_f32_e64 v16, v21, -v31
	v_mul_f32_e32 v17, v21, v30
	v_mul_f32_e64 v18, v11, -v29
	v_mul_f32_e32 v11, v11, v28
	v_fmac_f32_e32 v16, v30, v20
	v_fmac_f32_e32 v17, v31, v20
	;; [unrolled: 1-line block ×3, first 2 shown]
	v_sub_f32_e32 v16, v22, v16
	v_sub_f32_e32 v17, v23, v17
	v_fmac_f32_e32 v18, v28, v10
	v_mul_f32_e32 v10, v33, v11
	v_mul_f32_e64 v11, v11, -v32
	ds_write2_b64 v7, v[20:21], v[16:17] offset0:81 offset1:83
	v_mul_f32_e32 v17, v27, v12
	v_fma_f32 v11, -v33, v18, v11
	v_mul_f32_e64 v16, v27, -v13
	v_fmac_f32_e32 v17, v13, v26
	v_fma_f32 v10, -v32, v18, v10
	v_mul_f32_e64 v20, v11, -v25
	v_mul_f32_e32 v21, v11, v24
	v_fmac_f32_e32 v16, v12, v26
	v_mul_f32_e32 v12, v33, v17
	v_mul_f32_e64 v13, v17, -v32
	v_mul_f32_e32 v17, v32, v27
	v_fmac_f32_e32 v20, v24, v10
	v_fmac_f32_e32 v21, v25, v10
	v_fma_f32 v12, -v32, v16, v12
	v_fma_f32 v13, -v33, v16, v13
	v_mul_f32_e64 v16, v27, -v33
	v_fmac_f32_e32 v17, v33, v26
	v_sub_f32_e32 v8, v8, v20
	v_sub_f32_e32 v9, v9, v21
	v_fmac_f32_e32 v16, v32, v26
	ds_write2_b64 v7, v[8:9], v[10:11] offset0:32 offset1:34
	v_mul_f32_e32 v8, v17, v25
	v_mul_f32_e64 v9, v17, -v24
	v_fma_f32 v8, -v24, v16, v8
	v_fma_f32 v9, -v25, v16, v9
	ds_write2_b64 v7, v[8:9], v[16:17] offset1:2
	v_mul_f32_e64 v8, v31, -v13
	v_mul_f32_e32 v9, v31, v12
	v_mul_f32_e32 v19, v32, v29
	v_fmac_f32_e32 v8, v12, v30
	v_fmac_f32_e32 v9, v13, v30
	v_mul_f32_e64 v18, v29, -v33
	v_fmac_f32_e32 v19, v33, v28
	v_sub_f32_e32 v8, v14, v8
	v_sub_f32_e32 v9, v15, v9
	v_fmac_f32_e32 v18, v32, v28
	ds_write2_b64 v7, v[12:13], v[8:9] offset0:17 offset1:19
	v_mul_f32_e32 v8, v31, v19
	v_mul_f32_e64 v9, v19, -v30
	v_fma_f32 v8, -v30, v18, v8
	v_fma_f32 v9, -v31, v18, v9
	ds_write2_b64 v7, v[18:19], v[8:9] offset0:49 offset1:51
.LBB188_4:
	s_or_b64 exec, exec, s[4:5]
	v_cmp_gt_u32_e64 s[4:5], 2, v0
	v_lshlrev_b32_e32 v8, 6, v0
	s_waitcnt lgkmcnt(0)
	; wave barrier
	s_and_saveexec_b64 s[6:7], s[4:5]
	s_cbranch_execz .LBB188_6
; %bb.5:
	ds_read2_b64 v[9:12], v8 offset0:32 offset1:36
	ds_read2_b64 v[13:16], v8 offset0:19 offset1:23
	s_waitcnt lgkmcnt(0)
	v_mul_f32_e64 v17, v14, -v12
	v_mul_f32_e32 v33, v14, v11
	v_fmac_f32_e32 v17, v11, v13
	v_fmac_f32_e32 v33, v12, v13
	v_sub_f32_e32 v34, 1.0, v17
	v_mul_f32_e64 v35, -v33, -v33
	v_fmac_f32_e32 v35, v34, v34
	v_div_scale_f32 v36, s[8:9], v35, v35, 1.0
	v_div_scale_f32 v37, vcc, 1.0, v35, 1.0
	ds_read2_b64 v[17:20], v8 offset0:64 offset1:68
	ds_read2_b64 v[21:24], v8 offset0:83 offset1:87
	ds_read2_b64 v[25:28], v8 offset1:4
	ds_read2_b64 v[29:32], v8 offset0:51 offset1:55
	v_sub_f32_e32 v33, 0, v33
	v_rcp_f32_e32 v38, v36
	v_fma_f32 v39, -v36, v38, 1.0
	v_fmac_f32_e32 v38, v39, v38
	v_mul_f32_e32 v39, v37, v38
	v_fma_f32 v40, -v36, v39, v37
	v_fmac_f32_e32 v39, v40, v38
	v_fma_f32 v36, -v36, v39, v37
	v_div_fmas_f32 v36, v36, v38, v39
	s_waitcnt lgkmcnt(3)
	v_mul_f32_e64 v37, v20, -v14
	s_waitcnt lgkmcnt(2)
	v_mul_f32_e32 v39, v12, v21
	v_mul_f32_e64 v38, v12, -v22
	v_fmac_f32_e32 v39, v22, v11
	v_fmac_f32_e32 v37, v13, v19
	v_mul_f32_e32 v40, v20, v13
	v_fmac_f32_e32 v38, v21, v11
	v_sub_f32_e32 v39, v20, v39
	v_sub_f32_e32 v37, v21, v37
	v_fma_f32 v20, v34, 0, -v33
	v_fmac_f32_e32 v40, v14, v19
	v_sub_f32_e32 v38, v19, v38
	v_fma_f32 v19, 0, v33, v34
	v_sub_f32_e32 v40, v22, v40
	v_div_fixup_f32 v21, v36, v35, 1.0
	v_mul_f32_e32 v34, v20, v21
	v_mul_f32_e32 v33, v19, v21
	;; [unrolled: 1-line block ×3, first 2 shown]
	v_mul_f32_e64 v19, v34, -v39
	v_fmac_f32_e32 v20, v39, v33
	v_fmac_f32_e32 v19, v38, v33
	s_waitcnt lgkmcnt(1)
	v_mul_f32_e64 v35, v20, -v26
	v_mul_f32_e32 v36, v20, v25
	v_mul_f32_e32 v22, v34, v37
	v_fmac_f32_e32 v35, v25, v19
	v_fmac_f32_e32 v36, v26, v19
	v_mul_f32_e64 v21, v34, -v40
	v_fmac_f32_e32 v22, v40, v33
	v_sub_f32_e32 v17, v17, v35
	v_sub_f32_e32 v18, v18, v36
	v_fmac_f32_e32 v21, v37, v33
	ds_write2_b64 v8, v[17:18], v[19:20] offset0:64 offset1:68
	s_waitcnt lgkmcnt(1)
	v_mul_f32_e64 v17, v22, -v32
	v_mul_f32_e32 v18, v22, v31
	v_mul_f32_e64 v19, v12, -v30
	v_mul_f32_e32 v12, v12, v29
	v_fmac_f32_e32 v17, v31, v21
	v_fmac_f32_e32 v18, v32, v21
	;; [unrolled: 1-line block ×3, first 2 shown]
	v_sub_f32_e32 v17, v23, v17
	v_sub_f32_e32 v18, v24, v18
	v_fmac_f32_e32 v19, v29, v11
	v_mul_f32_e32 v11, v34, v12
	v_mul_f32_e64 v12, v12, -v33
	ds_write2_b64 v8, v[21:22], v[17:18] offset0:83 offset1:87
	v_mul_f32_e32 v18, v28, v13
	v_fma_f32 v12, -v34, v19, v12
	v_mul_f32_e64 v17, v28, -v14
	v_fmac_f32_e32 v18, v14, v27
	v_fma_f32 v11, -v33, v19, v11
	v_mul_f32_e64 v21, v12, -v26
	v_mul_f32_e32 v22, v12, v25
	v_fmac_f32_e32 v17, v13, v27
	v_mul_f32_e32 v13, v34, v18
	v_mul_f32_e64 v14, v18, -v33
	v_mul_f32_e32 v18, v33, v28
	v_fmac_f32_e32 v21, v25, v11
	v_fmac_f32_e32 v22, v26, v11
	v_fma_f32 v13, -v33, v17, v13
	v_fma_f32 v14, -v34, v17, v14
	v_mul_f32_e64 v17, v28, -v34
	v_fmac_f32_e32 v18, v34, v27
	v_sub_f32_e32 v9, v9, v21
	v_sub_f32_e32 v10, v10, v22
	v_fmac_f32_e32 v17, v33, v27
	ds_write2_b64 v8, v[9:10], v[11:12] offset0:32 offset1:36
	v_mul_f32_e32 v9, v18, v26
	v_mul_f32_e64 v10, v18, -v25
	v_fma_f32 v9, -v25, v17, v9
	v_fma_f32 v10, -v26, v17, v10
	ds_write2_b64 v8, v[9:10], v[17:18] offset1:4
	v_mul_f32_e64 v9, v32, -v14
	v_mul_f32_e32 v10, v32, v13
	v_mul_f32_e32 v20, v33, v30
	v_fmac_f32_e32 v9, v13, v31
	v_fmac_f32_e32 v10, v14, v31
	v_mul_f32_e64 v19, v30, -v34
	v_fmac_f32_e32 v20, v34, v29
	v_sub_f32_e32 v9, v15, v9
	v_sub_f32_e32 v10, v16, v10
	v_fmac_f32_e32 v19, v33, v29
	ds_write2_b64 v8, v[13:14], v[9:10] offset0:19 offset1:23
	v_mul_f32_e32 v9, v32, v20
	v_mul_f32_e64 v10, v20, -v31
	v_fma_f32 v9, -v31, v19, v9
	v_fma_f32 v10, -v32, v19, v10
	ds_write2_b64 v8, v[19:20], v[9:10] offset0:51 offset1:55
.LBB188_6:
	s_or_b64 exec, exec, s[6:7]
	v_cmp_eq_u32_e32 vcc, 0, v0
	s_waitcnt lgkmcnt(0)
	; wave barrier
	s_and_saveexec_b64 s[6:7], vcc
	s_cbranch_execz .LBB188_8
; %bb.7:
	v_mov_b32_e32 v33, 0
	ds_read2_b64 v[9:12], v33 offset0:32 offset1:40
	ds_read2_b64 v[13:16], v33 offset0:23 offset1:31
	s_waitcnt lgkmcnt(0)
	v_mul_f32_e64 v17, v14, -v12
	v_mul_f32_e32 v34, v14, v11
	v_fmac_f32_e32 v17, v11, v13
	v_fmac_f32_e32 v34, v12, v13
	v_sub_f32_e32 v35, 1.0, v17
	v_mul_f32_e64 v36, -v34, -v34
	v_fmac_f32_e32 v36, v35, v35
	v_div_scale_f32 v37, s[8:9], v36, v36, 1.0
	v_div_scale_f32 v38, vcc, 1.0, v36, 1.0
	ds_read2_b64 v[17:20], v33 offset0:55 offset1:72
	ds_read2_b64 v[21:24], v33 offset0:87 offset1:95
	ds_read2_b64 v[25:28], v33 offset0:63 offset1:64
	ds_read2_b64 v[29:32], v33 offset1:8
	v_sub_f32_e32 v34, 0, v34
	v_rcp_f32_e32 v39, v37
	v_fma_f32 v40, -v37, v39, 1.0
	v_fmac_f32_e32 v39, v40, v39
	v_mul_f32_e32 v40, v38, v39
	v_fma_f32 v41, -v37, v40, v38
	v_fmac_f32_e32 v40, v41, v39
	v_fma_f32 v37, -v37, v40, v38
	v_div_fmas_f32 v37, v37, v39, v40
	s_waitcnt lgkmcnt(3)
	v_mul_f32_e64 v38, v20, -v14
	s_waitcnt lgkmcnt(2)
	v_mul_f32_e32 v41, v12, v21
	v_mul_f32_e64 v40, v12, -v22
	v_fmac_f32_e32 v38, v13, v19
	v_fmac_f32_e32 v41, v22, v11
	v_mul_f32_e32 v39, v20, v13
	v_fmac_f32_e32 v40, v21, v11
	v_sub_f32_e32 v38, v21, v38
	v_sub_f32_e32 v41, v20, v41
	v_fma_f32 v20, v35, 0, -v34
	v_fmac_f32_e32 v39, v14, v19
	v_sub_f32_e32 v40, v19, v40
	v_fma_f32 v19, 0, v34, v35
	v_sub_f32_e32 v39, v22, v39
	v_div_fixup_f32 v21, v37, v36, 1.0
	v_mul_f32_e32 v35, v20, v21
	v_mul_f32_e32 v34, v19, v21
	;; [unrolled: 1-line block ×3, first 2 shown]
	v_mul_f32_e64 v19, v35, -v39
	v_fmac_f32_e32 v20, v39, v34
	v_mul_f32_e32 v22, v35, v40
	v_fmac_f32_e32 v19, v38, v34
	s_waitcnt lgkmcnt(1)
	v_mul_f32_e64 v36, v20, -v26
	v_mul_f32_e32 v37, v20, v25
	v_mul_f32_e64 v21, v35, -v41
	v_fmac_f32_e32 v22, v41, v34
	v_fmac_f32_e32 v36, v25, v19
	;; [unrolled: 1-line block ×4, first 2 shown]
	v_sub_f32_e32 v23, v23, v36
	v_sub_f32_e32 v24, v24, v37
	s_waitcnt lgkmcnt(0)
	v_mul_f32_e64 v36, v22, -v30
	v_mul_f32_e32 v37, v22, v29
	v_fmac_f32_e32 v36, v29, v21
	v_fmac_f32_e32 v37, v30, v21
	v_sub_f32_e32 v27, v27, v36
	v_sub_f32_e32 v28, v28, v37
	ds_write2_b64 v33, v[27:28], v[21:22] offset0:64 offset1:72
	ds_write2_b64 v33, v[19:20], v[23:24] offset0:87 offset1:95
	v_mul_f32_e32 v20, v32, v13
	v_mul_f32_e64 v19, v32, -v14
	v_fmac_f32_e32 v20, v14, v31
	v_mul_f32_e32 v21, v12, v17
	v_fmac_f32_e32 v19, v13, v31
	v_mul_f32_e32 v13, v35, v20
	v_mul_f32_e64 v14, v20, -v34
	v_mul_f32_e64 v20, v12, -v18
	v_fmac_f32_e32 v21, v18, v11
	v_fma_f32 v13, -v34, v19, v13
	v_fma_f32 v14, -v35, v19, v14
	v_fmac_f32_e32 v20, v17, v11
	v_mul_f32_e32 v19, v35, v21
	v_mul_f32_e64 v21, v21, -v34
	v_fma_f32 v19, -v34, v20, v19
	v_fma_f32 v20, -v35, v20, v21
	v_mul_f32_e64 v11, v18, -v35
	v_mul_f32_e32 v12, v34, v18
	v_mul_f32_e32 v18, v34, v32
	ds_write2_b64 v33, v[13:14], v[19:20] offset0:23 offset1:40
	v_mul_f32_e64 v21, v20, -v30
	v_mul_f32_e32 v20, v20, v29
	v_fmac_f32_e32 v11, v34, v17
	v_fmac_f32_e32 v12, v35, v17
	v_mul_f32_e64 v17, v32, -v35
	v_fmac_f32_e32 v18, v35, v31
	v_fmac_f32_e32 v20, v30, v19
	;; [unrolled: 1-line block ×4, first 2 shown]
	v_sub_f32_e32 v10, v10, v20
	v_mul_f32_e32 v19, v18, v30
	v_mul_f32_e64 v20, v18, -v29
	v_fma_f32 v19, -v29, v17, v19
	v_fma_f32 v20, -v30, v17, v20
	ds_write2_b64 v33, v[19:20], v[17:18] offset1:8
	v_mul_f32_e64 v17, v26, -v14
	v_mul_f32_e32 v18, v26, v13
	v_fmac_f32_e32 v17, v13, v25
	v_fmac_f32_e32 v18, v14, v25
	v_sub_f32_e32 v9, v9, v21
	v_sub_f32_e32 v13, v15, v17
	v_sub_f32_e32 v14, v16, v18
	ds_write2_b64 v33, v[13:14], v[9:10] offset0:31 offset1:32
	v_mul_f32_e32 v9, v26, v12
	v_mul_f32_e64 v10, v12, -v25
	v_fma_f32 v9, -v25, v11, v9
	v_fma_f32 v10, -v26, v11, v10
	ds_write2_b64 v33, v[11:12], v[9:10] offset0:55 offset1:63
.LBB188_8:
	s_or_b64 exec, exec, s[6:7]
	s_waitcnt lgkmcnt(0)
	; wave barrier
	s_and_saveexec_b64 s[6:7], s[4:5]
	s_cbranch_execz .LBB188_10
; %bb.9:
	v_max_u32_e32 v9, 1, v6
	v_lshlrev_b32_e32 v25, 3, v9
	ds_read2_b64 v[9:12], v8 offset0:36 offset1:51
	ds_read_b64 v[21:22], v25 offset:632
	v_min_u32_e32 v6, 7, v6
	v_lshlrev_b32_e32 v6, 3, v6
	ds_read_b64 v[23:24], v6 offset:576
	ds_read2_b64 v[13:16], v8 offset0:68 offset1:83
	ds_read2_b64 v[17:20], v8 offset0:4 offset1:19
	s_waitcnt lgkmcnt(3)
	v_mul_f32_e64 v26, v22, -v12
	v_fmac_f32_e32 v26, v11, v21
	v_mul_f32_e32 v11, v22, v11
	v_fmac_f32_e32 v11, v12, v21
	s_waitcnt lgkmcnt(1)
	v_sub_f32_e32 v12, v15, v26
	v_sub_f32_e32 v15, v16, v11
	s_waitcnt lgkmcnt(0)
	v_mul_f32_e64 v11, v24, -v20
	v_mul_f32_e32 v16, v24, v19
	v_fmac_f32_e32 v11, v19, v23
	v_fmac_f32_e32 v16, v20, v23
	v_sub_f32_e32 v11, v12, v11
	v_sub_f32_e32 v12, v15, v16
	ds_write_b64 v8, v[11:12] offset:664
	ds_read_b64 v[11:12], v25 offset:632
	s_waitcnt lgkmcnt(0)
	v_mul_f32_e64 v15, v12, -v10
	v_mul_f32_e32 v12, v12, v9
	v_fmac_f32_e32 v15, v9, v11
	v_fmac_f32_e32 v12, v10, v11
	v_sub_f32_e32 v9, v13, v15
	v_sub_f32_e32 v10, v14, v12
	ds_write_b64 v8, v[9:10] offset:544
	ds_read_b64 v[11:12], v6 offset:576
	s_waitcnt lgkmcnt(0)
	v_mul_f32_e64 v6, v12, -v18
	v_mul_f32_e32 v12, v12, v17
	v_fmac_f32_e32 v6, v17, v11
	v_fmac_f32_e32 v12, v18, v11
	v_sub_f32_e32 v9, v9, v6
	v_sub_f32_e32 v10, v10, v12
	ds_write_b64 v8, v[9:10] offset:544
.LBB188_10:
	s_or_b64 exec, exec, s[6:7]
	s_waitcnt lgkmcnt(0)
	; wave barrier
	s_and_saveexec_b64 s[4:5], s[2:3]
	s_cbranch_execz .LBB188_12
; %bb.11:
	v_lshlrev_b32_e32 v6, 2, v0
	v_max_u32_e32 v8, 1, v6
	v_lshlrev_b32_e32 v24, 3, v8
	ds_read2_b64 v[8:11], v7 offset0:34 offset1:49
	ds_read_b64 v[20:21], v24 offset:632
	v_min_u32_e32 v6, 11, v6
	v_lshlrev_b32_e32 v6, 3, v6
	ds_read_b64 v[22:23], v6 offset:544
	ds_read2_b64 v[12:15], v7 offset0:66 offset1:81
	ds_read2_b64 v[16:19], v7 offset0:2 offset1:17
	s_waitcnt lgkmcnt(3)
	v_mul_f32_e64 v25, v21, -v11
	v_fmac_f32_e32 v25, v10, v20
	v_mul_f32_e32 v10, v21, v10
	v_fmac_f32_e32 v10, v11, v20
	s_waitcnt lgkmcnt(1)
	v_sub_f32_e32 v11, v14, v25
	v_sub_f32_e32 v14, v15, v10
	s_waitcnt lgkmcnt(0)
	v_mul_f32_e64 v10, v23, -v19
	v_mul_f32_e32 v15, v23, v18
	v_fmac_f32_e32 v10, v18, v22
	v_fmac_f32_e32 v15, v19, v22
	v_sub_f32_e32 v10, v11, v10
	v_sub_f32_e32 v11, v14, v15
	ds_write_b64 v7, v[10:11] offset:648
	ds_read_b64 v[10:11], v24 offset:632
	s_waitcnt lgkmcnt(0)
	v_mul_f32_e64 v14, v11, -v9
	v_mul_f32_e32 v11, v11, v8
	v_fmac_f32_e32 v14, v8, v10
	v_fmac_f32_e32 v11, v9, v10
	v_sub_f32_e32 v8, v12, v14
	v_sub_f32_e32 v9, v13, v11
	ds_write_b64 v7, v[8:9] offset:528
	ds_read_b64 v[10:11], v6 offset:544
	s_waitcnt lgkmcnt(0)
	v_mul_f32_e64 v6, v11, -v17
	v_mul_f32_e32 v11, v11, v16
	v_fmac_f32_e32 v6, v16, v10
	v_fmac_f32_e32 v11, v17, v10
	v_sub_f32_e32 v8, v8, v6
	v_sub_f32_e32 v9, v9, v11
	ds_write_b64 v7, v[8:9] offset:528
.LBB188_12:
	s_or_b64 exec, exec, s[4:5]
	s_waitcnt lgkmcnt(0)
	; wave barrier
	s_and_saveexec_b64 s[2:3], s[0:1]
	s_cbranch_execz .LBB188_14
; %bb.13:
	v_lshlrev_b32_e32 v10, 1, v0
	v_max_u32_e32 v6, 1, v10
	v_lshlrev_b32_e32 v0, 4, v0
	v_lshlrev_b32_e32 v22, 3, v6
	ds_read2_b64 v[6:9], v0 offset0:33 offset1:48
	ds_read_b64 v[18:19], v22 offset:632
	v_min_u32_e32 v10, 13, v10
	v_lshlrev_b32_e32 v23, 3, v10
	ds_read_b64 v[20:21], v23 offset:528
	ds_read2_b64 v[10:13], v0 offset0:65 offset1:80
	ds_read2_b64 v[14:17], v0 offset0:1 offset1:16
	s_waitcnt lgkmcnt(3)
	v_mul_f32_e64 v24, v19, -v9
	v_fmac_f32_e32 v24, v8, v18
	v_mul_f32_e32 v8, v19, v8
	v_fmac_f32_e32 v8, v9, v18
	s_waitcnt lgkmcnt(1)
	v_sub_f32_e32 v9, v12, v24
	v_sub_f32_e32 v12, v13, v8
	s_waitcnt lgkmcnt(0)
	v_mul_f32_e64 v8, v21, -v17
	v_mul_f32_e32 v13, v21, v16
	v_fmac_f32_e32 v8, v16, v20
	v_fmac_f32_e32 v13, v17, v20
	v_sub_f32_e32 v8, v9, v8
	v_sub_f32_e32 v9, v12, v13
	ds_write_b64 v0, v[8:9] offset:640
	ds_read_b64 v[8:9], v22 offset:632
	s_waitcnt lgkmcnt(0)
	v_mul_f32_e64 v12, v9, -v7
	v_mul_f32_e32 v9, v9, v6
	v_fmac_f32_e32 v12, v6, v8
	v_fmac_f32_e32 v9, v7, v8
	v_sub_f32_e32 v6, v10, v12
	v_sub_f32_e32 v7, v11, v9
	ds_write_b64 v0, v[6:7] offset:520
	ds_read_b64 v[8:9], v23 offset:528
	s_waitcnt lgkmcnt(0)
	v_mul_f32_e64 v10, v9, -v15
	v_mul_f32_e32 v9, v9, v14
	v_fmac_f32_e32 v10, v14, v8
	v_fmac_f32_e32 v9, v15, v8
	v_sub_f32_e32 v6, v6, v10
	v_sub_f32_e32 v7, v7, v9
	ds_write_b64 v0, v[6:7] offset:520
.LBB188_14:
	s_or_b64 exec, exec, s[2:3]
	s_waitcnt lgkmcnt(0)
	; wave barrier
	ds_read2_b64 v[5:8], v5 offset1:16
	s_waitcnt lgkmcnt(0)
	global_store_dwordx2 v[1:2], v[5:6], off
	global_store_dwordx2 v[3:4], v[7:8], off
	s_endpgm
	.section	.rodata,"a",@progbits
	.p2align	6, 0x0
	.amdhsa_kernel _ZN9rocsparseL34gtsv_solve_spike_grid_level_kernelILj16E21rocsparse_complex_numIfEEEviiiPT0_PKS3_S6_
		.amdhsa_group_segment_fixed_size 768
		.amdhsa_private_segment_fixed_size 0
		.amdhsa_kernarg_size 40
		.amdhsa_user_sgpr_count 6
		.amdhsa_user_sgpr_private_segment_buffer 1
		.amdhsa_user_sgpr_dispatch_ptr 0
		.amdhsa_user_sgpr_queue_ptr 0
		.amdhsa_user_sgpr_kernarg_segment_ptr 1
		.amdhsa_user_sgpr_dispatch_id 0
		.amdhsa_user_sgpr_flat_scratch_init 0
		.amdhsa_user_sgpr_private_segment_size 0
		.amdhsa_uses_dynamic_stack 0
		.amdhsa_system_sgpr_private_segment_wavefront_offset 0
		.amdhsa_system_sgpr_workgroup_id_x 1
		.amdhsa_system_sgpr_workgroup_id_y 1
		.amdhsa_system_sgpr_workgroup_id_z 0
		.amdhsa_system_sgpr_workgroup_info 0
		.amdhsa_system_vgpr_workitem_id 0
		.amdhsa_next_free_vgpr 42
		.amdhsa_next_free_sgpr 10
		.amdhsa_reserve_vcc 1
		.amdhsa_reserve_flat_scratch 0
		.amdhsa_float_round_mode_32 0
		.amdhsa_float_round_mode_16_64 0
		.amdhsa_float_denorm_mode_32 3
		.amdhsa_float_denorm_mode_16_64 3
		.amdhsa_dx10_clamp 1
		.amdhsa_ieee_mode 1
		.amdhsa_fp16_overflow 0
		.amdhsa_exception_fp_ieee_invalid_op 0
		.amdhsa_exception_fp_denorm_src 0
		.amdhsa_exception_fp_ieee_div_zero 0
		.amdhsa_exception_fp_ieee_overflow 0
		.amdhsa_exception_fp_ieee_underflow 0
		.amdhsa_exception_fp_ieee_inexact 0
		.amdhsa_exception_int_div_zero 0
	.end_amdhsa_kernel
	.section	.text._ZN9rocsparseL34gtsv_solve_spike_grid_level_kernelILj16E21rocsparse_complex_numIfEEEviiiPT0_PKS3_S6_,"axG",@progbits,_ZN9rocsparseL34gtsv_solve_spike_grid_level_kernelILj16E21rocsparse_complex_numIfEEEviiiPT0_PKS3_S6_,comdat
.Lfunc_end188:
	.size	_ZN9rocsparseL34gtsv_solve_spike_grid_level_kernelILj16E21rocsparse_complex_numIfEEEviiiPT0_PKS3_S6_, .Lfunc_end188-_ZN9rocsparseL34gtsv_solve_spike_grid_level_kernelILj16E21rocsparse_complex_numIfEEEviiiPT0_PKS3_S6_
                                        ; -- End function
	.set _ZN9rocsparseL34gtsv_solve_spike_grid_level_kernelILj16E21rocsparse_complex_numIfEEEviiiPT0_PKS3_S6_.num_vgpr, 42
	.set _ZN9rocsparseL34gtsv_solve_spike_grid_level_kernelILj16E21rocsparse_complex_numIfEEEviiiPT0_PKS3_S6_.num_agpr, 0
	.set _ZN9rocsparseL34gtsv_solve_spike_grid_level_kernelILj16E21rocsparse_complex_numIfEEEviiiPT0_PKS3_S6_.numbered_sgpr, 10
	.set _ZN9rocsparseL34gtsv_solve_spike_grid_level_kernelILj16E21rocsparse_complex_numIfEEEviiiPT0_PKS3_S6_.num_named_barrier, 0
	.set _ZN9rocsparseL34gtsv_solve_spike_grid_level_kernelILj16E21rocsparse_complex_numIfEEEviiiPT0_PKS3_S6_.private_seg_size, 0
	.set _ZN9rocsparseL34gtsv_solve_spike_grid_level_kernelILj16E21rocsparse_complex_numIfEEEviiiPT0_PKS3_S6_.uses_vcc, 1
	.set _ZN9rocsparseL34gtsv_solve_spike_grid_level_kernelILj16E21rocsparse_complex_numIfEEEviiiPT0_PKS3_S6_.uses_flat_scratch, 0
	.set _ZN9rocsparseL34gtsv_solve_spike_grid_level_kernelILj16E21rocsparse_complex_numIfEEEviiiPT0_PKS3_S6_.has_dyn_sized_stack, 0
	.set _ZN9rocsparseL34gtsv_solve_spike_grid_level_kernelILj16E21rocsparse_complex_numIfEEEviiiPT0_PKS3_S6_.has_recursion, 0
	.set _ZN9rocsparseL34gtsv_solve_spike_grid_level_kernelILj16E21rocsparse_complex_numIfEEEviiiPT0_PKS3_S6_.has_indirect_call, 0
	.section	.AMDGPU.csdata,"",@progbits
; Kernel info:
; codeLenInByte = 3692
; TotalNumSgprs: 14
; NumVgprs: 42
; ScratchSize: 0
; MemoryBound: 0
; FloatMode: 240
; IeeeMode: 1
; LDSByteSize: 768 bytes/workgroup (compile time only)
; SGPRBlocks: 1
; VGPRBlocks: 10
; NumSGPRsForWavesPerEU: 14
; NumVGPRsForWavesPerEU: 42
; Occupancy: 5
; WaveLimiterHint : 1
; COMPUTE_PGM_RSRC2:SCRATCH_EN: 0
; COMPUTE_PGM_RSRC2:USER_SGPR: 6
; COMPUTE_PGM_RSRC2:TRAP_HANDLER: 0
; COMPUTE_PGM_RSRC2:TGID_X_EN: 1
; COMPUTE_PGM_RSRC2:TGID_Y_EN: 1
; COMPUTE_PGM_RSRC2:TGID_Z_EN: 0
; COMPUTE_PGM_RSRC2:TIDIG_COMP_CNT: 0
	.section	.text._ZN9rocsparseL34gtsv_solve_spike_grid_level_kernelILj32E21rocsparse_complex_numIfEEEviiiPT0_PKS3_S6_,"axG",@progbits,_ZN9rocsparseL34gtsv_solve_spike_grid_level_kernelILj32E21rocsparse_complex_numIfEEEviiiPT0_PKS3_S6_,comdat
	.globl	_ZN9rocsparseL34gtsv_solve_spike_grid_level_kernelILj32E21rocsparse_complex_numIfEEEviiiPT0_PKS3_S6_ ; -- Begin function _ZN9rocsparseL34gtsv_solve_spike_grid_level_kernelILj32E21rocsparse_complex_numIfEEEviiiPT0_PKS3_S6_
	.p2align	8
	.type	_ZN9rocsparseL34gtsv_solve_spike_grid_level_kernelILj32E21rocsparse_complex_numIfEEEviiiPT0_PKS3_S6_,@function
_ZN9rocsparseL34gtsv_solve_spike_grid_level_kernelILj32E21rocsparse_complex_numIfEEEviiiPT0_PKS3_S6_: ; @_ZN9rocsparseL34gtsv_solve_spike_grid_level_kernelILj32E21rocsparse_complex_numIfEEEviiiPT0_PKS3_S6_
; %bb.0:
	s_load_dwordx4 s[0:3], s[4:5], 0x10
	s_load_dwordx2 s[8:9], s[4:5], 0x20
	v_lshl_or_b32 v3, s7, 6, v0
	v_mov_b32_e32 v4, 0
	v_lshlrev_b64 v[1:2], 3, v[3:4]
	v_or_b32_e32 v3, 32, v3
	s_waitcnt lgkmcnt(0)
	v_mov_b32_e32 v5, s1
	v_add_co_u32_e32 v1, vcc, s0, v1
	v_lshlrev_b64 v[3:4], 3, v[3:4]
	v_addc_co_u32_e32 v2, vcc, v5, v2, vcc
	v_lshlrev_b32_e32 v6, 3, v0
	v_add_co_u32_e32 v3, vcc, s0, v3
	global_load_dwordx2 v[7:8], v6, s[2:3]
	global_load_dwordx2 v[9:10], v6, s[2:3] offset:256
	global_load_dwordx2 v[11:12], v6, s[8:9]
	global_load_dwordx2 v[13:14], v6, s[8:9] offset:256
	v_addc_co_u32_e32 v4, vcc, v5, v4, vcc
	global_load_dwordx2 v[15:16], v[1:2], off
	global_load_dwordx2 v[17:18], v[3:4], off
	v_or_b32_e32 v5, 0x400, v6
	v_cmp_gt_u32_e64 s[0:1], 16, v0
	s_waitcnt vmcnt(4)
	ds_write2_b64 v6, v[7:8], v[9:10] offset0:64 offset1:96
	s_waitcnt vmcnt(2)
	ds_write2_b64 v6, v[11:12], v[13:14] offset1:32
	s_waitcnt vmcnt(0)
	ds_write2_b64 v6, v[15:16], v[17:18] offset0:128 offset1:160
	s_waitcnt lgkmcnt(0)
	; wave barrier
	s_and_saveexec_b64 s[2:3], s[0:1]
	s_cbranch_execz .LBB189_2
; %bb.1:
	v_or_b32_e32 v7, 0x200, v6
	v_add_u32_e32 v33, v7, v6
	v_add_u32_e32 v34, v6, v6
	ds_read_b128 v[7:10], v33
	ds_read_b64 v[31:32], v34 offset:256
	ds_read2_b64 v[11:14], v34 offset1:1
	ds_read_b128 v[15:18], v33 offset:256
	v_add_u32_e32 v35, v5, v6
	s_waitcnt lgkmcnt(2)
	v_mul_f32_e64 v19, v32, -v10
	v_mul_f32_e32 v27, v32, v9
	v_fmac_f32_e32 v19, v9, v31
	v_fmac_f32_e32 v27, v10, v31
	v_sub_f32_e32 v28, 1.0, v19
	v_mul_f32_e64 v29, -v27, -v27
	v_fmac_f32_e32 v29, v28, v28
	v_div_scale_f32 v19, s[4:5], v29, v29, 1.0
	v_div_scale_f32 v20, vcc, 1.0, v29, 1.0
	v_sub_f32_e32 v27, 0, v27
	v_fma_f32 v39, 0, v27, v28
	v_fma_f32 v27, v28, 0, -v27
	v_rcp_f32_e32 v21, v19
	v_fma_f32 v22, -v19, v21, 1.0
	v_fmac_f32_e32 v21, v22, v21
	v_mul_f32_e32 v22, v20, v21
	v_fma_f32 v23, -v19, v22, v20
	v_fmac_f32_e32 v22, v23, v21
	v_fma_f32 v19, -v19, v22, v20
	v_div_fmas_f32 v30, v19, v21, v22
	ds_read2_b64 v[19:22], v35 offset1:1
	ds_read_b128 v[23:26], v35 offset:256
	s_waitcnt lgkmcnt(1)
	v_mul_f32_e64 v36, v22, -v32
	s_waitcnt lgkmcnt(0)
	v_mul_f32_e64 v37, v10, -v24
	v_mul_f32_e32 v38, v10, v23
	v_fmac_f32_e32 v37, v23, v9
	v_fmac_f32_e32 v38, v24, v9
	v_sub_f32_e32 v37, v21, v37
	v_sub_f32_e32 v38, v22, v38
	v_mul_f32_e32 v22, v22, v31
	v_fmac_f32_e32 v36, v31, v21
	v_fmac_f32_e32 v22, v32, v21
	v_sub_f32_e32 v21, v23, v36
	v_div_fixup_f32 v28, v30, v29, 1.0
	v_mul_f32_e32 v40, v27, v28
	v_mul_f32_e32 v39, v39, v28
	;; [unrolled: 1-line block ×3, first 2 shown]
	v_mul_f32_e64 v29, v40, -v38
	v_fmac_f32_e32 v30, v38, v39
	v_fmac_f32_e32 v29, v37, v39
	v_mul_f32_e64 v23, v30, -v12
	v_fmac_f32_e32 v23, v11, v29
	v_sub_f32_e32 v27, v19, v23
	v_mul_f32_e32 v19, v30, v11
	v_fmac_f32_e32 v19, v12, v29
	v_sub_f32_e32 v22, v24, v22
	v_sub_f32_e32 v28, v20, v19
	v_mul_f32_e32 v20, v40, v21
	v_mul_f32_e64 v19, v40, -v22
	v_fmac_f32_e32 v20, v22, v39
	v_fmac_f32_e32 v19, v21, v39
	v_mul_f32_e64 v21, v20, -v18
	v_mul_f32_e32 v22, v20, v17
	v_fmac_f32_e32 v21, v17, v19
	v_fmac_f32_e32 v22, v18, v19
	v_sub_f32_e32 v21, v25, v21
	v_sub_f32_e32 v22, v26, v22
	ds_write_b128 v35, v[27:30]
	ds_write_b128 v35, v[19:22] offset:256
	v_mul_f32_e64 v19, v10, -v16
	v_mul_f32_e32 v10, v10, v15
	v_fmac_f32_e32 v10, v16, v9
	v_fmac_f32_e32 v19, v15, v9
	v_mul_f32_e32 v9, v40, v10
	v_mul_f32_e64 v10, v10, -v39
	v_fma_f32 v10, -v40, v19, v10
	v_fma_f32 v9, -v39, v19, v9
	v_mul_f32_e64 v19, v10, -v12
	v_fmac_f32_e32 v19, v11, v9
	v_mul_f32_e32 v22, v39, v14
	v_sub_f32_e32 v7, v7, v19
	v_mul_f32_e32 v19, v10, v11
	v_mul_f32_e64 v23, v14, -v32
	v_mul_f32_e32 v24, v14, v31
	v_mul_f32_e64 v21, v14, -v40
	v_fmac_f32_e32 v22, v40, v13
	v_fmac_f32_e32 v19, v12, v9
	;; [unrolled: 1-line block ×5, first 2 shown]
	v_mul_f32_e32 v13, v22, v12
	v_sub_f32_e32 v8, v8, v19
	v_fma_f32 v19, -v11, v21, v13
	v_mul_f32_e64 v11, v22, -v11
	v_fma_f32 v20, -v12, v21, v11
	v_mul_f32_e32 v11, v40, v24
	v_mul_f32_e64 v12, v24, -v39
	v_fma_f32 v11, -v39, v23, v11
	v_fma_f32 v12, -v40, v23, v12
	ds_write_b64 v34, v[11:12] offset:256
	ds_read_b128 v[23:26], v34 offset:256
	ds_write_b128 v33, v[7:10]
	ds_write_b128 v34, v[19:22]
	v_mul_f32_e32 v12, v39, v16
	v_mul_f32_e64 v11, v16, -v40
	v_fmac_f32_e32 v12, v40, v15
	s_waitcnt lgkmcnt(2)
	v_mul_f32_e64 v7, v18, -v24
	v_mul_f32_e32 v8, v18, v23
	v_fmac_f32_e32 v7, v23, v17
	v_fmac_f32_e32 v8, v24, v17
	v_sub_f32_e32 v7, v25, v7
	v_sub_f32_e32 v8, v26, v8
	v_fmac_f32_e32 v11, v39, v15
	ds_write_b64 v34, v[7:8] offset:264
	v_mul_f32_e32 v7, v18, v12
	v_fma_f32 v13, -v17, v11, v7
	v_mul_f32_e64 v7, v12, -v17
	v_fma_f32 v14, -v18, v11, v7
	ds_write_b128 v33, v[11:14] offset:256
.LBB189_2:
	s_or_b64 exec, exec, s[2:3]
	v_cmp_gt_u32_e64 s[2:3], 8, v0
	v_lshlrev_b32_e32 v7, 5, v0
	s_waitcnt lgkmcnt(0)
	; wave barrier
	s_and_saveexec_b64 s[4:5], s[2:3]
	s_cbranch_execz .LBB189_4
; %bb.3:
	ds_read2_b64 v[8:11], v7 offset0:64 offset1:66
	ds_read2_b64 v[12:15], v7 offset0:33 offset1:35
	s_waitcnt lgkmcnt(0)
	v_mul_f32_e64 v16, v13, -v11
	v_mul_f32_e32 v32, v13, v10
	v_fmac_f32_e32 v16, v10, v12
	v_fmac_f32_e32 v32, v11, v12
	v_sub_f32_e32 v33, 1.0, v16
	v_mul_f32_e64 v34, -v32, -v32
	v_fmac_f32_e32 v34, v33, v33
	v_div_scale_f32 v35, s[6:7], v34, v34, 1.0
	v_div_scale_f32 v36, vcc, 1.0, v34, 1.0
	ds_read2_b64 v[16:19], v7 offset0:128 offset1:130
	ds_read2_b64 v[20:23], v7 offset0:161 offset1:163
	ds_read2_b64 v[24:27], v7 offset1:2
	ds_read2_b64 v[28:31], v7 offset0:97 offset1:99
	v_sub_f32_e32 v32, 0, v32
	v_rcp_f32_e32 v37, v35
	v_fma_f32 v38, -v35, v37, 1.0
	v_fmac_f32_e32 v37, v38, v37
	v_mul_f32_e32 v38, v36, v37
	v_fma_f32 v39, -v35, v38, v36
	v_fmac_f32_e32 v38, v39, v37
	v_fma_f32 v35, -v35, v38, v36
	v_div_fmas_f32 v35, v35, v37, v38
	s_waitcnt lgkmcnt(3)
	v_mul_f32_e64 v36, v19, -v13
	s_waitcnt lgkmcnt(2)
	v_mul_f32_e32 v38, v11, v20
	v_mul_f32_e64 v37, v11, -v21
	v_fmac_f32_e32 v38, v21, v10
	v_fmac_f32_e32 v36, v12, v18
	v_mul_f32_e32 v39, v19, v12
	v_fmac_f32_e32 v37, v20, v10
	v_sub_f32_e32 v38, v19, v38
	v_sub_f32_e32 v36, v20, v36
	v_fma_f32 v19, v33, 0, -v32
	v_fmac_f32_e32 v39, v13, v18
	v_sub_f32_e32 v37, v18, v37
	v_fma_f32 v18, 0, v32, v33
	v_sub_f32_e32 v39, v21, v39
	v_div_fixup_f32 v20, v35, v34, 1.0
	v_mul_f32_e32 v33, v19, v20
	v_mul_f32_e32 v32, v18, v20
	;; [unrolled: 1-line block ×3, first 2 shown]
	v_mul_f32_e64 v18, v33, -v38
	v_fmac_f32_e32 v19, v38, v32
	v_fmac_f32_e32 v18, v37, v32
	s_waitcnt lgkmcnt(1)
	v_mul_f32_e64 v34, v19, -v25
	v_mul_f32_e32 v35, v19, v24
	v_mul_f32_e32 v21, v33, v36
	v_fmac_f32_e32 v34, v24, v18
	v_fmac_f32_e32 v35, v25, v18
	v_mul_f32_e64 v20, v33, -v39
	v_fmac_f32_e32 v21, v39, v32
	v_sub_f32_e32 v16, v16, v34
	v_sub_f32_e32 v17, v17, v35
	v_fmac_f32_e32 v20, v36, v32
	ds_write2_b64 v7, v[16:17], v[18:19] offset0:128 offset1:130
	s_waitcnt lgkmcnt(1)
	v_mul_f32_e64 v16, v21, -v31
	v_mul_f32_e32 v17, v21, v30
	v_mul_f32_e64 v18, v11, -v29
	v_mul_f32_e32 v11, v11, v28
	v_fmac_f32_e32 v16, v30, v20
	v_fmac_f32_e32 v17, v31, v20
	;; [unrolled: 1-line block ×3, first 2 shown]
	v_sub_f32_e32 v16, v22, v16
	v_sub_f32_e32 v17, v23, v17
	v_fmac_f32_e32 v18, v28, v10
	v_mul_f32_e32 v10, v33, v11
	v_mul_f32_e64 v11, v11, -v32
	ds_write2_b64 v7, v[20:21], v[16:17] offset0:161 offset1:163
	v_mul_f32_e32 v17, v27, v12
	v_fma_f32 v11, -v33, v18, v11
	v_mul_f32_e64 v16, v27, -v13
	v_fmac_f32_e32 v17, v13, v26
	v_fma_f32 v10, -v32, v18, v10
	v_mul_f32_e64 v20, v11, -v25
	v_mul_f32_e32 v21, v11, v24
	v_fmac_f32_e32 v16, v12, v26
	v_mul_f32_e32 v12, v33, v17
	v_mul_f32_e64 v13, v17, -v32
	v_mul_f32_e32 v17, v32, v27
	v_fmac_f32_e32 v20, v24, v10
	v_fmac_f32_e32 v21, v25, v10
	v_fma_f32 v12, -v32, v16, v12
	v_fma_f32 v13, -v33, v16, v13
	v_mul_f32_e64 v16, v27, -v33
	v_fmac_f32_e32 v17, v33, v26
	v_sub_f32_e32 v8, v8, v20
	v_sub_f32_e32 v9, v9, v21
	v_fmac_f32_e32 v16, v32, v26
	ds_write2_b64 v7, v[8:9], v[10:11] offset0:64 offset1:66
	v_mul_f32_e32 v8, v17, v25
	v_mul_f32_e64 v9, v17, -v24
	v_fma_f32 v8, -v24, v16, v8
	v_fma_f32 v9, -v25, v16, v9
	ds_write2_b64 v7, v[8:9], v[16:17] offset1:2
	v_mul_f32_e64 v8, v31, -v13
	v_mul_f32_e32 v9, v31, v12
	v_mul_f32_e32 v19, v32, v29
	v_fmac_f32_e32 v8, v12, v30
	v_fmac_f32_e32 v9, v13, v30
	v_mul_f32_e64 v18, v29, -v33
	v_fmac_f32_e32 v19, v33, v28
	v_sub_f32_e32 v8, v14, v8
	v_sub_f32_e32 v9, v15, v9
	v_fmac_f32_e32 v18, v32, v28
	ds_write2_b64 v7, v[12:13], v[8:9] offset0:33 offset1:35
	v_mul_f32_e32 v8, v31, v19
	v_mul_f32_e64 v9, v19, -v30
	v_fma_f32 v8, -v30, v18, v8
	v_fma_f32 v9, -v31, v18, v9
	ds_write2_b64 v7, v[18:19], v[8:9] offset0:97 offset1:99
.LBB189_4:
	s_or_b64 exec, exec, s[4:5]
	v_cmp_gt_u32_e64 s[4:5], 4, v0
	v_lshlrev_b32_e32 v8, 6, v0
	s_waitcnt lgkmcnt(0)
	; wave barrier
	s_and_saveexec_b64 s[6:7], s[4:5]
	s_cbranch_execz .LBB189_6
; %bb.5:
	ds_read2_b64 v[9:12], v8 offset0:64 offset1:68
	ds_read2_b64 v[13:16], v8 offset0:35 offset1:39
	s_waitcnt lgkmcnt(0)
	v_mul_f32_e64 v17, v14, -v12
	v_mul_f32_e32 v33, v14, v11
	v_fmac_f32_e32 v17, v11, v13
	v_fmac_f32_e32 v33, v12, v13
	v_sub_f32_e32 v34, 1.0, v17
	v_mul_f32_e64 v35, -v33, -v33
	v_fmac_f32_e32 v35, v34, v34
	v_div_scale_f32 v36, s[8:9], v35, v35, 1.0
	v_div_scale_f32 v37, vcc, 1.0, v35, 1.0
	ds_read2_b64 v[17:20], v8 offset0:128 offset1:132
	ds_read2_b64 v[21:24], v8 offset0:163 offset1:167
	ds_read2_b64 v[25:28], v8 offset1:4
	ds_read2_b64 v[29:32], v8 offset0:99 offset1:103
	v_sub_f32_e32 v33, 0, v33
	v_rcp_f32_e32 v38, v36
	v_fma_f32 v39, -v36, v38, 1.0
	v_fmac_f32_e32 v38, v39, v38
	v_mul_f32_e32 v39, v37, v38
	v_fma_f32 v40, -v36, v39, v37
	v_fmac_f32_e32 v39, v40, v38
	v_fma_f32 v36, -v36, v39, v37
	v_div_fmas_f32 v36, v36, v38, v39
	s_waitcnt lgkmcnt(3)
	v_mul_f32_e64 v37, v20, -v14
	s_waitcnt lgkmcnt(2)
	v_mul_f32_e32 v39, v12, v21
	v_mul_f32_e64 v38, v12, -v22
	v_fmac_f32_e32 v39, v22, v11
	v_fmac_f32_e32 v37, v13, v19
	v_mul_f32_e32 v40, v20, v13
	v_fmac_f32_e32 v38, v21, v11
	v_sub_f32_e32 v39, v20, v39
	v_sub_f32_e32 v37, v21, v37
	v_fma_f32 v20, v34, 0, -v33
	v_fmac_f32_e32 v40, v14, v19
	v_sub_f32_e32 v38, v19, v38
	v_fma_f32 v19, 0, v33, v34
	v_sub_f32_e32 v40, v22, v40
	v_div_fixup_f32 v21, v36, v35, 1.0
	v_mul_f32_e32 v34, v20, v21
	v_mul_f32_e32 v33, v19, v21
	;; [unrolled: 1-line block ×3, first 2 shown]
	v_mul_f32_e64 v19, v34, -v39
	v_fmac_f32_e32 v20, v39, v33
	v_fmac_f32_e32 v19, v38, v33
	s_waitcnt lgkmcnt(1)
	v_mul_f32_e64 v35, v20, -v26
	v_mul_f32_e32 v36, v20, v25
	v_mul_f32_e32 v22, v34, v37
	v_fmac_f32_e32 v35, v25, v19
	v_fmac_f32_e32 v36, v26, v19
	v_mul_f32_e64 v21, v34, -v40
	v_fmac_f32_e32 v22, v40, v33
	v_sub_f32_e32 v17, v17, v35
	v_sub_f32_e32 v18, v18, v36
	v_fmac_f32_e32 v21, v37, v33
	ds_write2_b64 v8, v[17:18], v[19:20] offset0:128 offset1:132
	s_waitcnt lgkmcnt(1)
	v_mul_f32_e64 v17, v22, -v32
	v_mul_f32_e32 v18, v22, v31
	v_mul_f32_e64 v19, v12, -v30
	v_mul_f32_e32 v12, v12, v29
	v_fmac_f32_e32 v17, v31, v21
	v_fmac_f32_e32 v18, v32, v21
	;; [unrolled: 1-line block ×3, first 2 shown]
	v_sub_f32_e32 v17, v23, v17
	v_sub_f32_e32 v18, v24, v18
	v_fmac_f32_e32 v19, v29, v11
	v_mul_f32_e32 v11, v34, v12
	v_mul_f32_e64 v12, v12, -v33
	ds_write2_b64 v8, v[21:22], v[17:18] offset0:163 offset1:167
	v_mul_f32_e32 v18, v28, v13
	v_fma_f32 v12, -v34, v19, v12
	v_mul_f32_e64 v17, v28, -v14
	v_fmac_f32_e32 v18, v14, v27
	v_fma_f32 v11, -v33, v19, v11
	v_mul_f32_e64 v21, v12, -v26
	v_mul_f32_e32 v22, v12, v25
	v_fmac_f32_e32 v17, v13, v27
	v_mul_f32_e32 v13, v34, v18
	v_mul_f32_e64 v14, v18, -v33
	v_mul_f32_e32 v18, v33, v28
	v_fmac_f32_e32 v21, v25, v11
	v_fmac_f32_e32 v22, v26, v11
	v_fma_f32 v13, -v33, v17, v13
	v_fma_f32 v14, -v34, v17, v14
	v_mul_f32_e64 v17, v28, -v34
	v_fmac_f32_e32 v18, v34, v27
	v_sub_f32_e32 v9, v9, v21
	v_sub_f32_e32 v10, v10, v22
	v_fmac_f32_e32 v17, v33, v27
	ds_write2_b64 v8, v[9:10], v[11:12] offset0:64 offset1:68
	v_mul_f32_e32 v9, v18, v26
	v_mul_f32_e64 v10, v18, -v25
	v_fma_f32 v9, -v25, v17, v9
	v_fma_f32 v10, -v26, v17, v10
	ds_write2_b64 v8, v[9:10], v[17:18] offset1:4
	v_mul_f32_e64 v9, v32, -v14
	v_mul_f32_e32 v10, v32, v13
	v_mul_f32_e32 v20, v33, v30
	v_fmac_f32_e32 v9, v13, v31
	v_fmac_f32_e32 v10, v14, v31
	v_mul_f32_e64 v19, v30, -v34
	v_fmac_f32_e32 v20, v34, v29
	v_sub_f32_e32 v9, v15, v9
	v_sub_f32_e32 v10, v16, v10
	v_fmac_f32_e32 v19, v33, v29
	ds_write2_b64 v8, v[13:14], v[9:10] offset0:35 offset1:39
	v_mul_f32_e32 v9, v32, v20
	v_mul_f32_e64 v10, v20, -v31
	v_fma_f32 v9, -v31, v19, v9
	v_fma_f32 v10, -v32, v19, v10
	ds_write2_b64 v8, v[19:20], v[9:10] offset0:99 offset1:103
.LBB189_6:
	s_or_b64 exec, exec, s[6:7]
	v_cmp_gt_u32_e64 s[6:7], 2, v0
	v_lshlrev_b32_e32 v9, 7, v0
	s_waitcnt lgkmcnt(0)
	; wave barrier
	s_and_saveexec_b64 s[8:9], s[6:7]
	s_cbranch_execz .LBB189_8
; %bb.7:
	ds_read2_b64 v[10:13], v9 offset0:64 offset1:72
	ds_read2_b64 v[14:17], v9 offset0:39 offset1:47
	s_waitcnt lgkmcnt(0)
	v_mul_f32_e64 v18, v15, -v13
	v_mul_f32_e32 v34, v15, v12
	v_fmac_f32_e32 v18, v12, v14
	v_fmac_f32_e32 v34, v13, v14
	v_sub_f32_e32 v35, 1.0, v18
	v_mul_f32_e64 v36, -v34, -v34
	v_fmac_f32_e32 v36, v35, v35
	v_div_scale_f32 v37, s[10:11], v36, v36, 1.0
	v_div_scale_f32 v38, vcc, 1.0, v36, 1.0
	ds_read2_b64 v[18:21], v9 offset0:128 offset1:136
	ds_read2_b64 v[22:25], v9 offset0:167 offset1:175
	ds_read2_b64 v[26:29], v9 offset1:8
	ds_read2_b64 v[30:33], v9 offset0:103 offset1:111
	v_sub_f32_e32 v34, 0, v34
	v_rcp_f32_e32 v39, v37
	v_fma_f32 v40, -v37, v39, 1.0
	v_fmac_f32_e32 v39, v40, v39
	v_mul_f32_e32 v40, v38, v39
	v_fma_f32 v41, -v37, v40, v38
	v_fmac_f32_e32 v40, v41, v39
	v_fma_f32 v37, -v37, v40, v38
	v_div_fmas_f32 v37, v37, v39, v40
	s_waitcnt lgkmcnt(3)
	v_mul_f32_e64 v38, v21, -v15
	s_waitcnt lgkmcnt(2)
	v_mul_f32_e32 v40, v13, v22
	v_mul_f32_e64 v39, v13, -v23
	v_fmac_f32_e32 v40, v23, v12
	v_fmac_f32_e32 v38, v14, v20
	v_mul_f32_e32 v41, v21, v14
	v_fmac_f32_e32 v39, v22, v12
	v_sub_f32_e32 v40, v21, v40
	v_sub_f32_e32 v38, v22, v38
	v_fma_f32 v21, v35, 0, -v34
	v_fmac_f32_e32 v41, v15, v20
	v_sub_f32_e32 v39, v20, v39
	v_fma_f32 v20, 0, v34, v35
	v_sub_f32_e32 v41, v23, v41
	v_div_fixup_f32 v22, v37, v36, 1.0
	v_mul_f32_e32 v35, v21, v22
	v_mul_f32_e32 v34, v20, v22
	;; [unrolled: 1-line block ×3, first 2 shown]
	v_mul_f32_e64 v20, v35, -v40
	v_fmac_f32_e32 v21, v40, v34
	v_fmac_f32_e32 v20, v39, v34
	s_waitcnt lgkmcnt(1)
	v_mul_f32_e64 v36, v21, -v27
	v_mul_f32_e32 v37, v21, v26
	v_mul_f32_e32 v23, v35, v38
	v_fmac_f32_e32 v36, v26, v20
	v_fmac_f32_e32 v37, v27, v20
	v_mul_f32_e64 v22, v35, -v41
	v_fmac_f32_e32 v23, v41, v34
	v_sub_f32_e32 v18, v18, v36
	v_sub_f32_e32 v19, v19, v37
	v_fmac_f32_e32 v22, v38, v34
	ds_write2_b64 v9, v[18:19], v[20:21] offset0:128 offset1:136
	s_waitcnt lgkmcnt(1)
	v_mul_f32_e64 v18, v23, -v33
	v_mul_f32_e32 v19, v23, v32
	v_mul_f32_e64 v20, v13, -v31
	v_mul_f32_e32 v13, v13, v30
	v_fmac_f32_e32 v18, v32, v22
	v_fmac_f32_e32 v19, v33, v22
	;; [unrolled: 1-line block ×3, first 2 shown]
	v_sub_f32_e32 v18, v24, v18
	v_sub_f32_e32 v19, v25, v19
	v_fmac_f32_e32 v20, v30, v12
	v_mul_f32_e32 v12, v35, v13
	v_mul_f32_e64 v13, v13, -v34
	ds_write2_b64 v9, v[22:23], v[18:19] offset0:167 offset1:175
	v_mul_f32_e32 v19, v29, v14
	v_fma_f32 v13, -v35, v20, v13
	v_mul_f32_e64 v18, v29, -v15
	v_fmac_f32_e32 v19, v15, v28
	v_fma_f32 v12, -v34, v20, v12
	v_mul_f32_e64 v22, v13, -v27
	v_mul_f32_e32 v23, v13, v26
	v_fmac_f32_e32 v18, v14, v28
	v_mul_f32_e32 v14, v35, v19
	v_mul_f32_e64 v15, v19, -v34
	v_mul_f32_e32 v19, v34, v29
	v_fmac_f32_e32 v22, v26, v12
	v_fmac_f32_e32 v23, v27, v12
	v_fma_f32 v14, -v34, v18, v14
	v_fma_f32 v15, -v35, v18, v15
	v_mul_f32_e64 v18, v29, -v35
	v_fmac_f32_e32 v19, v35, v28
	v_sub_f32_e32 v10, v10, v22
	v_sub_f32_e32 v11, v11, v23
	v_fmac_f32_e32 v18, v34, v28
	ds_write2_b64 v9, v[10:11], v[12:13] offset0:64 offset1:72
	v_mul_f32_e32 v10, v19, v27
	v_mul_f32_e64 v11, v19, -v26
	v_fma_f32 v10, -v26, v18, v10
	v_fma_f32 v11, -v27, v18, v11
	ds_write2_b64 v9, v[10:11], v[18:19] offset1:8
	v_mul_f32_e64 v10, v33, -v15
	v_mul_f32_e32 v11, v33, v14
	v_mul_f32_e32 v21, v34, v31
	v_fmac_f32_e32 v10, v14, v32
	v_fmac_f32_e32 v11, v15, v32
	v_mul_f32_e64 v20, v31, -v35
	v_fmac_f32_e32 v21, v35, v30
	v_sub_f32_e32 v10, v16, v10
	v_sub_f32_e32 v11, v17, v11
	v_fmac_f32_e32 v20, v34, v30
	ds_write2_b64 v9, v[14:15], v[10:11] offset0:39 offset1:47
	v_mul_f32_e32 v10, v33, v21
	v_mul_f32_e64 v11, v21, -v32
	v_fma_f32 v10, -v32, v20, v10
	v_fma_f32 v11, -v33, v20, v11
	ds_write2_b64 v9, v[20:21], v[10:11] offset0:103 offset1:111
.LBB189_8:
	s_or_b64 exec, exec, s[8:9]
	v_cmp_eq_u32_e32 vcc, 0, v0
	s_waitcnt lgkmcnt(0)
	; wave barrier
	s_and_saveexec_b64 s[8:9], vcc
	s_cbranch_execz .LBB189_10
; %bb.9:
	v_mov_b32_e32 v34, 0
	ds_read2_b64 v[10:13], v34 offset0:64 offset1:80
	ds_read2_b64 v[14:17], v34 offset0:47 offset1:63
	s_waitcnt lgkmcnt(0)
	v_mul_f32_e64 v18, v15, -v13
	v_mul_f32_e32 v35, v15, v12
	v_fmac_f32_e32 v18, v12, v14
	v_fmac_f32_e32 v35, v13, v14
	v_sub_f32_e32 v36, 1.0, v18
	v_mul_f32_e64 v37, -v35, -v35
	v_fmac_f32_e32 v37, v36, v36
	v_div_scale_f32 v38, s[10:11], v37, v37, 1.0
	v_div_scale_f32 v39, vcc, 1.0, v37, 1.0
	ds_read2_b64 v[18:21], v34 offset0:111 offset1:144
	ds_read2_b64 v[22:25], v34 offset0:175 offset1:191
	;; [unrolled: 1-line block ×3, first 2 shown]
	ds_read2_b64 v[30:33], v34 offset1:16
	v_sub_f32_e32 v35, 0, v35
	v_rcp_f32_e32 v40, v38
	v_fma_f32 v41, -v38, v40, 1.0
	v_fmac_f32_e32 v40, v41, v40
	v_mul_f32_e32 v41, v39, v40
	v_fma_f32 v42, -v38, v41, v39
	v_fmac_f32_e32 v41, v42, v40
	v_fma_f32 v38, -v38, v41, v39
	v_div_fmas_f32 v38, v38, v40, v41
	s_waitcnt lgkmcnt(3)
	v_mul_f32_e64 v39, v21, -v15
	s_waitcnt lgkmcnt(2)
	v_mul_f32_e32 v42, v13, v22
	v_mul_f32_e64 v41, v13, -v23
	v_fmac_f32_e32 v39, v14, v20
	v_fmac_f32_e32 v42, v23, v12
	v_mul_f32_e32 v40, v21, v14
	v_fmac_f32_e32 v41, v22, v12
	v_sub_f32_e32 v39, v22, v39
	v_sub_f32_e32 v42, v21, v42
	v_fma_f32 v21, v36, 0, -v35
	v_fmac_f32_e32 v40, v15, v20
	v_sub_f32_e32 v41, v20, v41
	v_fma_f32 v20, 0, v35, v36
	v_sub_f32_e32 v40, v23, v40
	v_div_fixup_f32 v22, v38, v37, 1.0
	v_mul_f32_e32 v36, v21, v22
	v_mul_f32_e32 v35, v20, v22
	;; [unrolled: 1-line block ×3, first 2 shown]
	v_mul_f32_e64 v20, v36, -v40
	v_fmac_f32_e32 v21, v40, v35
	v_mul_f32_e32 v23, v36, v41
	v_fmac_f32_e32 v20, v39, v35
	s_waitcnt lgkmcnt(1)
	v_mul_f32_e64 v37, v21, -v27
	v_mul_f32_e32 v38, v21, v26
	v_mul_f32_e64 v22, v36, -v42
	v_fmac_f32_e32 v23, v42, v35
	v_fmac_f32_e32 v37, v26, v20
	v_fmac_f32_e32 v38, v27, v20
	v_fmac_f32_e32 v22, v41, v35
	v_sub_f32_e32 v24, v24, v37
	v_sub_f32_e32 v25, v25, v38
	s_waitcnt lgkmcnt(0)
	v_mul_f32_e64 v37, v23, -v31
	v_mul_f32_e32 v38, v23, v30
	v_fmac_f32_e32 v37, v30, v22
	v_fmac_f32_e32 v38, v31, v22
	v_sub_f32_e32 v28, v28, v37
	v_sub_f32_e32 v29, v29, v38
	ds_write2_b64 v34, v[28:29], v[22:23] offset0:128 offset1:144
	ds_write2_b64 v34, v[20:21], v[24:25] offset0:175 offset1:191
	v_mul_f32_e32 v21, v33, v14
	v_mul_f32_e64 v20, v33, -v15
	v_fmac_f32_e32 v21, v15, v32
	v_mul_f32_e32 v22, v13, v18
	v_fmac_f32_e32 v20, v14, v32
	v_mul_f32_e32 v14, v36, v21
	v_mul_f32_e64 v15, v21, -v35
	v_mul_f32_e64 v21, v13, -v19
	v_fmac_f32_e32 v22, v19, v12
	v_fma_f32 v14, -v35, v20, v14
	v_fma_f32 v15, -v36, v20, v15
	v_fmac_f32_e32 v21, v18, v12
	v_mul_f32_e32 v20, v36, v22
	v_mul_f32_e64 v22, v22, -v35
	v_fma_f32 v20, -v35, v21, v20
	v_fma_f32 v21, -v36, v21, v22
	v_mul_f32_e64 v12, v19, -v36
	v_mul_f32_e32 v13, v35, v19
	v_mul_f32_e32 v19, v35, v33
	ds_write2_b64 v34, v[14:15], v[20:21] offset0:47 offset1:80
	v_mul_f32_e64 v22, v21, -v31
	v_mul_f32_e32 v21, v21, v30
	v_fmac_f32_e32 v12, v35, v18
	v_fmac_f32_e32 v13, v36, v18
	v_mul_f32_e64 v18, v33, -v36
	v_fmac_f32_e32 v19, v36, v32
	v_fmac_f32_e32 v21, v31, v20
	;; [unrolled: 1-line block ×4, first 2 shown]
	v_sub_f32_e32 v11, v11, v21
	v_mul_f32_e32 v20, v19, v31
	v_mul_f32_e64 v21, v19, -v30
	v_fma_f32 v20, -v30, v18, v20
	v_fma_f32 v21, -v31, v18, v21
	ds_write2_b64 v34, v[20:21], v[18:19] offset1:16
	v_mul_f32_e64 v18, v27, -v15
	v_mul_f32_e32 v19, v27, v14
	v_fmac_f32_e32 v18, v14, v26
	v_fmac_f32_e32 v19, v15, v26
	v_sub_f32_e32 v10, v10, v22
	v_sub_f32_e32 v14, v16, v18
	;; [unrolled: 1-line block ×3, first 2 shown]
	ds_write2_b64 v34, v[14:15], v[10:11] offset0:63 offset1:64
	v_mul_f32_e32 v10, v27, v13
	v_mul_f32_e64 v11, v13, -v26
	v_fma_f32 v10, -v26, v12, v10
	v_fma_f32 v11, -v27, v12, v11
	ds_write2_b64 v34, v[12:13], v[10:11] offset0:111 offset1:127
.LBB189_10:
	s_or_b64 exec, exec, s[8:9]
	v_lshlrev_b32_e32 v10, 4, v0
	s_waitcnt lgkmcnt(0)
	; wave barrier
	s_and_saveexec_b64 s[8:9], s[6:7]
	s_cbranch_execz .LBB189_12
; %bb.11:
	v_max_u32_e32 v11, 1, v10
	v_lshlrev_b32_e32 v27, 3, v11
	ds_read2_b64 v[11:14], v9 offset0:72 offset1:103
	ds_read_b64 v[23:24], v27 offset:1272
	v_min_u32_e32 v15, 15, v10
	v_lshlrev_b32_e32 v28, 3, v15
	ds_read_b64 v[25:26], v28 offset:1152
	ds_read2_b64 v[15:18], v9 offset0:136 offset1:167
	ds_read2_b64 v[19:22], v9 offset0:8 offset1:39
	s_waitcnt lgkmcnt(3)
	v_mul_f32_e64 v29, v24, -v14
	v_fmac_f32_e32 v29, v13, v23
	v_mul_f32_e32 v13, v24, v13
	v_fmac_f32_e32 v13, v14, v23
	s_waitcnt lgkmcnt(1)
	v_sub_f32_e32 v14, v17, v29
	v_sub_f32_e32 v17, v18, v13
	s_waitcnt lgkmcnt(0)
	v_mul_f32_e64 v13, v26, -v22
	v_mul_f32_e32 v18, v26, v21
	v_fmac_f32_e32 v13, v21, v25
	v_fmac_f32_e32 v18, v22, v25
	v_sub_f32_e32 v13, v14, v13
	v_sub_f32_e32 v14, v17, v18
	ds_write_b64 v9, v[13:14] offset:1336
	ds_read_b64 v[13:14], v27 offset:1272
	s_waitcnt lgkmcnt(0)
	v_mul_f32_e64 v17, v14, -v12
	v_mul_f32_e32 v14, v14, v11
	v_fmac_f32_e32 v17, v11, v13
	v_fmac_f32_e32 v14, v12, v13
	v_sub_f32_e32 v11, v15, v17
	v_sub_f32_e32 v12, v16, v14
	ds_write_b64 v9, v[11:12] offset:1088
	ds_read_b64 v[13:14], v28 offset:1152
	s_waitcnt lgkmcnt(0)
	v_mul_f32_e64 v15, v14, -v20
	v_mul_f32_e32 v14, v14, v19
	v_fmac_f32_e32 v15, v19, v13
	v_fmac_f32_e32 v14, v20, v13
	v_sub_f32_e32 v11, v11, v15
	v_sub_f32_e32 v12, v12, v14
	ds_write_b64 v9, v[11:12] offset:1088
.LBB189_12:
	s_or_b64 exec, exec, s[8:9]
	s_waitcnt lgkmcnt(0)
	; wave barrier
	s_and_saveexec_b64 s[6:7], s[4:5]
	s_cbranch_execz .LBB189_14
; %bb.13:
	v_max_u32_e32 v9, 1, v6
	v_lshlrev_b32_e32 v9, 3, v9
	ds_read2_b64 v[11:14], v8 offset0:68 offset1:99
	ds_read_b64 v[23:24], v9 offset:1272
	v_min_u32_e32 v6, 23, v6
	v_lshlrev_b32_e32 v6, 3, v6
	ds_read_b64 v[25:26], v6 offset:1088
	ds_read2_b64 v[15:18], v8 offset0:132 offset1:163
	ds_read2_b64 v[19:22], v8 offset0:4 offset1:35
	s_waitcnt lgkmcnt(3)
	v_mul_f32_e64 v27, v24, -v14
	v_fmac_f32_e32 v27, v13, v23
	v_mul_f32_e32 v13, v24, v13
	v_fmac_f32_e32 v13, v14, v23
	s_waitcnt lgkmcnt(1)
	v_sub_f32_e32 v14, v17, v27
	v_sub_f32_e32 v17, v18, v13
	s_waitcnt lgkmcnt(0)
	v_mul_f32_e64 v13, v26, -v22
	v_mul_f32_e32 v18, v26, v21
	v_fmac_f32_e32 v13, v21, v25
	v_fmac_f32_e32 v18, v22, v25
	v_sub_f32_e32 v13, v14, v13
	v_sub_f32_e32 v14, v17, v18
	ds_write_b64 v8, v[13:14] offset:1304
	ds_read_b64 v[13:14], v9 offset:1272
	s_waitcnt lgkmcnt(0)
	v_mul_f32_e64 v9, v14, -v12
	v_mul_f32_e32 v14, v14, v11
	v_fmac_f32_e32 v9, v11, v13
	v_fmac_f32_e32 v14, v12, v13
	v_sub_f32_e32 v11, v15, v9
	v_sub_f32_e32 v12, v16, v14
	ds_write_b64 v8, v[11:12] offset:1056
	ds_read_b64 v[13:14], v6 offset:1088
	s_waitcnt lgkmcnt(0)
	v_mul_f32_e64 v6, v14, -v20
	v_mul_f32_e32 v9, v14, v19
	v_fmac_f32_e32 v6, v19, v13
	v_fmac_f32_e32 v9, v20, v13
	v_sub_f32_e32 v11, v11, v6
	v_sub_f32_e32 v12, v12, v9
	ds_write_b64 v8, v[11:12] offset:1056
.LBB189_14:
	s_or_b64 exec, exec, s[6:7]
	s_waitcnt lgkmcnt(0)
	; wave barrier
	s_and_saveexec_b64 s[4:5], s[2:3]
	s_cbranch_execz .LBB189_16
; %bb.15:
	v_lshlrev_b32_e32 v6, 2, v0
	v_max_u32_e32 v8, 1, v6
	v_min_u32_e32 v6, 27, v6
	v_lshlrev_b32_e32 v25, 3, v8
	ds_read2_b64 v[11:14], v7 offset0:66 offset1:97
	ds_read_b64 v[8:9], v25 offset:1272
	v_lshlrev_b32_e32 v6, 3, v6
	ds_read_b64 v[23:24], v6 offset:1056
	ds_read2_b64 v[19:22], v7 offset0:2 offset1:33
	ds_read2_b64 v[15:18], v7 offset0:130 offset1:161
	s_waitcnt lgkmcnt(3)
	v_mul_f32_e64 v26, v9, -v14
	v_mul_f32_e32 v9, v9, v13
	v_fmac_f32_e32 v26, v13, v8
	v_fmac_f32_e32 v9, v14, v8
	s_waitcnt lgkmcnt(1)
	v_mul_f32_e64 v13, v24, -v22
	v_mul_f32_e32 v14, v24, v21
	s_waitcnt lgkmcnt(0)
	v_sub_f32_e32 v8, v17, v26
	v_sub_f32_e32 v9, v18, v9
	v_fmac_f32_e32 v13, v21, v23
	v_fmac_f32_e32 v14, v22, v23
	v_sub_f32_e32 v8, v8, v13
	v_sub_f32_e32 v9, v9, v14
	ds_write_b64 v7, v[8:9] offset:1288
	ds_read_b64 v[8:9], v25 offset:1272
	s_waitcnt lgkmcnt(0)
	v_mul_f32_e64 v13, v9, -v12
	v_mul_f32_e32 v9, v9, v11
	v_fmac_f32_e32 v13, v11, v8
	v_fmac_f32_e32 v9, v12, v8
	v_sub_f32_e32 v8, v15, v13
	v_sub_f32_e32 v9, v16, v9
	ds_write_b64 v7, v[8:9] offset:1040
	ds_read_b64 v[11:12], v6 offset:1056
	s_waitcnt lgkmcnt(0)
	v_mul_f32_e64 v6, v12, -v20
	v_mul_f32_e32 v12, v12, v19
	v_fmac_f32_e32 v6, v19, v11
	v_fmac_f32_e32 v12, v20, v11
	v_sub_f32_e32 v8, v8, v6
	v_sub_f32_e32 v9, v9, v12
	ds_write_b64 v7, v[8:9] offset:1040
.LBB189_16:
	s_or_b64 exec, exec, s[4:5]
	s_waitcnt lgkmcnt(0)
	; wave barrier
	s_and_saveexec_b64 s[2:3], s[0:1]
	s_cbranch_execz .LBB189_18
; %bb.17:
	v_lshlrev_b32_e32 v0, 1, v0
	v_max_u32_e32 v6, 1, v0
	v_lshlrev_b32_e32 v23, 3, v6
	ds_read2_b64 v[6:9], v10 offset0:65 offset1:96
	ds_read_b64 v[19:20], v23 offset:1272
	v_min_u32_e32 v0, 29, v0
	v_lshlrev_b32_e32 v0, 3, v0
	ds_read_b64 v[21:22], v0 offset:1040
	ds_read2_b64 v[11:14], v10 offset0:129 offset1:160
	ds_read2_b64 v[15:18], v10 offset0:1 offset1:32
	s_waitcnt lgkmcnt(3)
	v_mul_f32_e64 v24, v20, -v9
	v_fmac_f32_e32 v24, v8, v19
	v_mul_f32_e32 v8, v20, v8
	v_fmac_f32_e32 v8, v9, v19
	s_waitcnt lgkmcnt(1)
	v_sub_f32_e32 v9, v13, v24
	v_sub_f32_e32 v13, v14, v8
	s_waitcnt lgkmcnt(0)
	v_mul_f32_e64 v8, v22, -v18
	v_mul_f32_e32 v14, v22, v17
	v_fmac_f32_e32 v8, v17, v21
	v_fmac_f32_e32 v14, v18, v21
	v_sub_f32_e32 v8, v9, v8
	v_sub_f32_e32 v9, v13, v14
	ds_write_b64 v10, v[8:9] offset:1280
	ds_read_b64 v[8:9], v23 offset:1272
	s_waitcnt lgkmcnt(0)
	v_mul_f32_e64 v13, v9, -v7
	v_mul_f32_e32 v9, v9, v6
	v_fmac_f32_e32 v13, v6, v8
	v_fmac_f32_e32 v9, v7, v8
	v_sub_f32_e32 v6, v11, v13
	v_sub_f32_e32 v7, v12, v9
	ds_write_b64 v10, v[6:7] offset:1032
	ds_read_b64 v[8:9], v0 offset:1040
	s_waitcnt lgkmcnt(0)
	v_mul_f32_e64 v0, v9, -v16
	v_mul_f32_e32 v9, v9, v15
	v_fmac_f32_e32 v0, v15, v8
	v_fmac_f32_e32 v9, v16, v8
	v_sub_f32_e32 v6, v6, v0
	v_sub_f32_e32 v7, v7, v9
	ds_write_b64 v10, v[6:7] offset:1032
.LBB189_18:
	s_or_b64 exec, exec, s[2:3]
	s_waitcnt lgkmcnt(0)
	; wave barrier
	ds_read2_b64 v[5:8], v5 offset1:32
	s_waitcnt lgkmcnt(0)
	global_store_dwordx2 v[1:2], v[5:6], off
	global_store_dwordx2 v[3:4], v[7:8], off
	s_endpgm
	.section	.rodata,"a",@progbits
	.p2align	6, 0x0
	.amdhsa_kernel _ZN9rocsparseL34gtsv_solve_spike_grid_level_kernelILj32E21rocsparse_complex_numIfEEEviiiPT0_PKS3_S6_
		.amdhsa_group_segment_fixed_size 1536
		.amdhsa_private_segment_fixed_size 0
		.amdhsa_kernarg_size 40
		.amdhsa_user_sgpr_count 6
		.amdhsa_user_sgpr_private_segment_buffer 1
		.amdhsa_user_sgpr_dispatch_ptr 0
		.amdhsa_user_sgpr_queue_ptr 0
		.amdhsa_user_sgpr_kernarg_segment_ptr 1
		.amdhsa_user_sgpr_dispatch_id 0
		.amdhsa_user_sgpr_flat_scratch_init 0
		.amdhsa_user_sgpr_private_segment_size 0
		.amdhsa_uses_dynamic_stack 0
		.amdhsa_system_sgpr_private_segment_wavefront_offset 0
		.amdhsa_system_sgpr_workgroup_id_x 1
		.amdhsa_system_sgpr_workgroup_id_y 1
		.amdhsa_system_sgpr_workgroup_id_z 0
		.amdhsa_system_sgpr_workgroup_info 0
		.amdhsa_system_vgpr_workitem_id 0
		.amdhsa_next_free_vgpr 43
		.amdhsa_next_free_sgpr 12
		.amdhsa_reserve_vcc 1
		.amdhsa_reserve_flat_scratch 0
		.amdhsa_float_round_mode_32 0
		.amdhsa_float_round_mode_16_64 0
		.amdhsa_float_denorm_mode_32 3
		.amdhsa_float_denorm_mode_16_64 3
		.amdhsa_dx10_clamp 1
		.amdhsa_ieee_mode 1
		.amdhsa_fp16_overflow 0
		.amdhsa_exception_fp_ieee_invalid_op 0
		.amdhsa_exception_fp_denorm_src 0
		.amdhsa_exception_fp_ieee_div_zero 0
		.amdhsa_exception_fp_ieee_overflow 0
		.amdhsa_exception_fp_ieee_underflow 0
		.amdhsa_exception_fp_ieee_inexact 0
		.amdhsa_exception_int_div_zero 0
	.end_amdhsa_kernel
	.section	.text._ZN9rocsparseL34gtsv_solve_spike_grid_level_kernelILj32E21rocsparse_complex_numIfEEEviiiPT0_PKS3_S6_,"axG",@progbits,_ZN9rocsparseL34gtsv_solve_spike_grid_level_kernelILj32E21rocsparse_complex_numIfEEEviiiPT0_PKS3_S6_,comdat
.Lfunc_end189:
	.size	_ZN9rocsparseL34gtsv_solve_spike_grid_level_kernelILj32E21rocsparse_complex_numIfEEEviiiPT0_PKS3_S6_, .Lfunc_end189-_ZN9rocsparseL34gtsv_solve_spike_grid_level_kernelILj32E21rocsparse_complex_numIfEEEviiiPT0_PKS3_S6_
                                        ; -- End function
	.set _ZN9rocsparseL34gtsv_solve_spike_grid_level_kernelILj32E21rocsparse_complex_numIfEEEviiiPT0_PKS3_S6_.num_vgpr, 43
	.set _ZN9rocsparseL34gtsv_solve_spike_grid_level_kernelILj32E21rocsparse_complex_numIfEEEviiiPT0_PKS3_S6_.num_agpr, 0
	.set _ZN9rocsparseL34gtsv_solve_spike_grid_level_kernelILj32E21rocsparse_complex_numIfEEEviiiPT0_PKS3_S6_.numbered_sgpr, 12
	.set _ZN9rocsparseL34gtsv_solve_spike_grid_level_kernelILj32E21rocsparse_complex_numIfEEEviiiPT0_PKS3_S6_.num_named_barrier, 0
	.set _ZN9rocsparseL34gtsv_solve_spike_grid_level_kernelILj32E21rocsparse_complex_numIfEEEviiiPT0_PKS3_S6_.private_seg_size, 0
	.set _ZN9rocsparseL34gtsv_solve_spike_grid_level_kernelILj32E21rocsparse_complex_numIfEEEviiiPT0_PKS3_S6_.uses_vcc, 1
	.set _ZN9rocsparseL34gtsv_solve_spike_grid_level_kernelILj32E21rocsparse_complex_numIfEEEviiiPT0_PKS3_S6_.uses_flat_scratch, 0
	.set _ZN9rocsparseL34gtsv_solve_spike_grid_level_kernelILj32E21rocsparse_complex_numIfEEEviiiPT0_PKS3_S6_.has_dyn_sized_stack, 0
	.set _ZN9rocsparseL34gtsv_solve_spike_grid_level_kernelILj32E21rocsparse_complex_numIfEEEviiiPT0_PKS3_S6_.has_recursion, 0
	.set _ZN9rocsparseL34gtsv_solve_spike_grid_level_kernelILj32E21rocsparse_complex_numIfEEEviiiPT0_PKS3_S6_.has_indirect_call, 0
	.section	.AMDGPU.csdata,"",@progbits
; Kernel info:
; codeLenInByte = 4616
; TotalNumSgprs: 16
; NumVgprs: 43
; ScratchSize: 0
; MemoryBound: 0
; FloatMode: 240
; IeeeMode: 1
; LDSByteSize: 1536 bytes/workgroup (compile time only)
; SGPRBlocks: 1
; VGPRBlocks: 10
; NumSGPRsForWavesPerEU: 16
; NumVGPRsForWavesPerEU: 43
; Occupancy: 5
; WaveLimiterHint : 1
; COMPUTE_PGM_RSRC2:SCRATCH_EN: 0
; COMPUTE_PGM_RSRC2:USER_SGPR: 6
; COMPUTE_PGM_RSRC2:TRAP_HANDLER: 0
; COMPUTE_PGM_RSRC2:TGID_X_EN: 1
; COMPUTE_PGM_RSRC2:TGID_Y_EN: 1
; COMPUTE_PGM_RSRC2:TGID_Z_EN: 0
; COMPUTE_PGM_RSRC2:TIDIG_COMP_CNT: 0
	.section	.text._ZN9rocsparseL34gtsv_solve_spike_grid_level_kernelILj64E21rocsparse_complex_numIfEEEviiiPT0_PKS3_S6_,"axG",@progbits,_ZN9rocsparseL34gtsv_solve_spike_grid_level_kernelILj64E21rocsparse_complex_numIfEEEviiiPT0_PKS3_S6_,comdat
	.globl	_ZN9rocsparseL34gtsv_solve_spike_grid_level_kernelILj64E21rocsparse_complex_numIfEEEviiiPT0_PKS3_S6_ ; -- Begin function _ZN9rocsparseL34gtsv_solve_spike_grid_level_kernelILj64E21rocsparse_complex_numIfEEEviiiPT0_PKS3_S6_
	.p2align	8
	.type	_ZN9rocsparseL34gtsv_solve_spike_grid_level_kernelILj64E21rocsparse_complex_numIfEEEviiiPT0_PKS3_S6_,@function
_ZN9rocsparseL34gtsv_solve_spike_grid_level_kernelILj64E21rocsparse_complex_numIfEEEviiiPT0_PKS3_S6_: ; @_ZN9rocsparseL34gtsv_solve_spike_grid_level_kernelILj64E21rocsparse_complex_numIfEEEviiiPT0_PKS3_S6_
; %bb.0:
	s_load_dwordx4 s[0:3], s[4:5], 0x10
	s_load_dwordx2 s[8:9], s[4:5], 0x20
	v_lshl_or_b32 v3, s7, 7, v0
	v_mov_b32_e32 v4, 0
	v_lshlrev_b64 v[1:2], 3, v[3:4]
	v_or_b32_e32 v3, 64, v3
	s_waitcnt lgkmcnt(0)
	v_mov_b32_e32 v5, s1
	v_add_co_u32_e32 v1, vcc, s0, v1
	v_lshlrev_b64 v[3:4], 3, v[3:4]
	v_addc_co_u32_e32 v2, vcc, v5, v2, vcc
	v_lshlrev_b32_e32 v6, 3, v0
	v_add_co_u32_e32 v3, vcc, s0, v3
	global_load_dwordx2 v[7:8], v6, s[2:3]
	global_load_dwordx2 v[9:10], v6, s[2:3] offset:512
	global_load_dwordx2 v[11:12], v6, s[8:9]
	global_load_dwordx2 v[13:14], v6, s[8:9] offset:512
	v_addc_co_u32_e32 v4, vcc, v5, v4, vcc
	global_load_dwordx2 v[15:16], v[1:2], off
	global_load_dwordx2 v[17:18], v[3:4], off
	v_or_b32_e32 v5, 0x800, v6
	s_mov_b32 s2, 2
	s_waitcnt vmcnt(4)
	ds_write2st64_b64 v6, v[7:8], v[9:10] offset0:2 offset1:3
	s_waitcnt vmcnt(2)
	ds_write2st64_b64 v6, v[11:12], v[13:14] offset1:1
	s_waitcnt vmcnt(0)
	ds_write2st64_b64 v6, v[15:16], v[17:18] offset0:4 offset1:5
	s_waitcnt lgkmcnt(0)
	; wave barrier
	s_branch .LBB190_2
.LBB190_1:                              ;   in Loop: Header=BB190_2 Depth=1
	s_or_b64 exec, exec, s[0:1]
	s_lshl_b32 s0, s2, 1
	s_cmp_lt_u32 s2, 33
	s_mov_b32 s2, s0
	s_waitcnt lgkmcnt(0)
	; wave barrier
	s_cbranch_scc0 .LBB190_4
.LBB190_2:                              ; =>This Inner Loop Header: Depth=1
	s_ff1_i32_b32 s0, s2
	s_lshr_b32 s0, 64, s0
	v_cmp_gt_u32_e32 vcc, s0, v0
	s_and_saveexec_b64 s[0:1], vcc
	s_cbranch_execz .LBB190_1
; %bb.3:                                ;   in Loop: Header=BB190_2 Depth=1
	v_mul_lo_u32 v15, s2, v0
	s_lshr_b32 s3, s2, 1
	v_add_u32_e32 v16, s3, v15
	v_lshlrev_b32_e32 v23, 3, v16
	ds_read2_b64 v[7:10], v23 offset0:128 offset1:191
	ds_read2_b64 v[11:14], v23 offset1:63
	v_add_u32_e32 v30, 0x800, v23
	v_lshlrev_b32_e32 v27, 3, v15
	v_add_lshl_u32 v29, v16, s3, 3
	ds_read_b64 v[19:20], v27
	s_waitcnt lgkmcnt(1)
	v_mul_f32_e64 v17, v14, -v8
	v_mul_f32_e32 v21, v14, v7
	v_fmac_f32_e32 v17, v7, v13
	v_fmac_f32_e32 v21, v8, v13
	v_sub_f32_e32 v22, 1.0, v17
	v_mul_f32_e64 v24, -v21, -v21
	v_fmac_f32_e32 v24, v22, v22
	v_div_scale_f32 v25, s[4:5], v24, v24, 1.0
	v_div_scale_f32 v26, vcc, 1.0, v24, 1.0
	ds_read2_b64 v[15:18], v30 offset1:63
	v_sub_f32_e32 v21, 0, v21
	v_fma_f32 v33, 0, v21, v22
	v_fma_f32 v21, v22, 0, -v21
	v_rcp_f32_e32 v28, v25
	v_fma_f32 v31, -v25, v28, 1.0
	v_fmac_f32_e32 v28, v31, v28
	v_mul_f32_e32 v31, v26, v28
	v_fma_f32 v32, -v25, v31, v26
	v_fmac_f32_e32 v31, v32, v28
	v_fma_f32 v25, -v25, v31, v26
	v_div_fmas_f32 v25, v25, v28, v31
	s_waitcnt lgkmcnt(0)
	v_mul_f32_e64 v26, v16, -v14
	v_mul_f32_e32 v28, v16, v13
	v_mul_f32_e64 v31, v8, -v18
	v_mul_f32_e32 v32, v8, v17
	v_fmac_f32_e32 v26, v13, v15
	v_fmac_f32_e32 v28, v14, v15
	;; [unrolled: 1-line block ×4, first 2 shown]
	v_sub_f32_e32 v22, v17, v26
	v_sub_f32_e32 v26, v18, v28
	;; [unrolled: 1-line block ×4, first 2 shown]
	v_div_fixup_f32 v15, v25, v24, 1.0
	v_mul_f32_e32 v25, v21, v15
	v_mul_f32_e32 v24, v33, v15
	v_mul_f32_e64 v15, v25, -v26
	v_mul_f32_e32 v16, v25, v22
	v_mul_f32_e64 v17, v25, -v31
	v_mul_f32_e32 v18, v25, v28
	v_fmac_f32_e32 v15, v22, v24
	v_fmac_f32_e32 v16, v26, v24
	;; [unrolled: 1-line block ×4, first 2 shown]
	ds_write2_b64 v30, v[17:18], v[15:16] offset1:63
	v_mul_f32_e64 v26, v18, -v20
	v_mul_f32_e32 v28, v18, v19
	v_mul_f32_e32 v18, v12, v13
	v_fmac_f32_e32 v26, v19, v17
	v_fmac_f32_e32 v28, v20, v17
	v_mul_f32_e64 v17, v12, -v14
	v_fmac_f32_e32 v18, v14, v11
	v_fmac_f32_e32 v17, v13, v11
	v_mul_f32_e32 v13, v25, v18
	v_mul_f32_e64 v14, v18, -v24
	v_fma_f32 v13, -v24, v17, v13
	v_fma_f32 v14, -v25, v17, v14
	v_mul_f32_e64 v17, v12, -v25
	v_mul_f32_e32 v18, v24, v12
	v_mul_f32_e64 v12, v8, -v10
	v_mul_f32_e32 v8, v8, v9
	v_fmac_f32_e32 v8, v10, v7
	v_fmac_f32_e32 v12, v9, v7
	v_mul_f32_e32 v7, v25, v8
	v_fmac_f32_e32 v17, v24, v11
	v_fmac_f32_e32 v18, v25, v11
	v_fma_f32 v11, -v24, v12, v7
	v_mul_f32_e64 v7, v8, -v24
	v_fma_f32 v12, -v25, v12, v7
	v_mul_f32_e64 v7, v10, -v25
	v_mul_f32_e32 v8, v24, v10
	v_fmac_f32_e32 v7, v24, v9
	v_fmac_f32_e32 v8, v25, v9
	ds_read_b64 v[15:16], v27 offset:2048
	ds_read_b64 v[21:22], v29 offset:1528
	ds_write2_b64 v23, v[17:18], v[13:14] offset1:63
	ds_write2_b64 v23, v[11:12], v[7:8] offset0:128 offset1:191
	ds_read2st64_b64 v[7:10], v27 offset1:2
	s_waitcnt lgkmcnt(4)
	v_sub_f32_e32 v13, v15, v26
	v_sub_f32_e32 v14, v16, v28
	ds_write_b64 v27, v[13:14] offset:2048
	ds_read_b64 v[13:14], v23 offset:2552
	s_waitcnt lgkmcnt(2)
	v_mul_f32_e64 v15, v12, -v8
	v_mul_f32_e32 v12, v12, v7
	v_fmac_f32_e32 v15, v7, v11
	v_fmac_f32_e32 v12, v8, v11
	v_mul_f32_e32 v11, v18, v8
	v_fma_f32 v11, -v7, v17, v11
	v_mul_f32_e64 v7, v18, -v7
	v_sub_f32_e32 v9, v9, v15
	v_sub_f32_e32 v10, v10, v12
	v_fma_f32 v12, -v8, v17, v7
	ds_write2st64_b64 v27, v[11:12], v[9:10] offset1:2
	ds_read_b64 v[7:8], v23 offset:504
	ds_read_b64 v[9:10], v29 offset:504
	;; [unrolled: 1-line block ×5, first 2 shown]
	s_waitcnt lgkmcnt(6)
	v_mul_f32_e64 v19, v14, -v22
	v_mul_f32_e32 v14, v14, v21
	v_fmac_f32_e32 v19, v21, v13
	v_fmac_f32_e32 v14, v22, v13
	s_waitcnt lgkmcnt(1)
	v_sub_f32_e32 v13, v15, v19
	v_sub_f32_e32 v14, v16, v14
	ds_write_b64 v29, v[13:14] offset:2552
	s_waitcnt lgkmcnt(1)
	v_mul_f32_e64 v13, v18, -v8
	v_mul_f32_e32 v14, v18, v7
	v_fmac_f32_e32 v13, v7, v17
	v_fmac_f32_e32 v14, v8, v17
	v_sub_f32_e32 v7, v9, v13
	v_sub_f32_e32 v8, v10, v14
	v_mul_f32_e32 v9, v18, v12
	v_mul_f32_e64 v10, v12, -v17
	v_fma_f32 v9, -v17, v11, v9
	v_fma_f32 v10, -v18, v11, v10
	ds_write2_b64 v29, v[7:8], v[9:10] offset0:63 offset1:191
	s_branch .LBB190_1
.LBB190_4:
	v_cmp_gt_u32_e32 vcc, 2, v0
	v_lshlrev_b32_e32 v7, 5, v0
	s_and_saveexec_b64 s[0:1], vcc
	s_cbranch_execz .LBB190_6
; %bb.5:
	v_max_u32_e32 v8, 1, v7
	v_lshlrev_b32_e32 v24, 8, v0
	v_lshlrev_b32_e32 v25, 3, v8
	ds_read2_b64 v[8:11], v24 offset0:144 offset1:207
	ds_read_b64 v[20:21], v25 offset:2552
	v_min_u32_e32 v12, 31, v7
	v_lshlrev_b32_e32 v26, 3, v12
	v_add_u32_e32 v12, 0x800, v24
	ds_read_b64 v[22:23], v26 offset:2304
	ds_read2_b64 v[12:15], v12 offset0:16 offset1:79
	ds_read2_b64 v[16:19], v24 offset0:16 offset1:79
	s_waitcnt lgkmcnt(3)
	v_mul_f32_e64 v27, v21, -v11
	v_fmac_f32_e32 v27, v10, v20
	v_mul_f32_e32 v10, v21, v10
	v_fmac_f32_e32 v10, v11, v20
	s_waitcnt lgkmcnt(1)
	v_sub_f32_e32 v11, v14, v27
	v_sub_f32_e32 v14, v15, v10
	s_waitcnt lgkmcnt(0)
	v_mul_f32_e64 v10, v23, -v19
	v_mul_f32_e32 v15, v23, v18
	v_fmac_f32_e32 v10, v18, v22
	v_fmac_f32_e32 v15, v19, v22
	v_sub_f32_e32 v10, v11, v10
	v_sub_f32_e32 v11, v14, v15
	ds_write_b64 v24, v[10:11] offset:2680
	ds_read_b64 v[10:11], v25 offset:2552
	s_waitcnt lgkmcnt(0)
	v_mul_f32_e64 v14, v11, -v9
	v_mul_f32_e32 v11, v11, v8
	v_fmac_f32_e32 v14, v8, v10
	v_fmac_f32_e32 v11, v9, v10
	v_sub_f32_e32 v8, v12, v14
	v_sub_f32_e32 v9, v13, v11
	ds_write_b64 v24, v[8:9] offset:2176
	ds_read_b64 v[10:11], v26 offset:2304
	s_waitcnt lgkmcnt(0)
	v_mul_f32_e64 v12, v11, -v17
	v_mul_f32_e32 v11, v11, v16
	v_fmac_f32_e32 v12, v16, v10
	v_fmac_f32_e32 v11, v17, v10
	v_sub_f32_e32 v8, v8, v12
	v_sub_f32_e32 v9, v9, v11
	ds_write_b64 v24, v[8:9] offset:2176
.LBB190_6:
	s_or_b64 exec, exec, s[0:1]
	v_cmp_gt_u32_e32 vcc, 4, v0
	v_lshlrev_b32_e32 v8, 4, v0
	s_waitcnt lgkmcnt(0)
	; wave barrier
	s_and_saveexec_b64 s[0:1], vcc
	s_cbranch_execz .LBB190_8
; %bb.7:
	v_max_u32_e32 v9, 1, v8
	v_lshlrev_b32_e32 v25, 7, v0
	v_lshlrev_b32_e32 v26, 3, v9
	ds_read2_b64 v[9:12], v25 offset0:136 offset1:199
	ds_read_b64 v[21:22], v26 offset:2552
	v_min_u32_e32 v13, 47, v8
	v_lshlrev_b32_e32 v27, 3, v13
	v_add_u32_e32 v13, 0x800, v25
	ds_read_b64 v[23:24], v27 offset:2176
	ds_read2_b64 v[13:16], v13 offset0:8 offset1:71
	ds_read2_b64 v[17:20], v25 offset0:8 offset1:71
	s_waitcnt lgkmcnt(3)
	v_mul_f32_e64 v28, v22, -v12
	v_fmac_f32_e32 v28, v11, v21
	v_mul_f32_e32 v11, v22, v11
	v_fmac_f32_e32 v11, v12, v21
	s_waitcnt lgkmcnt(1)
	v_sub_f32_e32 v12, v15, v28
	v_sub_f32_e32 v15, v16, v11
	s_waitcnt lgkmcnt(0)
	v_mul_f32_e64 v11, v24, -v20
	v_mul_f32_e32 v16, v24, v19
	v_fmac_f32_e32 v11, v19, v23
	v_fmac_f32_e32 v16, v20, v23
	v_sub_f32_e32 v11, v12, v11
	v_sub_f32_e32 v12, v15, v16
	ds_write_b64 v25, v[11:12] offset:2616
	ds_read_b64 v[11:12], v26 offset:2552
	s_waitcnt lgkmcnt(0)
	v_mul_f32_e64 v15, v12, -v10
	v_mul_f32_e32 v12, v12, v9
	v_fmac_f32_e32 v15, v9, v11
	v_fmac_f32_e32 v12, v10, v11
	v_sub_f32_e32 v9, v13, v15
	v_sub_f32_e32 v10, v14, v12
	ds_write_b64 v25, v[9:10] offset:2112
	ds_read_b64 v[11:12], v27 offset:2176
	s_waitcnt lgkmcnt(0)
	v_mul_f32_e64 v13, v12, -v18
	v_mul_f32_e32 v12, v12, v17
	v_fmac_f32_e32 v13, v17, v11
	v_fmac_f32_e32 v12, v18, v11
	v_sub_f32_e32 v9, v9, v13
	v_sub_f32_e32 v10, v10, v12
	ds_write_b64 v25, v[9:10] offset:2112
.LBB190_8:
	s_or_b64 exec, exec, s[0:1]
	v_cmp_gt_u32_e32 vcc, 8, v0
	s_waitcnt lgkmcnt(0)
	; wave barrier
	s_and_saveexec_b64 s[0:1], vcc
	s_cbranch_execz .LBB190_10
; %bb.9:
	v_max_u32_e32 v9, 1, v6
	v_lshlrev_b32_e32 v25, 6, v0
	v_lshlrev_b32_e32 v26, 3, v9
	ds_read2_b64 v[9:12], v25 offset0:132 offset1:195
	ds_read_b64 v[21:22], v26 offset:2552
	v_min_u32_e32 v6, 55, v6
	v_lshlrev_b32_e32 v6, 3, v6
	v_add_u32_e32 v13, 0x800, v25
	ds_read_b64 v[23:24], v6 offset:2112
	ds_read2_b64 v[13:16], v13 offset0:4 offset1:67
	ds_read2_b64 v[17:20], v25 offset0:4 offset1:67
	s_waitcnt lgkmcnt(3)
	v_mul_f32_e64 v27, v22, -v12
	v_fmac_f32_e32 v27, v11, v21
	v_mul_f32_e32 v11, v22, v11
	v_fmac_f32_e32 v11, v12, v21
	s_waitcnt lgkmcnt(1)
	v_sub_f32_e32 v12, v15, v27
	v_sub_f32_e32 v15, v16, v11
	s_waitcnt lgkmcnt(0)
	v_mul_f32_e64 v11, v24, -v20
	v_mul_f32_e32 v16, v24, v19
	v_fmac_f32_e32 v11, v19, v23
	v_fmac_f32_e32 v16, v20, v23
	v_sub_f32_e32 v11, v12, v11
	v_sub_f32_e32 v12, v15, v16
	ds_write_b64 v25, v[11:12] offset:2584
	ds_read_b64 v[11:12], v26 offset:2552
	s_waitcnt lgkmcnt(0)
	v_mul_f32_e64 v15, v12, -v10
	v_mul_f32_e32 v12, v12, v9
	v_fmac_f32_e32 v15, v9, v11
	v_fmac_f32_e32 v12, v10, v11
	v_sub_f32_e32 v9, v13, v15
	v_sub_f32_e32 v10, v14, v12
	ds_write_b64 v25, v[9:10] offset:2080
	ds_read_b64 v[11:12], v6 offset:2112
	s_waitcnt lgkmcnt(0)
	v_mul_f32_e64 v6, v12, -v18
	v_mul_f32_e32 v12, v12, v17
	v_fmac_f32_e32 v6, v17, v11
	v_fmac_f32_e32 v12, v18, v11
	v_sub_f32_e32 v9, v9, v6
	v_sub_f32_e32 v10, v10, v12
	ds_write_b64 v25, v[9:10] offset:2080
.LBB190_10:
	s_or_b64 exec, exec, s[0:1]
	v_cmp_gt_u32_e32 vcc, 16, v0
	s_waitcnt lgkmcnt(0)
	; wave barrier
	s_and_saveexec_b64 s[0:1], vcc
	s_cbranch_execz .LBB190_12
; %bb.11:
	v_lshlrev_b32_e32 v6, 2, v0
	v_max_u32_e32 v9, 1, v6
	v_lshlrev_b32_e32 v25, 3, v9
	ds_read2_b64 v[9:12], v7 offset0:130 offset1:193
	ds_read_b64 v[21:22], v25 offset:2552
	v_min_u32_e32 v6, 59, v6
	v_lshlrev_b32_e32 v6, 3, v6
	v_add_u32_e32 v13, 0x800, v7
	ds_read_b64 v[23:24], v6 offset:2080
	ds_read2_b64 v[13:16], v13 offset0:2 offset1:65
	ds_read2_b64 v[17:20], v7 offset0:2 offset1:65
	s_waitcnt lgkmcnt(3)
	v_mul_f32_e64 v26, v22, -v12
	v_fmac_f32_e32 v26, v11, v21
	v_mul_f32_e32 v11, v22, v11
	v_fmac_f32_e32 v11, v12, v21
	s_waitcnt lgkmcnt(1)
	v_sub_f32_e32 v12, v15, v26
	v_sub_f32_e32 v15, v16, v11
	s_waitcnt lgkmcnt(0)
	v_mul_f32_e64 v11, v24, -v20
	v_mul_f32_e32 v16, v24, v19
	v_fmac_f32_e32 v11, v19, v23
	v_fmac_f32_e32 v16, v20, v23
	v_sub_f32_e32 v11, v12, v11
	v_sub_f32_e32 v12, v15, v16
	ds_write_b64 v7, v[11:12] offset:2568
	ds_read_b64 v[11:12], v25 offset:2552
	s_waitcnt lgkmcnt(0)
	v_mul_f32_e64 v15, v12, -v10
	v_mul_f32_e32 v12, v12, v9
	v_fmac_f32_e32 v15, v9, v11
	v_fmac_f32_e32 v12, v10, v11
	v_sub_f32_e32 v9, v13, v15
	v_sub_f32_e32 v10, v14, v12
	ds_write_b64 v7, v[9:10] offset:2064
	ds_read_b64 v[11:12], v6 offset:2080
	s_waitcnt lgkmcnt(0)
	v_mul_f32_e64 v6, v12, -v18
	v_mul_f32_e32 v12, v12, v17
	v_fmac_f32_e32 v6, v17, v11
	v_fmac_f32_e32 v12, v18, v11
	v_sub_f32_e32 v9, v9, v6
	v_sub_f32_e32 v10, v10, v12
	ds_write_b64 v7, v[9:10] offset:2064
.LBB190_12:
	s_or_b64 exec, exec, s[0:1]
	v_cmp_gt_u32_e32 vcc, 32, v0
	s_waitcnt lgkmcnt(0)
	; wave barrier
	s_and_saveexec_b64 s[0:1], vcc
	s_cbranch_execz .LBB190_14
; %bb.13:
	v_lshlrev_b32_e32 v0, 1, v0
	v_max_u32_e32 v6, 1, v0
	v_min_u32_e32 v0, 61, v0
	v_lshlrev_b32_e32 v23, 3, v6
	ds_read2_b64 v[9:12], v8 offset0:129 offset1:192
	ds_read_b64 v[6:7], v23 offset:2552
	v_lshlrev_b32_e32 v0, 3, v0
	ds_read_b64 v[21:22], v0 offset:2064
	v_add_u32_e32 v13, 0x800, v8
	ds_read2_b64 v[17:20], v8 offset0:1 offset1:64
	ds_read2_b64 v[13:16], v13 offset0:1 offset1:64
	s_waitcnt lgkmcnt(3)
	v_mul_f32_e64 v24, v7, -v12
	v_mul_f32_e32 v7, v7, v11
	v_fmac_f32_e32 v24, v11, v6
	v_fmac_f32_e32 v7, v12, v6
	s_waitcnt lgkmcnt(1)
	v_mul_f32_e64 v11, v22, -v20
	v_mul_f32_e32 v12, v22, v19
	s_waitcnt lgkmcnt(0)
	v_sub_f32_e32 v6, v15, v24
	v_sub_f32_e32 v7, v16, v7
	v_fmac_f32_e32 v11, v19, v21
	v_fmac_f32_e32 v12, v20, v21
	v_sub_f32_e32 v6, v6, v11
	v_sub_f32_e32 v7, v7, v12
	ds_write_b64 v8, v[6:7] offset:2560
	ds_read_b64 v[6:7], v23 offset:2552
	s_waitcnt lgkmcnt(0)
	v_mul_f32_e64 v11, v7, -v10
	v_mul_f32_e32 v7, v7, v9
	v_fmac_f32_e32 v11, v9, v6
	v_fmac_f32_e32 v7, v10, v6
	v_sub_f32_e32 v6, v13, v11
	v_sub_f32_e32 v7, v14, v7
	ds_write_b64 v8, v[6:7] offset:2056
	ds_read_b64 v[9:10], v0 offset:2064
	s_waitcnt lgkmcnt(0)
	v_mul_f32_e64 v0, v10, -v18
	v_mul_f32_e32 v10, v10, v17
	v_fmac_f32_e32 v0, v17, v9
	v_fmac_f32_e32 v10, v18, v9
	v_sub_f32_e32 v6, v6, v0
	v_sub_f32_e32 v7, v7, v10
	ds_write_b64 v8, v[6:7] offset:2056
.LBB190_14:
	s_or_b64 exec, exec, s[0:1]
	s_waitcnt lgkmcnt(0)
	; wave barrier
	ds_read2st64_b64 v[5:8], v5 offset1:1
	s_waitcnt lgkmcnt(0)
	global_store_dwordx2 v[1:2], v[5:6], off
	global_store_dwordx2 v[3:4], v[7:8], off
	s_endpgm
	.section	.rodata,"a",@progbits
	.p2align	6, 0x0
	.amdhsa_kernel _ZN9rocsparseL34gtsv_solve_spike_grid_level_kernelILj64E21rocsparse_complex_numIfEEEviiiPT0_PKS3_S6_
		.amdhsa_group_segment_fixed_size 3072
		.amdhsa_private_segment_fixed_size 0
		.amdhsa_kernarg_size 40
		.amdhsa_user_sgpr_count 6
		.amdhsa_user_sgpr_private_segment_buffer 1
		.amdhsa_user_sgpr_dispatch_ptr 0
		.amdhsa_user_sgpr_queue_ptr 0
		.amdhsa_user_sgpr_kernarg_segment_ptr 1
		.amdhsa_user_sgpr_dispatch_id 0
		.amdhsa_user_sgpr_flat_scratch_init 0
		.amdhsa_user_sgpr_private_segment_size 0
		.amdhsa_uses_dynamic_stack 0
		.amdhsa_system_sgpr_private_segment_wavefront_offset 0
		.amdhsa_system_sgpr_workgroup_id_x 1
		.amdhsa_system_sgpr_workgroup_id_y 1
		.amdhsa_system_sgpr_workgroup_id_z 0
		.amdhsa_system_sgpr_workgroup_info 0
		.amdhsa_system_vgpr_workitem_id 0
		.amdhsa_next_free_vgpr 37
		.amdhsa_next_free_sgpr 93
		.amdhsa_reserve_vcc 1
		.amdhsa_reserve_flat_scratch 0
		.amdhsa_float_round_mode_32 0
		.amdhsa_float_round_mode_16_64 0
		.amdhsa_float_denorm_mode_32 3
		.amdhsa_float_denorm_mode_16_64 3
		.amdhsa_dx10_clamp 1
		.amdhsa_ieee_mode 1
		.amdhsa_fp16_overflow 0
		.amdhsa_exception_fp_ieee_invalid_op 0
		.amdhsa_exception_fp_denorm_src 0
		.amdhsa_exception_fp_ieee_div_zero 0
		.amdhsa_exception_fp_ieee_overflow 0
		.amdhsa_exception_fp_ieee_underflow 0
		.amdhsa_exception_fp_ieee_inexact 0
		.amdhsa_exception_int_div_zero 0
	.end_amdhsa_kernel
	.section	.text._ZN9rocsparseL34gtsv_solve_spike_grid_level_kernelILj64E21rocsparse_complex_numIfEEEviiiPT0_PKS3_S6_,"axG",@progbits,_ZN9rocsparseL34gtsv_solve_spike_grid_level_kernelILj64E21rocsparse_complex_numIfEEEviiiPT0_PKS3_S6_,comdat
.Lfunc_end190:
	.size	_ZN9rocsparseL34gtsv_solve_spike_grid_level_kernelILj64E21rocsparse_complex_numIfEEEviiiPT0_PKS3_S6_, .Lfunc_end190-_ZN9rocsparseL34gtsv_solve_spike_grid_level_kernelILj64E21rocsparse_complex_numIfEEEviiiPT0_PKS3_S6_
                                        ; -- End function
	.set _ZN9rocsparseL34gtsv_solve_spike_grid_level_kernelILj64E21rocsparse_complex_numIfEEEviiiPT0_PKS3_S6_.num_vgpr, 34
	.set _ZN9rocsparseL34gtsv_solve_spike_grid_level_kernelILj64E21rocsparse_complex_numIfEEEviiiPT0_PKS3_S6_.num_agpr, 0
	.set _ZN9rocsparseL34gtsv_solve_spike_grid_level_kernelILj64E21rocsparse_complex_numIfEEEviiiPT0_PKS3_S6_.numbered_sgpr, 10
	.set _ZN9rocsparseL34gtsv_solve_spike_grid_level_kernelILj64E21rocsparse_complex_numIfEEEviiiPT0_PKS3_S6_.num_named_barrier, 0
	.set _ZN9rocsparseL34gtsv_solve_spike_grid_level_kernelILj64E21rocsparse_complex_numIfEEEviiiPT0_PKS3_S6_.private_seg_size, 0
	.set _ZN9rocsparseL34gtsv_solve_spike_grid_level_kernelILj64E21rocsparse_complex_numIfEEEviiiPT0_PKS3_S6_.uses_vcc, 1
	.set _ZN9rocsparseL34gtsv_solve_spike_grid_level_kernelILj64E21rocsparse_complex_numIfEEEviiiPT0_PKS3_S6_.uses_flat_scratch, 0
	.set _ZN9rocsparseL34gtsv_solve_spike_grid_level_kernelILj64E21rocsparse_complex_numIfEEEviiiPT0_PKS3_S6_.has_dyn_sized_stack, 0
	.set _ZN9rocsparseL34gtsv_solve_spike_grid_level_kernelILj64E21rocsparse_complex_numIfEEEviiiPT0_PKS3_S6_.has_recursion, 0
	.set _ZN9rocsparseL34gtsv_solve_spike_grid_level_kernelILj64E21rocsparse_complex_numIfEEEviiiPT0_PKS3_S6_.has_indirect_call, 0
	.section	.AMDGPU.csdata,"",@progbits
; Kernel info:
; codeLenInByte = 2332
; TotalNumSgprs: 14
; NumVgprs: 34
; ScratchSize: 0
; MemoryBound: 0
; FloatMode: 240
; IeeeMode: 1
; LDSByteSize: 3072 bytes/workgroup (compile time only)
; SGPRBlocks: 12
; VGPRBlocks: 9
; NumSGPRsForWavesPerEU: 97
; NumVGPRsForWavesPerEU: 37
; Occupancy: 6
; WaveLimiterHint : 1
; COMPUTE_PGM_RSRC2:SCRATCH_EN: 0
; COMPUTE_PGM_RSRC2:USER_SGPR: 6
; COMPUTE_PGM_RSRC2:TRAP_HANDLER: 0
; COMPUTE_PGM_RSRC2:TGID_X_EN: 1
; COMPUTE_PGM_RSRC2:TGID_Y_EN: 1
; COMPUTE_PGM_RSRC2:TGID_Z_EN: 0
; COMPUTE_PGM_RSRC2:TIDIG_COMP_CNT: 0
	.section	.text._ZN9rocsparseL34gtsv_solve_spike_grid_level_kernelILj128E21rocsparse_complex_numIfEEEviiiPT0_PKS3_S6_,"axG",@progbits,_ZN9rocsparseL34gtsv_solve_spike_grid_level_kernelILj128E21rocsparse_complex_numIfEEEviiiPT0_PKS3_S6_,comdat
	.globl	_ZN9rocsparseL34gtsv_solve_spike_grid_level_kernelILj128E21rocsparse_complex_numIfEEEviiiPT0_PKS3_S6_ ; -- Begin function _ZN9rocsparseL34gtsv_solve_spike_grid_level_kernelILj128E21rocsparse_complex_numIfEEEviiiPT0_PKS3_S6_
	.p2align	8
	.type	_ZN9rocsparseL34gtsv_solve_spike_grid_level_kernelILj128E21rocsparse_complex_numIfEEEviiiPT0_PKS3_S6_,@function
_ZN9rocsparseL34gtsv_solve_spike_grid_level_kernelILj128E21rocsparse_complex_numIfEEEviiiPT0_PKS3_S6_: ; @_ZN9rocsparseL34gtsv_solve_spike_grid_level_kernelILj128E21rocsparse_complex_numIfEEEviiiPT0_PKS3_S6_
; %bb.0:
	s_load_dwordx4 s[0:3], s[4:5], 0x10
	s_load_dwordx2 s[8:9], s[4:5], 0x20
	v_lshl_or_b32 v3, s7, 8, v0
	v_mov_b32_e32 v4, 0
	v_lshlrev_b64 v[1:2], 3, v[3:4]
	v_or_b32_e32 v3, 0x80, v3
	s_waitcnt lgkmcnt(0)
	v_mov_b32_e32 v5, s1
	v_add_co_u32_e32 v1, vcc, s0, v1
	v_lshlrev_b64 v[3:4], 3, v[3:4]
	v_addc_co_u32_e32 v2, vcc, v5, v2, vcc
	v_lshlrev_b32_e32 v6, 3, v0
	v_add_co_u32_e32 v3, vcc, s0, v3
	global_load_dwordx2 v[7:8], v6, s[2:3]
	global_load_dwordx2 v[9:10], v6, s[2:3] offset:1024
	global_load_dwordx2 v[11:12], v6, s[8:9]
	global_load_dwordx2 v[13:14], v6, s[8:9] offset:1024
	v_addc_co_u32_e32 v4, vcc, v5, v4, vcc
	global_load_dwordx2 v[15:16], v[1:2], off
	global_load_dwordx2 v[17:18], v[3:4], off
	v_or_b32_e32 v5, 0x1000, v6
	s_mov_b32 s2, 2
	s_waitcnt vmcnt(4)
	ds_write2st64_b64 v6, v[7:8], v[9:10] offset0:4 offset1:6
	s_waitcnt vmcnt(2)
	ds_write2st64_b64 v6, v[11:12], v[13:14] offset1:2
	s_waitcnt vmcnt(0)
	ds_write2st64_b64 v6, v[15:16], v[17:18] offset0:8 offset1:10
	s_waitcnt lgkmcnt(0)
	s_barrier
	s_branch .LBB191_2
.LBB191_1:                              ;   in Loop: Header=BB191_2 Depth=1
	s_or_b64 exec, exec, s[0:1]
	s_lshl_b32 s0, s2, 1
	s_cmpk_lt_u32 s2, 0x41
	s_mov_b32 s2, s0
	s_waitcnt lgkmcnt(0)
	s_barrier
	s_cbranch_scc0 .LBB191_4
.LBB191_2:                              ; =>This Inner Loop Header: Depth=1
	s_ff1_i32_b32 s0, s2
	s_lshr_b32 s0, 0x80, s0
	v_cmp_gt_u32_e32 vcc, s0, v0
	s_and_saveexec_b64 s[0:1], vcc
	s_cbranch_execz .LBB191_1
; %bb.3:                                ;   in Loop: Header=BB191_2 Depth=1
	v_mul_lo_u32 v15, s2, v0
	s_lshr_b32 s3, s2, 1
	v_add_u32_e32 v16, s3, v15
	v_lshlrev_b32_e32 v23, 3, v16
	v_add_u32_e32 v24, 0x800, v23
	ds_read2_b64 v[7:10], v23 offset1:127
	ds_read2_b64 v[11:14], v24 offset1:127
	v_add_u32_e32 v31, 0x1000, v23
	v_lshlrev_b32_e32 v28, 3, v15
	v_add_lshl_u32 v30, v16, s3, 3
	ds_read_b64 v[19:20], v28
	s_waitcnt lgkmcnt(1)
	v_mul_f32_e64 v17, v10, -v12
	v_mul_f32_e32 v21, v10, v11
	v_fmac_f32_e32 v17, v11, v9
	v_fmac_f32_e32 v21, v12, v9
	v_sub_f32_e32 v22, 1.0, v17
	v_mul_f32_e64 v25, -v21, -v21
	v_fmac_f32_e32 v25, v22, v22
	v_div_scale_f32 v26, s[4:5], v25, v25, 1.0
	v_div_scale_f32 v27, vcc, 1.0, v25, 1.0
	ds_read2_b64 v[15:18], v31 offset1:127
	v_sub_f32_e32 v21, 0, v21
	v_rcp_f32_e32 v29, v26
	v_fma_f32 v32, -v26, v29, 1.0
	v_fmac_f32_e32 v29, v32, v29
	v_mul_f32_e32 v32, v27, v29
	v_fma_f32 v33, -v26, v32, v27
	v_fmac_f32_e32 v32, v33, v29
	v_fma_f32 v26, -v26, v32, v27
	v_div_fmas_f32 v26, v26, v29, v32
	s_waitcnt lgkmcnt(0)
	v_mul_f32_e64 v27, v16, -v10
	v_mul_f32_e32 v33, v12, v17
	v_mul_f32_e32 v29, v16, v9
	v_mul_f32_e64 v32, v12, -v18
	v_fmac_f32_e32 v27, v9, v15
	v_fmac_f32_e32 v33, v18, v11
	;; [unrolled: 1-line block ×4, first 2 shown]
	v_sub_f32_e32 v27, v17, v27
	v_sub_f32_e32 v33, v16, v33
	v_fma_f32 v16, v22, 0, -v21
	v_sub_f32_e32 v29, v18, v29
	v_sub_f32_e32 v32, v15, v32
	v_fma_f32 v15, 0, v21, v22
	v_div_fixup_f32 v17, v26, v25, 1.0
	v_mul_f32_e32 v26, v16, v17
	v_mul_f32_e32 v25, v15, v17
	v_mul_f32_e64 v15, v26, -v29
	v_mul_f32_e32 v16, v26, v27
	v_mul_f32_e64 v17, v26, -v33
	v_mul_f32_e32 v18, v26, v32
	v_fmac_f32_e32 v15, v27, v25
	v_fmac_f32_e32 v16, v29, v25
	;; [unrolled: 1-line block ×4, first 2 shown]
	ds_write2_b64 v31, v[17:18], v[15:16] offset1:127
	v_mul_f32_e64 v27, v18, -v20
	v_mul_f32_e32 v29, v18, v19
	v_mul_f32_e32 v18, v8, v9
	v_fmac_f32_e32 v27, v19, v17
	v_fmac_f32_e32 v29, v20, v17
	v_mul_f32_e64 v17, v8, -v10
	v_fmac_f32_e32 v18, v10, v7
	v_fmac_f32_e32 v17, v9, v7
	v_mul_f32_e32 v9, v26, v18
	v_mul_f32_e64 v10, v18, -v25
	v_fma_f32 v9, -v25, v17, v9
	v_fma_f32 v10, -v26, v17, v10
	v_mul_f32_e64 v17, v8, -v26
	v_mul_f32_e32 v18, v25, v8
	v_mul_f32_e32 v8, v12, v13
	v_fmac_f32_e32 v17, v25, v7
	v_fmac_f32_e32 v18, v26, v7
	v_mul_f32_e64 v7, v12, -v14
	v_fmac_f32_e32 v8, v14, v11
	ds_read_b64 v[15:16], v28 offset:4096
	ds_read_b64 v[21:22], v30 offset:3064
	ds_write2_b64 v23, v[17:18], v[9:10] offset1:127
	v_fmac_f32_e32 v7, v13, v11
	v_mul_f32_e32 v9, v26, v8
	v_mul_f32_e64 v8, v8, -v25
	v_fma_f32 v11, -v25, v7, v9
	v_fma_f32 v12, -v26, v7, v8
	v_mul_f32_e64 v7, v14, -v26
	v_mul_f32_e32 v8, v25, v14
	v_fmac_f32_e32 v7, v25, v13
	v_fmac_f32_e32 v8, v26, v13
	ds_write2_b64 v24, v[11:12], v[7:8] offset1:127
	ds_read2st64_b64 v[7:10], v28 offset1:4
	s_waitcnt lgkmcnt(4)
	v_sub_f32_e32 v13, v15, v27
	v_sub_f32_e32 v14, v16, v29
	ds_write_b64 v28, v[13:14] offset:4096
	ds_read_b64 v[13:14], v23 offset:5112
	s_waitcnt lgkmcnt(2)
	v_mul_f32_e64 v15, v12, -v8
	v_mul_f32_e32 v12, v12, v7
	v_fmac_f32_e32 v15, v7, v11
	v_fmac_f32_e32 v12, v8, v11
	v_mul_f32_e32 v11, v18, v8
	v_fma_f32 v11, -v7, v17, v11
	v_mul_f32_e64 v7, v18, -v7
	v_sub_f32_e32 v9, v9, v15
	v_sub_f32_e32 v10, v10, v12
	v_fma_f32 v12, -v8, v17, v7
	ds_write2st64_b64 v28, v[11:12], v[9:10] offset1:4
	ds_read_b64 v[7:8], v23 offset:1016
	ds_read_b64 v[9:10], v30 offset:1016
	;; [unrolled: 1-line block ×5, first 2 shown]
	s_waitcnt lgkmcnt(6)
	v_mul_f32_e64 v19, v14, -v22
	v_mul_f32_e32 v14, v14, v21
	v_fmac_f32_e32 v19, v21, v13
	v_fmac_f32_e32 v14, v22, v13
	s_waitcnt lgkmcnt(1)
	v_sub_f32_e32 v13, v15, v19
	v_sub_f32_e32 v14, v16, v14
	ds_write_b64 v30, v[13:14] offset:5112
	s_waitcnt lgkmcnt(1)
	v_mul_f32_e64 v13, v18, -v8
	v_mul_f32_e32 v14, v18, v7
	v_fmac_f32_e32 v13, v7, v17
	v_fmac_f32_e32 v14, v8, v17
	v_sub_f32_e32 v7, v9, v13
	v_sub_f32_e32 v8, v10, v14
	v_mul_f32_e32 v9, v18, v12
	v_mul_f32_e64 v10, v12, -v17
	v_fma_f32 v9, -v17, v11, v9
	v_fma_f32 v10, -v18, v11, v10
	v_add_u32_e32 v11, 0x1f8, v30
	ds_write2st64_b64 v11, v[7:8], v[9:10] offset0:1 offset1:5
	s_branch .LBB191_1
.LBB191_4:
	v_cmp_gt_u32_e32 vcc, 2, v0
	v_lshlrev_b32_e32 v7, 6, v0
	s_and_saveexec_b64 s[0:1], vcc
	s_cbranch_execz .LBB191_6
; %bb.5:
	v_max_u32_e32 v8, 1, v7
	v_lshlrev_b32_e32 v24, 9, v0
	v_lshlrev_b32_e32 v25, 3, v8
	v_add_u32_e32 v8, 0x800, v24
	ds_read2_b64 v[8:11], v8 offset0:32 offset1:159
	ds_read_b64 v[20:21], v25 offset:5112
	v_min_u32_e32 v12, 63, v7
	v_lshlrev_b32_e32 v26, 3, v12
	v_add_u32_e32 v12, 0x1000, v24
	ds_read_b64 v[22:23], v26 offset:4608
	ds_read2_b64 v[12:15], v12 offset0:32 offset1:159
	ds_read2_b64 v[16:19], v24 offset0:32 offset1:159
	s_waitcnt lgkmcnt(3)
	v_mul_f32_e64 v27, v21, -v11
	v_fmac_f32_e32 v27, v10, v20
	v_mul_f32_e32 v10, v21, v10
	v_fmac_f32_e32 v10, v11, v20
	s_waitcnt lgkmcnt(1)
	v_sub_f32_e32 v11, v14, v27
	v_sub_f32_e32 v14, v15, v10
	s_waitcnt lgkmcnt(0)
	v_mul_f32_e64 v10, v23, -v19
	v_mul_f32_e32 v15, v23, v18
	v_fmac_f32_e32 v10, v18, v22
	v_fmac_f32_e32 v15, v19, v22
	v_sub_f32_e32 v10, v11, v10
	v_sub_f32_e32 v11, v14, v15
	ds_write_b64 v24, v[10:11] offset:5368
	ds_read_b64 v[10:11], v25 offset:5112
	s_waitcnt lgkmcnt(0)
	v_mul_f32_e64 v14, v11, -v9
	v_mul_f32_e32 v11, v11, v8
	v_fmac_f32_e32 v14, v8, v10
	v_fmac_f32_e32 v11, v9, v10
	v_sub_f32_e32 v8, v12, v14
	v_sub_f32_e32 v9, v13, v11
	ds_write_b64 v24, v[8:9] offset:4352
	ds_read_b64 v[10:11], v26 offset:4608
	s_waitcnt lgkmcnt(0)
	v_mul_f32_e64 v12, v11, -v17
	v_mul_f32_e32 v11, v11, v16
	v_fmac_f32_e32 v12, v16, v10
	v_fmac_f32_e32 v11, v17, v10
	v_sub_f32_e32 v8, v8, v12
	v_sub_f32_e32 v9, v9, v11
	ds_write_b64 v24, v[8:9] offset:4352
.LBB191_6:
	s_or_b64 exec, exec, s[0:1]
	v_cmp_gt_u32_e32 vcc, 4, v0
	v_lshlrev_b32_e32 v8, 5, v0
	s_waitcnt lgkmcnt(0)
	s_barrier
	s_and_saveexec_b64 s[0:1], vcc
	s_cbranch_execz .LBB191_8
; %bb.7:
	v_max_u32_e32 v9, 1, v8
	v_lshlrev_b32_e32 v25, 8, v0
	v_lshlrev_b32_e32 v26, 3, v9
	v_add_u32_e32 v9, 0x800, v25
	ds_read2_b64 v[9:12], v9 offset0:16 offset1:143
	ds_read_b64 v[21:22], v26 offset:5112
	v_min_u32_e32 v13, 0x5f, v8
	v_lshlrev_b32_e32 v27, 3, v13
	v_add_u32_e32 v13, 0x1000, v25
	ds_read_b64 v[23:24], v27 offset:4352
	ds_read2_b64 v[13:16], v13 offset0:16 offset1:143
	ds_read2_b64 v[17:20], v25 offset0:16 offset1:143
	s_waitcnt lgkmcnt(3)
	v_mul_f32_e64 v28, v22, -v12
	v_fmac_f32_e32 v28, v11, v21
	v_mul_f32_e32 v11, v22, v11
	v_fmac_f32_e32 v11, v12, v21
	s_waitcnt lgkmcnt(1)
	v_sub_f32_e32 v12, v15, v28
	v_sub_f32_e32 v15, v16, v11
	s_waitcnt lgkmcnt(0)
	v_mul_f32_e64 v11, v24, -v20
	v_mul_f32_e32 v16, v24, v19
	v_fmac_f32_e32 v11, v19, v23
	v_fmac_f32_e32 v16, v20, v23
	v_sub_f32_e32 v11, v12, v11
	v_sub_f32_e32 v12, v15, v16
	ds_write_b64 v25, v[11:12] offset:5240
	ds_read_b64 v[11:12], v26 offset:5112
	s_waitcnt lgkmcnt(0)
	v_mul_f32_e64 v15, v12, -v10
	v_mul_f32_e32 v12, v12, v9
	v_fmac_f32_e32 v15, v9, v11
	v_fmac_f32_e32 v12, v10, v11
	v_sub_f32_e32 v9, v13, v15
	v_sub_f32_e32 v10, v14, v12
	ds_write_b64 v25, v[9:10] offset:4224
	ds_read_b64 v[11:12], v27 offset:4352
	s_waitcnt lgkmcnt(0)
	v_mul_f32_e64 v13, v12, -v18
	v_mul_f32_e32 v12, v12, v17
	v_fmac_f32_e32 v13, v17, v11
	v_fmac_f32_e32 v12, v18, v11
	v_sub_f32_e32 v9, v9, v13
	v_sub_f32_e32 v10, v10, v12
	ds_write_b64 v25, v[9:10] offset:4224
.LBB191_8:
	s_or_b64 exec, exec, s[0:1]
	v_cmp_gt_u32_e32 vcc, 8, v0
	v_lshlrev_b32_e32 v9, 4, v0
	s_waitcnt lgkmcnt(0)
	s_barrier
	s_and_saveexec_b64 s[0:1], vcc
	s_cbranch_execz .LBB191_10
; %bb.9:
	v_max_u32_e32 v10, 1, v9
	v_lshlrev_b32_e32 v26, 7, v0
	v_lshlrev_b32_e32 v27, 3, v10
	v_add_u32_e32 v10, 0x800, v26
	ds_read2_b64 v[10:13], v10 offset0:8 offset1:135
	ds_read_b64 v[22:23], v27 offset:5112
	v_min_u32_e32 v14, 0x6f, v9
	v_lshlrev_b32_e32 v28, 3, v14
	v_add_u32_e32 v14, 0x1000, v26
	ds_read_b64 v[24:25], v28 offset:4224
	ds_read2_b64 v[14:17], v14 offset0:8 offset1:135
	ds_read2_b64 v[18:21], v26 offset0:8 offset1:135
	s_waitcnt lgkmcnt(3)
	v_mul_f32_e64 v29, v23, -v13
	v_fmac_f32_e32 v29, v12, v22
	v_mul_f32_e32 v12, v23, v12
	v_fmac_f32_e32 v12, v13, v22
	s_waitcnt lgkmcnt(1)
	v_sub_f32_e32 v13, v16, v29
	v_sub_f32_e32 v16, v17, v12
	s_waitcnt lgkmcnt(0)
	v_mul_f32_e64 v12, v25, -v21
	v_mul_f32_e32 v17, v25, v20
	v_fmac_f32_e32 v12, v20, v24
	v_fmac_f32_e32 v17, v21, v24
	v_sub_f32_e32 v12, v13, v12
	v_sub_f32_e32 v13, v16, v17
	ds_write_b64 v26, v[12:13] offset:5176
	ds_read_b64 v[12:13], v27 offset:5112
	s_waitcnt lgkmcnt(0)
	v_mul_f32_e64 v16, v13, -v11
	v_mul_f32_e32 v13, v13, v10
	v_fmac_f32_e32 v16, v10, v12
	v_fmac_f32_e32 v13, v11, v12
	v_sub_f32_e32 v10, v14, v16
	v_sub_f32_e32 v11, v15, v13
	ds_write_b64 v26, v[10:11] offset:4160
	ds_read_b64 v[12:13], v28 offset:4224
	s_waitcnt lgkmcnt(0)
	v_mul_f32_e64 v14, v13, -v19
	v_mul_f32_e32 v13, v13, v18
	v_fmac_f32_e32 v14, v18, v12
	v_fmac_f32_e32 v13, v19, v12
	v_sub_f32_e32 v10, v10, v14
	v_sub_f32_e32 v11, v11, v13
	ds_write_b64 v26, v[10:11] offset:4160
.LBB191_10:
	s_or_b64 exec, exec, s[0:1]
	v_cmp_gt_u32_e32 vcc, 16, v0
	s_waitcnt lgkmcnt(0)
	s_barrier
	s_and_saveexec_b64 s[0:1], vcc
	s_cbranch_execz .LBB191_12
; %bb.11:
	v_max_u32_e32 v10, 1, v6
	v_lshlrev_b32_e32 v26, 3, v10
	v_add_u32_e32 v10, 0x800, v7
	ds_read2_b64 v[10:13], v10 offset0:4 offset1:131
	ds_read_b64 v[22:23], v26 offset:5112
	v_min_u32_e32 v6, 0x77, v6
	v_lshlrev_b32_e32 v6, 3, v6
	v_add_u32_e32 v14, 0x1000, v7
	ds_read_b64 v[24:25], v6 offset:4160
	ds_read2_b64 v[14:17], v14 offset0:4 offset1:131
	ds_read2_b64 v[18:21], v7 offset0:4 offset1:131
	s_waitcnt lgkmcnt(3)
	v_mul_f32_e64 v27, v23, -v13
	v_fmac_f32_e32 v27, v12, v22
	v_mul_f32_e32 v12, v23, v12
	v_fmac_f32_e32 v12, v13, v22
	s_waitcnt lgkmcnt(1)
	v_sub_f32_e32 v13, v16, v27
	v_sub_f32_e32 v16, v17, v12
	s_waitcnt lgkmcnt(0)
	v_mul_f32_e64 v12, v25, -v21
	v_mul_f32_e32 v17, v25, v20
	v_fmac_f32_e32 v12, v20, v24
	v_fmac_f32_e32 v17, v21, v24
	v_sub_f32_e32 v12, v13, v12
	v_sub_f32_e32 v13, v16, v17
	ds_write_b64 v7, v[12:13] offset:5144
	ds_read_b64 v[12:13], v26 offset:5112
	s_waitcnt lgkmcnt(0)
	v_mul_f32_e64 v16, v13, -v11
	v_mul_f32_e32 v13, v13, v10
	v_fmac_f32_e32 v16, v10, v12
	v_fmac_f32_e32 v13, v11, v12
	v_sub_f32_e32 v10, v14, v16
	v_sub_f32_e32 v11, v15, v13
	ds_write_b64 v7, v[10:11] offset:4128
	ds_read_b64 v[12:13], v6 offset:4160
	s_waitcnt lgkmcnt(0)
	v_mul_f32_e64 v6, v13, -v19
	v_mul_f32_e32 v13, v13, v18
	v_fmac_f32_e32 v6, v18, v12
	v_fmac_f32_e32 v13, v19, v12
	v_sub_f32_e32 v10, v10, v6
	v_sub_f32_e32 v11, v11, v13
	ds_write_b64 v7, v[10:11] offset:4128
.LBB191_12:
	s_or_b64 exec, exec, s[0:1]
	v_cmp_gt_u32_e32 vcc, 32, v0
	s_waitcnt lgkmcnt(0)
	s_barrier
	s_and_saveexec_b64 s[0:1], vcc
	s_cbranch_execz .LBB191_14
; %bb.13:
	v_lshlrev_b32_e32 v14, 2, v0
	v_max_u32_e32 v6, 1, v14
	v_lshlrev_b32_e32 v24, 3, v6
	v_add_u32_e32 v6, 0x800, v8
	v_min_u32_e32 v14, 0x7b, v14
	ds_read2_b64 v[10:13], v6 offset0:2 offset1:129
	ds_read_b64 v[6:7], v24 offset:5112
	v_lshlrev_b32_e32 v25, 3, v14
	ds_read_b64 v[22:23], v25 offset:4128
	v_add_u32_e32 v14, 0x1000, v8
	ds_read2_b64 v[18:21], v8 offset0:2 offset1:129
	ds_read2_b64 v[14:17], v14 offset0:2 offset1:129
	s_waitcnt lgkmcnt(3)
	v_mul_f32_e64 v26, v7, -v13
	v_mul_f32_e32 v7, v7, v12
	v_fmac_f32_e32 v26, v12, v6
	v_fmac_f32_e32 v7, v13, v6
	s_waitcnt lgkmcnt(1)
	v_mul_f32_e64 v12, v23, -v21
	v_mul_f32_e32 v13, v23, v20
	s_waitcnt lgkmcnt(0)
	v_sub_f32_e32 v6, v16, v26
	v_sub_f32_e32 v7, v17, v7
	v_fmac_f32_e32 v12, v20, v22
	v_fmac_f32_e32 v13, v21, v22
	v_sub_f32_e32 v6, v6, v12
	v_sub_f32_e32 v7, v7, v13
	ds_write_b64 v8, v[6:7] offset:5128
	ds_read_b64 v[6:7], v24 offset:5112
	s_waitcnt lgkmcnt(0)
	v_mul_f32_e64 v12, v7, -v11
	v_mul_f32_e32 v7, v7, v10
	v_fmac_f32_e32 v12, v10, v6
	v_fmac_f32_e32 v7, v11, v6
	v_sub_f32_e32 v6, v14, v12
	v_sub_f32_e32 v7, v15, v7
	ds_write_b64 v8, v[6:7] offset:4112
	ds_read_b64 v[10:11], v25 offset:4128
	s_waitcnt lgkmcnt(0)
	v_mul_f32_e64 v12, v11, -v19
	v_mul_f32_e32 v11, v11, v18
	v_fmac_f32_e32 v12, v18, v10
	v_fmac_f32_e32 v11, v19, v10
	v_sub_f32_e32 v6, v6, v12
	v_sub_f32_e32 v7, v7, v11
	ds_write_b64 v8, v[6:7] offset:4112
.LBB191_14:
	s_or_b64 exec, exec, s[0:1]
	v_cmp_gt_u32_e32 vcc, 64, v0
	s_waitcnt lgkmcnt(0)
	s_barrier
	s_and_saveexec_b64 s[0:1], vcc
	s_cbranch_execz .LBB191_16
; %bb.15:
	v_lshlrev_b32_e32 v0, 1, v0
	v_max_u32_e32 v6, 1, v0
	v_lshlrev_b32_e32 v8, 3, v6
	v_add_u32_e32 v6, 0x800, v9
	v_min_u32_e32 v0, 0x7d, v0
	ds_read2_b64 v[10:13], v6 offset0:1 offset1:128
	ds_read_b64 v[6:7], v8 offset:5112
	v_lshlrev_b32_e32 v0, 3, v0
	ds_read_b64 v[22:23], v0 offset:4112
	v_add_u32_e32 v14, 0x1000, v9
	ds_read2_b64 v[18:21], v9 offset0:1 offset1:128
	ds_read2_b64 v[14:17], v14 offset0:1 offset1:128
	s_waitcnt lgkmcnt(3)
	v_mul_f32_e64 v24, v7, -v13
	v_mul_f32_e32 v7, v7, v12
	v_fmac_f32_e32 v24, v12, v6
	v_fmac_f32_e32 v7, v13, v6
	s_waitcnt lgkmcnt(1)
	v_mul_f32_e64 v12, v23, -v21
	v_mul_f32_e32 v13, v23, v20
	s_waitcnt lgkmcnt(0)
	v_sub_f32_e32 v6, v16, v24
	v_sub_f32_e32 v7, v17, v7
	v_fmac_f32_e32 v12, v20, v22
	v_fmac_f32_e32 v13, v21, v22
	v_sub_f32_e32 v6, v6, v12
	v_sub_f32_e32 v7, v7, v13
	ds_write_b64 v9, v[6:7] offset:5120
	ds_read_b64 v[6:7], v8 offset:5112
	s_waitcnt lgkmcnt(0)
	v_mul_f32_e64 v8, v7, -v11
	v_mul_f32_e32 v7, v7, v10
	v_fmac_f32_e32 v8, v10, v6
	v_fmac_f32_e32 v7, v11, v6
	v_sub_f32_e32 v6, v14, v8
	v_sub_f32_e32 v7, v15, v7
	ds_write_b64 v9, v[6:7] offset:4104
	ds_read_b64 v[10:11], v0 offset:4112
	s_waitcnt lgkmcnt(0)
	v_mul_f32_e64 v0, v11, -v19
	v_mul_f32_e32 v8, v11, v18
	v_fmac_f32_e32 v0, v18, v10
	v_fmac_f32_e32 v8, v19, v10
	v_sub_f32_e32 v6, v6, v0
	v_sub_f32_e32 v7, v7, v8
	ds_write_b64 v9, v[6:7] offset:4104
.LBB191_16:
	s_or_b64 exec, exec, s[0:1]
	s_waitcnt lgkmcnt(0)
	s_barrier
	ds_read2st64_b64 v[5:8], v5 offset1:2
	s_waitcnt lgkmcnt(0)
	global_store_dwordx2 v[1:2], v[5:6], off
	global_store_dwordx2 v[3:4], v[7:8], off
	s_endpgm
	.section	.rodata,"a",@progbits
	.p2align	6, 0x0
	.amdhsa_kernel _ZN9rocsparseL34gtsv_solve_spike_grid_level_kernelILj128E21rocsparse_complex_numIfEEEviiiPT0_PKS3_S6_
		.amdhsa_group_segment_fixed_size 6144
		.amdhsa_private_segment_fixed_size 0
		.amdhsa_kernarg_size 40
		.amdhsa_user_sgpr_count 6
		.amdhsa_user_sgpr_private_segment_buffer 1
		.amdhsa_user_sgpr_dispatch_ptr 0
		.amdhsa_user_sgpr_queue_ptr 0
		.amdhsa_user_sgpr_kernarg_segment_ptr 1
		.amdhsa_user_sgpr_dispatch_id 0
		.amdhsa_user_sgpr_flat_scratch_init 0
		.amdhsa_user_sgpr_private_segment_size 0
		.amdhsa_uses_dynamic_stack 0
		.amdhsa_system_sgpr_private_segment_wavefront_offset 0
		.amdhsa_system_sgpr_workgroup_id_x 1
		.amdhsa_system_sgpr_workgroup_id_y 1
		.amdhsa_system_sgpr_workgroup_id_z 0
		.amdhsa_system_sgpr_workgroup_info 0
		.amdhsa_system_vgpr_workitem_id 0
		.amdhsa_next_free_vgpr 41
		.amdhsa_next_free_sgpr 98
		.amdhsa_reserve_vcc 1
		.amdhsa_reserve_flat_scratch 0
		.amdhsa_float_round_mode_32 0
		.amdhsa_float_round_mode_16_64 0
		.amdhsa_float_denorm_mode_32 3
		.amdhsa_float_denorm_mode_16_64 3
		.amdhsa_dx10_clamp 1
		.amdhsa_ieee_mode 1
		.amdhsa_fp16_overflow 0
		.amdhsa_exception_fp_ieee_invalid_op 0
		.amdhsa_exception_fp_denorm_src 0
		.amdhsa_exception_fp_ieee_div_zero 0
		.amdhsa_exception_fp_ieee_overflow 0
		.amdhsa_exception_fp_ieee_underflow 0
		.amdhsa_exception_fp_ieee_inexact 0
		.amdhsa_exception_int_div_zero 0
	.end_amdhsa_kernel
	.section	.text._ZN9rocsparseL34gtsv_solve_spike_grid_level_kernelILj128E21rocsparse_complex_numIfEEEviiiPT0_PKS3_S6_,"axG",@progbits,_ZN9rocsparseL34gtsv_solve_spike_grid_level_kernelILj128E21rocsparse_complex_numIfEEEviiiPT0_PKS3_S6_,comdat
.Lfunc_end191:
	.size	_ZN9rocsparseL34gtsv_solve_spike_grid_level_kernelILj128E21rocsparse_complex_numIfEEEviiiPT0_PKS3_S6_, .Lfunc_end191-_ZN9rocsparseL34gtsv_solve_spike_grid_level_kernelILj128E21rocsparse_complex_numIfEEEviiiPT0_PKS3_S6_
                                        ; -- End function
	.set _ZN9rocsparseL34gtsv_solve_spike_grid_level_kernelILj128E21rocsparse_complex_numIfEEEviiiPT0_PKS3_S6_.num_vgpr, 34
	.set _ZN9rocsparseL34gtsv_solve_spike_grid_level_kernelILj128E21rocsparse_complex_numIfEEEviiiPT0_PKS3_S6_.num_agpr, 0
	.set _ZN9rocsparseL34gtsv_solve_spike_grid_level_kernelILj128E21rocsparse_complex_numIfEEEviiiPT0_PKS3_S6_.numbered_sgpr, 10
	.set _ZN9rocsparseL34gtsv_solve_spike_grid_level_kernelILj128E21rocsparse_complex_numIfEEEviiiPT0_PKS3_S6_.num_named_barrier, 0
	.set _ZN9rocsparseL34gtsv_solve_spike_grid_level_kernelILj128E21rocsparse_complex_numIfEEEviiiPT0_PKS3_S6_.private_seg_size, 0
	.set _ZN9rocsparseL34gtsv_solve_spike_grid_level_kernelILj128E21rocsparse_complex_numIfEEEviiiPT0_PKS3_S6_.uses_vcc, 1
	.set _ZN9rocsparseL34gtsv_solve_spike_grid_level_kernelILj128E21rocsparse_complex_numIfEEEviiiPT0_PKS3_S6_.uses_flat_scratch, 0
	.set _ZN9rocsparseL34gtsv_solve_spike_grid_level_kernelILj128E21rocsparse_complex_numIfEEEviiiPT0_PKS3_S6_.has_dyn_sized_stack, 0
	.set _ZN9rocsparseL34gtsv_solve_spike_grid_level_kernelILj128E21rocsparse_complex_numIfEEEviiiPT0_PKS3_S6_.has_recursion, 0
	.set _ZN9rocsparseL34gtsv_solve_spike_grid_level_kernelILj128E21rocsparse_complex_numIfEEEviiiPT0_PKS3_S6_.has_indirect_call, 0
	.section	.AMDGPU.csdata,"",@progbits
; Kernel info:
; codeLenInByte = 2716
; TotalNumSgprs: 14
; NumVgprs: 34
; ScratchSize: 0
; MemoryBound: 0
; FloatMode: 240
; IeeeMode: 1
; LDSByteSize: 6144 bytes/workgroup (compile time only)
; SGPRBlocks: 12
; VGPRBlocks: 10
; NumSGPRsForWavesPerEU: 102
; NumVGPRsForWavesPerEU: 41
; Occupancy: 5
; WaveLimiterHint : 1
; COMPUTE_PGM_RSRC2:SCRATCH_EN: 0
; COMPUTE_PGM_RSRC2:USER_SGPR: 6
; COMPUTE_PGM_RSRC2:TRAP_HANDLER: 0
; COMPUTE_PGM_RSRC2:TGID_X_EN: 1
; COMPUTE_PGM_RSRC2:TGID_Y_EN: 1
; COMPUTE_PGM_RSRC2:TGID_Z_EN: 0
; COMPUTE_PGM_RSRC2:TIDIG_COMP_CNT: 0
	.section	.text._ZN9rocsparseL34gtsv_solve_spike_grid_level_kernelILj256E21rocsparse_complex_numIfEEEviiiPT0_PKS3_S6_,"axG",@progbits,_ZN9rocsparseL34gtsv_solve_spike_grid_level_kernelILj256E21rocsparse_complex_numIfEEEviiiPT0_PKS3_S6_,comdat
	.globl	_ZN9rocsparseL34gtsv_solve_spike_grid_level_kernelILj256E21rocsparse_complex_numIfEEEviiiPT0_PKS3_S6_ ; -- Begin function _ZN9rocsparseL34gtsv_solve_spike_grid_level_kernelILj256E21rocsparse_complex_numIfEEEviiiPT0_PKS3_S6_
	.p2align	8
	.type	_ZN9rocsparseL34gtsv_solve_spike_grid_level_kernelILj256E21rocsparse_complex_numIfEEEviiiPT0_PKS3_S6_,@function
_ZN9rocsparseL34gtsv_solve_spike_grid_level_kernelILj256E21rocsparse_complex_numIfEEEviiiPT0_PKS3_S6_: ; @_ZN9rocsparseL34gtsv_solve_spike_grid_level_kernelILj256E21rocsparse_complex_numIfEEEviiiPT0_PKS3_S6_
; %bb.0:
	s_load_dwordx4 s[0:3], s[4:5], 0x10
	s_load_dwordx2 s[8:9], s[4:5], 0x20
	v_lshl_or_b32 v3, s7, 9, v0
	v_mov_b32_e32 v4, 0
	v_lshlrev_b64 v[1:2], 3, v[3:4]
	v_or_b32_e32 v3, 0x100, v3
	s_waitcnt lgkmcnt(0)
	v_mov_b32_e32 v5, s1
	v_add_co_u32_e32 v1, vcc, s0, v1
	v_lshlrev_b64 v[3:4], 3, v[3:4]
	v_addc_co_u32_e32 v2, vcc, v5, v2, vcc
	v_lshlrev_b32_e32 v6, 3, v0
	v_add_co_u32_e32 v3, vcc, s0, v3
	global_load_dwordx2 v[7:8], v6, s[2:3]
	global_load_dwordx2 v[9:10], v6, s[2:3] offset:2048
	global_load_dwordx2 v[11:12], v6, s[8:9]
	global_load_dwordx2 v[13:14], v6, s[8:9] offset:2048
	v_addc_co_u32_e32 v4, vcc, v5, v4, vcc
	global_load_dwordx2 v[15:16], v[1:2], off
	global_load_dwordx2 v[17:18], v[3:4], off
	v_or_b32_e32 v5, 0x2000, v6
	s_mov_b32 s2, 2
	s_waitcnt vmcnt(4)
	ds_write2st64_b64 v6, v[7:8], v[9:10] offset0:8 offset1:12
	s_waitcnt vmcnt(2)
	ds_write2st64_b64 v6, v[11:12], v[13:14] offset1:4
	s_waitcnt vmcnt(0)
	ds_write2st64_b64 v6, v[15:16], v[17:18] offset0:16 offset1:20
	s_waitcnt lgkmcnt(0)
	s_barrier
	s_branch .LBB192_2
.LBB192_1:                              ;   in Loop: Header=BB192_2 Depth=1
	s_or_b64 exec, exec, s[0:1]
	s_lshl_b32 s0, s2, 1
	s_cmpk_lt_u32 s2, 0x81
	s_mov_b32 s2, s0
	s_waitcnt lgkmcnt(0)
	s_barrier
	s_cbranch_scc0 .LBB192_4
.LBB192_2:                              ; =>This Inner Loop Header: Depth=1
	s_ff1_i32_b32 s0, s2
	s_lshr_b32 s0, 0x100, s0
	v_cmp_gt_u32_e32 vcc, s0, v0
	s_and_saveexec_b64 s[0:1], vcc
	s_cbranch_execz .LBB192_1
; %bb.3:                                ;   in Loop: Header=BB192_2 Depth=1
	v_mul_lo_u32 v15, s2, v0
	s_lshr_b32 s3, s2, 1
	v_add_u32_e32 v16, s3, v15
	v_lshlrev_b32_e32 v23, 3, v16
	v_add_u32_e32 v24, 0x1000, v23
	ds_read2_b64 v[7:10], v23 offset1:255
	ds_read2_b64 v[11:14], v24 offset1:255
	v_add_u32_e32 v31, 0x2000, v23
	v_lshlrev_b32_e32 v28, 3, v15
	v_add_lshl_u32 v30, v16, s3, 3
	ds_read_b64 v[19:20], v28
	s_waitcnt lgkmcnt(1)
	v_mul_f32_e64 v17, v10, -v12
	v_mul_f32_e32 v21, v10, v11
	v_fmac_f32_e32 v17, v11, v9
	v_fmac_f32_e32 v21, v12, v9
	v_sub_f32_e32 v22, 1.0, v17
	v_mul_f32_e64 v25, -v21, -v21
	v_fmac_f32_e32 v25, v22, v22
	v_div_scale_f32 v26, s[4:5], v25, v25, 1.0
	v_div_scale_f32 v27, vcc, 1.0, v25, 1.0
	ds_read2_b64 v[15:18], v31 offset1:255
	v_sub_f32_e32 v21, 0, v21
	v_rcp_f32_e32 v29, v26
	v_fma_f32 v32, -v26, v29, 1.0
	v_fmac_f32_e32 v29, v32, v29
	v_mul_f32_e32 v32, v27, v29
	v_fma_f32 v33, -v26, v32, v27
	v_fmac_f32_e32 v32, v33, v29
	v_fma_f32 v26, -v26, v32, v27
	v_div_fmas_f32 v26, v26, v29, v32
	s_waitcnt lgkmcnt(0)
	v_mul_f32_e64 v27, v16, -v10
	v_mul_f32_e32 v33, v12, v17
	v_mul_f32_e32 v29, v16, v9
	v_mul_f32_e64 v32, v12, -v18
	v_fmac_f32_e32 v27, v9, v15
	v_fmac_f32_e32 v33, v18, v11
	;; [unrolled: 1-line block ×4, first 2 shown]
	v_sub_f32_e32 v27, v17, v27
	v_sub_f32_e32 v33, v16, v33
	v_fma_f32 v16, v22, 0, -v21
	v_sub_f32_e32 v29, v18, v29
	v_sub_f32_e32 v32, v15, v32
	v_fma_f32 v15, 0, v21, v22
	v_div_fixup_f32 v17, v26, v25, 1.0
	v_mul_f32_e32 v26, v16, v17
	v_mul_f32_e32 v25, v15, v17
	v_mul_f32_e64 v15, v26, -v29
	v_mul_f32_e32 v16, v26, v27
	v_mul_f32_e64 v17, v26, -v33
	v_mul_f32_e32 v18, v26, v32
	v_fmac_f32_e32 v15, v27, v25
	v_fmac_f32_e32 v16, v29, v25
	;; [unrolled: 1-line block ×4, first 2 shown]
	ds_write2_b64 v31, v[17:18], v[15:16] offset1:255
	v_mul_f32_e64 v27, v18, -v20
	v_mul_f32_e32 v29, v18, v19
	v_mul_f32_e32 v18, v8, v9
	v_fmac_f32_e32 v27, v19, v17
	v_fmac_f32_e32 v29, v20, v17
	v_mul_f32_e64 v17, v8, -v10
	v_fmac_f32_e32 v18, v10, v7
	v_fmac_f32_e32 v17, v9, v7
	v_mul_f32_e32 v9, v26, v18
	v_mul_f32_e64 v10, v18, -v25
	v_fma_f32 v9, -v25, v17, v9
	v_fma_f32 v10, -v26, v17, v10
	v_mul_f32_e64 v17, v8, -v26
	v_mul_f32_e32 v18, v25, v8
	v_mul_f32_e32 v8, v12, v13
	v_fmac_f32_e32 v17, v25, v7
	v_fmac_f32_e32 v18, v26, v7
	v_mul_f32_e64 v7, v12, -v14
	v_fmac_f32_e32 v8, v14, v11
	ds_read_b64 v[15:16], v28 offset:8192
	ds_read_b64 v[21:22], v30 offset:6136
	ds_write2_b64 v23, v[17:18], v[9:10] offset1:255
	v_fmac_f32_e32 v7, v13, v11
	v_mul_f32_e32 v9, v26, v8
	v_mul_f32_e64 v8, v8, -v25
	v_fma_f32 v11, -v25, v7, v9
	v_fma_f32 v12, -v26, v7, v8
	v_mul_f32_e64 v7, v14, -v26
	v_mul_f32_e32 v8, v25, v14
	v_fmac_f32_e32 v7, v25, v13
	v_fmac_f32_e32 v8, v26, v13
	ds_write2_b64 v24, v[11:12], v[7:8] offset1:255
	ds_read2st64_b64 v[7:10], v28 offset1:8
	s_waitcnt lgkmcnt(4)
	v_sub_f32_e32 v13, v15, v27
	v_sub_f32_e32 v14, v16, v29
	ds_write_b64 v28, v[13:14] offset:8192
	ds_read_b64 v[13:14], v23 offset:10232
	s_waitcnt lgkmcnt(2)
	v_mul_f32_e64 v15, v12, -v8
	v_mul_f32_e32 v12, v12, v7
	v_fmac_f32_e32 v15, v7, v11
	v_fmac_f32_e32 v12, v8, v11
	v_mul_f32_e32 v11, v18, v8
	v_fma_f32 v11, -v7, v17, v11
	v_mul_f32_e64 v7, v18, -v7
	v_sub_f32_e32 v9, v9, v15
	v_sub_f32_e32 v10, v10, v12
	v_fma_f32 v12, -v8, v17, v7
	ds_write2st64_b64 v28, v[11:12], v[9:10] offset1:8
	ds_read_b64 v[7:8], v23 offset:2040
	ds_read_b64 v[9:10], v30 offset:2040
	;; [unrolled: 1-line block ×5, first 2 shown]
	s_waitcnt lgkmcnt(6)
	v_mul_f32_e64 v19, v14, -v22
	v_mul_f32_e32 v14, v14, v21
	v_fmac_f32_e32 v19, v21, v13
	v_fmac_f32_e32 v14, v22, v13
	s_waitcnt lgkmcnt(1)
	v_sub_f32_e32 v13, v15, v19
	v_sub_f32_e32 v14, v16, v14
	ds_write_b64 v30, v[13:14] offset:10232
	s_waitcnt lgkmcnt(1)
	v_mul_f32_e64 v13, v18, -v8
	v_mul_f32_e32 v14, v18, v7
	v_fmac_f32_e32 v13, v7, v17
	v_fmac_f32_e32 v14, v8, v17
	v_sub_f32_e32 v7, v9, v13
	v_sub_f32_e32 v8, v10, v14
	v_mul_f32_e32 v9, v18, v12
	v_mul_f32_e64 v10, v12, -v17
	v_fma_f32 v9, -v17, v11, v9
	v_fma_f32 v10, -v18, v11, v10
	v_add_u32_e32 v11, 0x1f8, v30
	ds_write2st64_b64 v11, v[7:8], v[9:10] offset0:3 offset1:11
	s_branch .LBB192_1
.LBB192_4:
	v_cmp_gt_u32_e32 vcc, 2, v0
	v_lshlrev_b32_e32 v7, 7, v0
	s_and_saveexec_b64 s[0:1], vcc
	s_cbranch_execz .LBB192_6
; %bb.5:
	v_max_u32_e32 v8, 1, v7
	v_lshlrev_b32_e32 v24, 10, v0
	v_lshlrev_b32_e32 v25, 3, v8
	v_add_u32_e32 v8, 0x1200, v24
	ds_read2_b64 v[8:11], v8 offset1:255
	ds_read_b64 v[20:21], v25 offset:10232
	v_min_u32_e32 v12, 0x7f, v7
	v_lshlrev_b32_e32 v26, 3, v12
	v_add_u32_e32 v12, 0x2200, v24
	v_add_u32_e32 v16, 0x200, v24
	ds_read_b64 v[22:23], v26 offset:9216
	ds_read2_b64 v[12:15], v12 offset1:255
	ds_read2_b64 v[16:19], v16 offset1:255
	s_waitcnt lgkmcnt(3)
	v_mul_f32_e64 v27, v21, -v11
	v_fmac_f32_e32 v27, v10, v20
	v_mul_f32_e32 v10, v21, v10
	v_fmac_f32_e32 v10, v11, v20
	s_waitcnt lgkmcnt(1)
	v_sub_f32_e32 v11, v14, v27
	v_sub_f32_e32 v14, v15, v10
	s_waitcnt lgkmcnt(0)
	v_mul_f32_e64 v10, v23, -v19
	v_mul_f32_e32 v15, v23, v18
	v_fmac_f32_e32 v10, v18, v22
	v_fmac_f32_e32 v15, v19, v22
	v_sub_f32_e32 v10, v11, v10
	v_sub_f32_e32 v11, v14, v15
	ds_write_b64 v24, v[10:11] offset:10744
	ds_read_b64 v[10:11], v25 offset:10232
	s_waitcnt lgkmcnt(0)
	v_mul_f32_e64 v14, v11, -v9
	v_mul_f32_e32 v11, v11, v8
	v_fmac_f32_e32 v14, v8, v10
	v_fmac_f32_e32 v11, v9, v10
	v_sub_f32_e32 v8, v12, v14
	v_sub_f32_e32 v9, v13, v11
	ds_write_b64 v24, v[8:9] offset:8704
	ds_read_b64 v[10:11], v26 offset:9216
	s_waitcnt lgkmcnt(0)
	v_mul_f32_e64 v12, v11, -v17
	v_mul_f32_e32 v11, v11, v16
	v_fmac_f32_e32 v12, v16, v10
	v_fmac_f32_e32 v11, v17, v10
	v_sub_f32_e32 v8, v8, v12
	v_sub_f32_e32 v9, v9, v11
	ds_write_b64 v24, v[8:9] offset:8704
.LBB192_6:
	s_or_b64 exec, exec, s[0:1]
	v_cmp_gt_u32_e32 vcc, 4, v0
	v_lshlrev_b32_e32 v8, 6, v0
	s_waitcnt lgkmcnt(0)
	s_barrier
	s_and_saveexec_b64 s[0:1], vcc
	s_cbranch_execz .LBB192_8
; %bb.7:
	v_max_u32_e32 v9, 1, v8
	v_lshlrev_b32_e32 v25, 9, v0
	v_lshlrev_b32_e32 v26, 3, v9
	v_add_u32_e32 v9, 0x1100, v25
	ds_read2_b64 v[9:12], v9 offset1:255
	ds_read_b64 v[21:22], v26 offset:10232
	v_min_u32_e32 v13, 0xbf, v8
	v_lshlrev_b32_e32 v27, 3, v13
	v_add_u32_e32 v13, 0x2100, v25
	v_add_u32_e32 v17, 0x100, v25
	ds_read_b64 v[23:24], v27 offset:8704
	ds_read2_b64 v[13:16], v13 offset1:255
	ds_read2_b64 v[17:20], v17 offset1:255
	s_waitcnt lgkmcnt(3)
	v_mul_f32_e64 v28, v22, -v12
	v_fmac_f32_e32 v28, v11, v21
	v_mul_f32_e32 v11, v22, v11
	v_fmac_f32_e32 v11, v12, v21
	s_waitcnt lgkmcnt(1)
	v_sub_f32_e32 v12, v15, v28
	v_sub_f32_e32 v15, v16, v11
	s_waitcnt lgkmcnt(0)
	v_mul_f32_e64 v11, v24, -v20
	v_mul_f32_e32 v16, v24, v19
	v_fmac_f32_e32 v11, v19, v23
	v_fmac_f32_e32 v16, v20, v23
	v_sub_f32_e32 v11, v12, v11
	v_sub_f32_e32 v12, v15, v16
	ds_write_b64 v25, v[11:12] offset:10488
	ds_read_b64 v[11:12], v26 offset:10232
	s_waitcnt lgkmcnt(0)
	v_mul_f32_e64 v15, v12, -v10
	v_mul_f32_e32 v12, v12, v9
	v_fmac_f32_e32 v15, v9, v11
	v_fmac_f32_e32 v12, v10, v11
	v_sub_f32_e32 v9, v13, v15
	v_sub_f32_e32 v10, v14, v12
	ds_write_b64 v25, v[9:10] offset:8448
	ds_read_b64 v[11:12], v27 offset:8704
	s_waitcnt lgkmcnt(0)
	v_mul_f32_e64 v13, v12, -v18
	v_mul_f32_e32 v12, v12, v17
	v_fmac_f32_e32 v13, v17, v11
	v_fmac_f32_e32 v12, v18, v11
	v_sub_f32_e32 v9, v9, v13
	v_sub_f32_e32 v10, v10, v12
	ds_write_b64 v25, v[9:10] offset:8448
.LBB192_8:
	s_or_b64 exec, exec, s[0:1]
	v_cmp_gt_u32_e32 vcc, 8, v0
	v_lshlrev_b32_e32 v10, 5, v0
	s_waitcnt lgkmcnt(0)
	s_barrier
	s_and_saveexec_b64 s[0:1], vcc
	s_cbranch_execz .LBB192_10
; %bb.9:
	v_lshlrev_b32_e32 v27, 8, v0
	v_max_u32_e32 v9, 1, v10
	v_add_u32_e32 v11, 0x1080, v27
	v_lshlrev_b32_e32 v9, 3, v9
	ds_read2_b64 v[11:14], v11 offset1:255
	ds_read_b64 v[23:24], v9 offset:10232
	v_min_u32_e32 v15, 0xdf, v10
	v_lshlrev_b32_e32 v28, 3, v15
	v_add_u32_e32 v15, 0x2080, v27
	v_add_u32_e32 v19, 0x80, v27
	ds_read_b64 v[25:26], v28 offset:8448
	ds_read2_b64 v[15:18], v15 offset1:255
	ds_read2_b64 v[19:22], v19 offset1:255
	s_waitcnt lgkmcnt(3)
	v_mul_f32_e64 v29, v24, -v14
	v_fmac_f32_e32 v29, v13, v23
	v_mul_f32_e32 v13, v24, v13
	v_fmac_f32_e32 v13, v14, v23
	s_waitcnt lgkmcnt(1)
	v_sub_f32_e32 v14, v17, v29
	v_sub_f32_e32 v17, v18, v13
	s_waitcnt lgkmcnt(0)
	v_mul_f32_e64 v13, v26, -v22
	v_mul_f32_e32 v18, v26, v21
	v_fmac_f32_e32 v13, v21, v25
	v_fmac_f32_e32 v18, v22, v25
	v_sub_f32_e32 v13, v14, v13
	v_sub_f32_e32 v14, v17, v18
	ds_write_b64 v27, v[13:14] offset:10360
	ds_read_b64 v[13:14], v9 offset:10232
	s_waitcnt lgkmcnt(0)
	v_mul_f32_e64 v9, v14, -v12
	v_mul_f32_e32 v14, v14, v11
	v_fmac_f32_e32 v9, v11, v13
	v_fmac_f32_e32 v14, v12, v13
	v_sub_f32_e32 v11, v15, v9
	v_sub_f32_e32 v12, v16, v14
	ds_write_b64 v27, v[11:12] offset:8320
	ds_read_b64 v[13:14], v28 offset:8448
	s_waitcnt lgkmcnt(0)
	v_mul_f32_e64 v9, v14, -v20
	v_mul_f32_e32 v14, v14, v19
	v_fmac_f32_e32 v9, v19, v13
	v_fmac_f32_e32 v14, v20, v13
	v_sub_f32_e32 v11, v11, v9
	v_sub_f32_e32 v12, v12, v14
	ds_write_b64 v27, v[11:12] offset:8320
.LBB192_10:
	s_or_b64 exec, exec, s[0:1]
	v_cmp_gt_u32_e32 vcc, 16, v0
	v_lshlrev_b32_e32 v9, 4, v0
	s_waitcnt lgkmcnt(0)
	s_barrier
	s_and_saveexec_b64 s[0:1], vcc
	s_cbranch_execz .LBB192_12
; %bb.11:
	v_max_u32_e32 v11, 1, v9
	v_lshlrev_b32_e32 v27, 3, v11
	v_add_u32_e32 v11, 0x1040, v7
	ds_read2_b64 v[11:14], v11 offset1:255
	ds_read_b64 v[23:24], v27 offset:10232
	v_min_u32_e32 v15, 0xef, v9
	v_lshlrev_b32_e32 v28, 3, v15
	v_add_u32_e32 v15, 0x2040, v7
	v_add_u32_e32 v19, 64, v7
	ds_read_b64 v[25:26], v28 offset:8320
	ds_read2_b64 v[15:18], v15 offset1:255
	ds_read2_b64 v[19:22], v19 offset1:255
	s_waitcnt lgkmcnt(3)
	v_mul_f32_e64 v29, v24, -v14
	v_fmac_f32_e32 v29, v13, v23
	v_mul_f32_e32 v13, v24, v13
	v_fmac_f32_e32 v13, v14, v23
	s_waitcnt lgkmcnt(1)
	v_sub_f32_e32 v14, v17, v29
	v_sub_f32_e32 v17, v18, v13
	s_waitcnt lgkmcnt(0)
	v_mul_f32_e64 v13, v26, -v22
	v_mul_f32_e32 v18, v26, v21
	v_fmac_f32_e32 v13, v21, v25
	v_fmac_f32_e32 v18, v22, v25
	v_sub_f32_e32 v13, v14, v13
	v_sub_f32_e32 v14, v17, v18
	ds_write_b64 v7, v[13:14] offset:10296
	ds_read_b64 v[13:14], v27 offset:10232
	s_waitcnt lgkmcnt(0)
	v_mul_f32_e64 v17, v14, -v12
	v_mul_f32_e32 v14, v14, v11
	v_fmac_f32_e32 v17, v11, v13
	v_fmac_f32_e32 v14, v12, v13
	v_sub_f32_e32 v11, v15, v17
	v_sub_f32_e32 v12, v16, v14
	ds_write_b64 v7, v[11:12] offset:8256
	ds_read_b64 v[13:14], v28 offset:8320
	s_waitcnt lgkmcnt(0)
	v_mul_f32_e64 v15, v14, -v20
	v_mul_f32_e32 v14, v14, v19
	v_fmac_f32_e32 v15, v19, v13
	v_fmac_f32_e32 v14, v20, v13
	v_sub_f32_e32 v11, v11, v15
	v_sub_f32_e32 v12, v12, v14
	ds_write_b64 v7, v[11:12] offset:8256
.LBB192_12:
	s_or_b64 exec, exec, s[0:1]
	v_cmp_gt_u32_e32 vcc, 32, v0
	s_waitcnt lgkmcnt(0)
	s_barrier
	s_and_saveexec_b64 s[0:1], vcc
	s_cbranch_execz .LBB192_14
; %bb.13:
	v_max_u32_e32 v7, 1, v6
	v_lshlrev_b32_e32 v25, 3, v7
	v_add_u32_e32 v7, 0x1020, v8
	ds_read2_b64 v[11:14], v7 offset1:255
	ds_read_b64 v[23:24], v25 offset:10232
	v_min_u32_e32 v6, 0xf7, v6
	v_lshlrev_b32_e32 v26, 3, v6
	v_add_u32_e32 v15, 0x2020, v8
	v_add_u32_e32 v19, 32, v8
	ds_read_b64 v[6:7], v26 offset:8256
	ds_read2_b64 v[15:18], v15 offset1:255
	ds_read2_b64 v[19:22], v19 offset1:255
	s_waitcnt lgkmcnt(3)
	v_mul_f32_e64 v27, v24, -v14
	v_fmac_f32_e32 v27, v13, v23
	v_mul_f32_e32 v13, v24, v13
	v_fmac_f32_e32 v13, v14, v23
	s_waitcnt lgkmcnt(1)
	v_sub_f32_e32 v14, v17, v27
	s_waitcnt lgkmcnt(0)
	v_mul_f32_e64 v17, v7, -v22
	v_mul_f32_e32 v7, v7, v21
	v_sub_f32_e32 v13, v18, v13
	v_fmac_f32_e32 v17, v21, v6
	v_fmac_f32_e32 v7, v22, v6
	v_sub_f32_e32 v6, v14, v17
	v_sub_f32_e32 v7, v13, v7
	ds_write_b64 v8, v[6:7] offset:10264
	ds_read_b64 v[6:7], v25 offset:10232
	s_waitcnt lgkmcnt(0)
	v_mul_f32_e64 v13, v7, -v12
	v_mul_f32_e32 v7, v7, v11
	v_fmac_f32_e32 v13, v11, v6
	v_fmac_f32_e32 v7, v12, v6
	v_sub_f32_e32 v6, v15, v13
	v_sub_f32_e32 v7, v16, v7
	ds_write_b64 v8, v[6:7] offset:8224
	ds_read_b64 v[11:12], v26 offset:8256
	s_waitcnt lgkmcnt(0)
	v_mul_f32_e64 v13, v12, -v20
	v_mul_f32_e32 v12, v12, v19
	v_fmac_f32_e32 v13, v19, v11
	v_fmac_f32_e32 v12, v20, v11
	v_sub_f32_e32 v6, v6, v13
	v_sub_f32_e32 v7, v7, v12
	ds_write_b64 v8, v[6:7] offset:8224
.LBB192_14:
	s_or_b64 exec, exec, s[0:1]
	v_cmp_gt_u32_e32 vcc, 64, v0
	s_waitcnt lgkmcnt(0)
	s_barrier
	s_and_saveexec_b64 s[0:1], vcc
	s_cbranch_execz .LBB192_16
; %bb.15:
	v_lshlrev_b32_e32 v8, 2, v0
	v_max_u32_e32 v6, 1, v8
	v_lshlrev_b32_e32 v25, 3, v6
	v_add_u32_e32 v6, 0x1010, v10
	v_min_u32_e32 v8, 0xfb, v8
	ds_read2_b64 v[11:14], v6 offset1:255
	ds_read_b64 v[6:7], v25 offset:10232
	v_lshlrev_b32_e32 v8, 3, v8
	v_add_u32_e32 v19, 16, v10
	ds_read_b64 v[23:24], v8 offset:8224
	v_add_u32_e32 v15, 0x2010, v10
	ds_read2_b64 v[19:22], v19 offset1:255
	ds_read2_b64 v[15:18], v15 offset1:255
	s_waitcnt lgkmcnt(3)
	v_mul_f32_e64 v26, v7, -v14
	v_mul_f32_e32 v7, v7, v13
	v_fmac_f32_e32 v26, v13, v6
	v_fmac_f32_e32 v7, v14, v6
	s_waitcnt lgkmcnt(1)
	v_mul_f32_e64 v13, v24, -v22
	v_mul_f32_e32 v14, v24, v21
	s_waitcnt lgkmcnt(0)
	v_sub_f32_e32 v6, v17, v26
	v_sub_f32_e32 v7, v18, v7
	v_fmac_f32_e32 v13, v21, v23
	v_fmac_f32_e32 v14, v22, v23
	v_sub_f32_e32 v6, v6, v13
	v_sub_f32_e32 v7, v7, v14
	ds_write_b64 v10, v[6:7] offset:10248
	ds_read_b64 v[6:7], v25 offset:10232
	s_waitcnt lgkmcnt(0)
	v_mul_f32_e64 v13, v7, -v12
	v_mul_f32_e32 v7, v7, v11
	v_fmac_f32_e32 v13, v11, v6
	v_fmac_f32_e32 v7, v12, v6
	v_sub_f32_e32 v6, v15, v13
	v_sub_f32_e32 v7, v16, v7
	ds_write_b64 v10, v[6:7] offset:8208
	ds_read_b64 v[11:12], v8 offset:8224
	s_waitcnt lgkmcnt(0)
	v_mul_f32_e64 v8, v12, -v20
	v_mul_f32_e32 v12, v12, v19
	v_fmac_f32_e32 v8, v19, v11
	v_fmac_f32_e32 v12, v20, v11
	v_sub_f32_e32 v6, v6, v8
	v_sub_f32_e32 v7, v7, v12
	ds_write_b64 v10, v[6:7] offset:8208
.LBB192_16:
	s_or_b64 exec, exec, s[0:1]
	s_movk_i32 s0, 0x80
	v_cmp_gt_u32_e32 vcc, s0, v0
	s_waitcnt lgkmcnt(0)
	s_barrier
	s_and_saveexec_b64 s[0:1], vcc
	s_cbranch_execz .LBB192_18
; %bb.17:
	v_lshlrev_b32_e32 v0, 1, v0
	v_max_u32_e32 v6, 1, v0
	v_lshlrev_b32_e32 v8, 3, v6
	v_add_u32_e32 v6, 0x1008, v9
	v_min_u32_e32 v0, 0xfd, v0
	ds_read2_b64 v[10:13], v6 offset1:255
	ds_read_b64 v[6:7], v8 offset:10232
	v_lshlrev_b32_e32 v0, 3, v0
	v_add_u32_e32 v18, 8, v9
	ds_read_b64 v[22:23], v0 offset:8208
	v_add_u32_e32 v14, 0x2008, v9
	ds_read2_b64 v[18:21], v18 offset1:255
	ds_read2_b64 v[14:17], v14 offset1:255
	s_waitcnt lgkmcnt(3)
	v_mul_f32_e64 v24, v7, -v13
	v_mul_f32_e32 v7, v7, v12
	v_fmac_f32_e32 v24, v12, v6
	v_fmac_f32_e32 v7, v13, v6
	s_waitcnt lgkmcnt(1)
	v_mul_f32_e64 v12, v23, -v21
	v_mul_f32_e32 v13, v23, v20
	s_waitcnt lgkmcnt(0)
	v_sub_f32_e32 v6, v16, v24
	v_sub_f32_e32 v7, v17, v7
	v_fmac_f32_e32 v12, v20, v22
	v_fmac_f32_e32 v13, v21, v22
	v_sub_f32_e32 v6, v6, v12
	v_sub_f32_e32 v7, v7, v13
	ds_write_b64 v9, v[6:7] offset:10240
	ds_read_b64 v[6:7], v8 offset:10232
	s_waitcnt lgkmcnt(0)
	v_mul_f32_e64 v8, v7, -v11
	v_mul_f32_e32 v7, v7, v10
	v_fmac_f32_e32 v8, v10, v6
	v_fmac_f32_e32 v7, v11, v6
	v_sub_f32_e32 v6, v14, v8
	v_sub_f32_e32 v7, v15, v7
	ds_write_b64 v9, v[6:7] offset:8200
	ds_read_b64 v[10:11], v0 offset:8208
	s_waitcnt lgkmcnt(0)
	v_mul_f32_e64 v0, v11, -v19
	v_mul_f32_e32 v8, v11, v18
	v_fmac_f32_e32 v0, v18, v10
	v_fmac_f32_e32 v8, v19, v10
	v_sub_f32_e32 v6, v6, v0
	v_sub_f32_e32 v7, v7, v8
	ds_write_b64 v9, v[6:7] offset:8200
.LBB192_18:
	s_or_b64 exec, exec, s[0:1]
	s_waitcnt lgkmcnt(0)
	s_barrier
	ds_read2st64_b64 v[5:8], v5 offset1:4
	s_waitcnt lgkmcnt(0)
	global_store_dwordx2 v[1:2], v[5:6], off
	global_store_dwordx2 v[3:4], v[7:8], off
	s_endpgm
	.section	.rodata,"a",@progbits
	.p2align	6, 0x0
	.amdhsa_kernel _ZN9rocsparseL34gtsv_solve_spike_grid_level_kernelILj256E21rocsparse_complex_numIfEEEviiiPT0_PKS3_S6_
		.amdhsa_group_segment_fixed_size 12288
		.amdhsa_private_segment_fixed_size 0
		.amdhsa_kernarg_size 40
		.amdhsa_user_sgpr_count 6
		.amdhsa_user_sgpr_private_segment_buffer 1
		.amdhsa_user_sgpr_dispatch_ptr 0
		.amdhsa_user_sgpr_queue_ptr 0
		.amdhsa_user_sgpr_kernarg_segment_ptr 1
		.amdhsa_user_sgpr_dispatch_id 0
		.amdhsa_user_sgpr_flat_scratch_init 0
		.amdhsa_user_sgpr_private_segment_size 0
		.amdhsa_uses_dynamic_stack 0
		.amdhsa_system_sgpr_private_segment_wavefront_offset 0
		.amdhsa_system_sgpr_workgroup_id_x 1
		.amdhsa_system_sgpr_workgroup_id_y 1
		.amdhsa_system_sgpr_workgroup_id_z 0
		.amdhsa_system_sgpr_workgroup_info 0
		.amdhsa_system_vgpr_workitem_id 0
		.amdhsa_next_free_vgpr 41
		.amdhsa_next_free_sgpr 98
		.amdhsa_reserve_vcc 1
		.amdhsa_reserve_flat_scratch 0
		.amdhsa_float_round_mode_32 0
		.amdhsa_float_round_mode_16_64 0
		.amdhsa_float_denorm_mode_32 3
		.amdhsa_float_denorm_mode_16_64 3
		.amdhsa_dx10_clamp 1
		.amdhsa_ieee_mode 1
		.amdhsa_fp16_overflow 0
		.amdhsa_exception_fp_ieee_invalid_op 0
		.amdhsa_exception_fp_denorm_src 0
		.amdhsa_exception_fp_ieee_div_zero 0
		.amdhsa_exception_fp_ieee_overflow 0
		.amdhsa_exception_fp_ieee_underflow 0
		.amdhsa_exception_fp_ieee_inexact 0
		.amdhsa_exception_int_div_zero 0
	.end_amdhsa_kernel
	.section	.text._ZN9rocsparseL34gtsv_solve_spike_grid_level_kernelILj256E21rocsparse_complex_numIfEEEviiiPT0_PKS3_S6_,"axG",@progbits,_ZN9rocsparseL34gtsv_solve_spike_grid_level_kernelILj256E21rocsparse_complex_numIfEEEviiiPT0_PKS3_S6_,comdat
.Lfunc_end192:
	.size	_ZN9rocsparseL34gtsv_solve_spike_grid_level_kernelILj256E21rocsparse_complex_numIfEEEviiiPT0_PKS3_S6_, .Lfunc_end192-_ZN9rocsparseL34gtsv_solve_spike_grid_level_kernelILj256E21rocsparse_complex_numIfEEEviiiPT0_PKS3_S6_
                                        ; -- End function
	.set _ZN9rocsparseL34gtsv_solve_spike_grid_level_kernelILj256E21rocsparse_complex_numIfEEEviiiPT0_PKS3_S6_.num_vgpr, 34
	.set _ZN9rocsparseL34gtsv_solve_spike_grid_level_kernelILj256E21rocsparse_complex_numIfEEEviiiPT0_PKS3_S6_.num_agpr, 0
	.set _ZN9rocsparseL34gtsv_solve_spike_grid_level_kernelILj256E21rocsparse_complex_numIfEEEviiiPT0_PKS3_S6_.numbered_sgpr, 10
	.set _ZN9rocsparseL34gtsv_solve_spike_grid_level_kernelILj256E21rocsparse_complex_numIfEEEviiiPT0_PKS3_S6_.num_named_barrier, 0
	.set _ZN9rocsparseL34gtsv_solve_spike_grid_level_kernelILj256E21rocsparse_complex_numIfEEEviiiPT0_PKS3_S6_.private_seg_size, 0
	.set _ZN9rocsparseL34gtsv_solve_spike_grid_level_kernelILj256E21rocsparse_complex_numIfEEEviiiPT0_PKS3_S6_.uses_vcc, 1
	.set _ZN9rocsparseL34gtsv_solve_spike_grid_level_kernelILj256E21rocsparse_complex_numIfEEEviiiPT0_PKS3_S6_.uses_flat_scratch, 0
	.set _ZN9rocsparseL34gtsv_solve_spike_grid_level_kernelILj256E21rocsparse_complex_numIfEEEviiiPT0_PKS3_S6_.has_dyn_sized_stack, 0
	.set _ZN9rocsparseL34gtsv_solve_spike_grid_level_kernelILj256E21rocsparse_complex_numIfEEEviiiPT0_PKS3_S6_.has_recursion, 0
	.set _ZN9rocsparseL34gtsv_solve_spike_grid_level_kernelILj256E21rocsparse_complex_numIfEEEviiiPT0_PKS3_S6_.has_indirect_call, 0
	.section	.AMDGPU.csdata,"",@progbits
; Kernel info:
; codeLenInByte = 3040
; TotalNumSgprs: 14
; NumVgprs: 34
; ScratchSize: 0
; MemoryBound: 0
; FloatMode: 240
; IeeeMode: 1
; LDSByteSize: 12288 bytes/workgroup (compile time only)
; SGPRBlocks: 12
; VGPRBlocks: 10
; NumSGPRsForWavesPerEU: 102
; NumVGPRsForWavesPerEU: 41
; Occupancy: 5
; WaveLimiterHint : 1
; COMPUTE_PGM_RSRC2:SCRATCH_EN: 0
; COMPUTE_PGM_RSRC2:USER_SGPR: 6
; COMPUTE_PGM_RSRC2:TRAP_HANDLER: 0
; COMPUTE_PGM_RSRC2:TGID_X_EN: 1
; COMPUTE_PGM_RSRC2:TGID_Y_EN: 1
; COMPUTE_PGM_RSRC2:TGID_Z_EN: 0
; COMPUTE_PGM_RSRC2:TIDIG_COMP_CNT: 0
	.section	.text._ZN9rocsparseL34gtsv_solve_spike_grid_level_kernelILj512E21rocsparse_complex_numIfEEEviiiPT0_PKS3_S6_,"axG",@progbits,_ZN9rocsparseL34gtsv_solve_spike_grid_level_kernelILj512E21rocsparse_complex_numIfEEEviiiPT0_PKS3_S6_,comdat
	.globl	_ZN9rocsparseL34gtsv_solve_spike_grid_level_kernelILj512E21rocsparse_complex_numIfEEEviiiPT0_PKS3_S6_ ; -- Begin function _ZN9rocsparseL34gtsv_solve_spike_grid_level_kernelILj512E21rocsparse_complex_numIfEEEviiiPT0_PKS3_S6_
	.p2align	8
	.type	_ZN9rocsparseL34gtsv_solve_spike_grid_level_kernelILj512E21rocsparse_complex_numIfEEEviiiPT0_PKS3_S6_,@function
_ZN9rocsparseL34gtsv_solve_spike_grid_level_kernelILj512E21rocsparse_complex_numIfEEEviiiPT0_PKS3_S6_: ; @_ZN9rocsparseL34gtsv_solve_spike_grid_level_kernelILj512E21rocsparse_complex_numIfEEEviiiPT0_PKS3_S6_
; %bb.0:
	s_load_dwordx4 s[8:11], s[4:5], 0x10
	s_load_dwordx2 s[0:1], s[4:5], 0x20
	v_lshlrev_b32_e32 v6, 3, v0
	v_mov_b32_e32 v4, 0
	s_movk_i32 s2, 0x1000
	s_waitcnt lgkmcnt(0)
	v_mov_b32_e32 v1, s11
	v_add_co_u32_e32 v2, vcc, s10, v6
	v_addc_co_u32_e32 v3, vcc, 0, v1, vcc
	v_add_co_u32_e32 v1, vcc, 0x1000, v2
	v_addc_co_u32_e32 v2, vcc, 0, v3, vcc
	v_mov_b32_e32 v3, s1
	v_add_co_u32_e32 v5, vcc, s0, v6
	v_addc_co_u32_e32 v14, vcc, 0, v3, vcc
	v_lshl_or_b32 v3, s7, 10, v0
	global_load_dwordx2 v[7:8], v6, s[10:11]
	global_load_dwordx2 v[9:10], v[1:2], off
	global_load_dwordx2 v[11:12], v6, s[0:1]
	v_lshlrev_b64 v[1:2], 3, v[3:4]
	v_or_b32_e32 v3, 0x200, v3
	v_add_co_u32_e32 v13, vcc, s2, v5
	v_mov_b32_e32 v5, s9
	v_add_co_u32_e64 v1, s[0:1], s8, v1
	v_lshlrev_b64 v[3:4], 3, v[3:4]
	v_addc_co_u32_e64 v2, s[0:1], v5, v2, s[0:1]
	v_add_co_u32_e64 v3, s[0:1], s8, v3
	v_addc_co_u32_e64 v4, s[0:1], v5, v4, s[0:1]
	global_load_dwordx2 v[15:16], v[1:2], off
	global_load_dwordx2 v[17:18], v[3:4], off
	v_addc_co_u32_e32 v14, vcc, 0, v14, vcc
	global_load_dwordx2 v[13:14], v[13:14], off
	v_or_b32_e32 v5, 0x4000, v6
	s_mov_b32 s2, 2
	s_waitcnt vmcnt(1)
	ds_write2st64_b64 v6, v[15:16], v[17:18] offset0:32 offset1:40
	ds_write2st64_b64 v6, v[7:8], v[9:10] offset0:16 offset1:24
	s_waitcnt vmcnt(0)
	ds_write2st64_b64 v6, v[11:12], v[13:14] offset1:8
	s_waitcnt lgkmcnt(0)
	s_barrier
	s_branch .LBB193_2
.LBB193_1:                              ;   in Loop: Header=BB193_2 Depth=1
	s_or_b64 exec, exec, s[0:1]
	s_lshl_b32 s0, s2, 1
	s_cmpk_lt_u32 s2, 0x101
	s_mov_b32 s2, s0
	s_waitcnt lgkmcnt(0)
	s_barrier
	s_cbranch_scc0 .LBB193_4
.LBB193_2:                              ; =>This Inner Loop Header: Depth=1
	s_ff1_i32_b32 s0, s2
	s_lshr_b32 s0, 0x200, s0
	v_cmp_gt_u32_e32 vcc, s0, v0
	s_and_saveexec_b64 s[0:1], vcc
	s_cbranch_execz .LBB193_1
; %bb.3:                                ;   in Loop: Header=BB193_2 Depth=1
	v_mul_lo_u32 v15, s2, v0
	s_lshr_b32 s3, s2, 1
	v_add_u32_e32 v17, s3, v15
	v_lshlrev_b32_e32 v21, 3, v17
	ds_read_b64 v[7:8], v21 offset:8192
	ds_read_b64 v[9:10], v21 offset:16384
	;; [unrolled: 1-line block ×3, first 2 shown]
	v_add_lshl_u32 v26, v17, s3, 3
	v_lshlrev_b32_e32 v25, 3, v15
	ds_read_b64 v[15:16], v25
	s_waitcnt lgkmcnt(1)
	v_mul_f32_e64 v13, v12, -v8
	v_mul_f32_e32 v18, v12, v7
	v_fmac_f32_e32 v13, v7, v11
	v_fmac_f32_e32 v18, v8, v11
	v_sub_f32_e32 v19, 1.0, v13
	v_mul_f32_e64 v20, -v18, -v18
	v_fmac_f32_e32 v20, v19, v19
	v_div_scale_f32 v22, s[4:5], v20, v20, 1.0
	v_div_scale_f32 v23, vcc, 1.0, v20, 1.0
	ds_read_b64 v[13:14], v21 offset:20472
	v_sub_f32_e32 v18, 0, v18
	v_rcp_f32_e32 v24, v22
	v_fma_f32 v17, -v22, v24, 1.0
	v_fmac_f32_e32 v24, v17, v24
	v_mul_f32_e32 v17, v23, v24
	v_fma_f32 v27, -v22, v17, v23
	v_fmac_f32_e32 v17, v27, v24
	v_fma_f32 v22, -v22, v17, v23
	v_div_fmas_f32 v17, v22, v24, v17
	v_mul_f32_e64 v22, v10, -v12
	s_waitcnt lgkmcnt(0)
	v_mul_f32_e32 v27, v8, v13
	v_mul_f32_e32 v23, v10, v11
	v_mul_f32_e64 v24, v8, -v14
	v_fmac_f32_e32 v22, v11, v9
	v_fmac_f32_e32 v27, v14, v7
	;; [unrolled: 1-line block ×4, first 2 shown]
	v_sub_f32_e32 v22, v13, v22
	v_sub_f32_e32 v27, v10, v27
	v_fma_f32 v10, v19, 0, -v18
	v_sub_f32_e32 v23, v14, v23
	v_sub_f32_e32 v24, v9, v24
	v_fma_f32 v9, 0, v18, v19
	v_div_fixup_f32 v13, v17, v20, 1.0
	v_mul_f32_e32 v29, v10, v13
	v_mul_f32_e32 v28, v9, v13
	v_mul_f32_e64 v9, v29, -v23
	v_mul_f32_e32 v10, v29, v22
	v_mul_f32_e64 v13, v29, -v27
	v_mul_f32_e32 v14, v29, v24
	v_fmac_f32_e32 v9, v22, v28
	v_fmac_f32_e32 v10, v23, v28
	v_fmac_f32_e32 v13, v24, v28
	v_fmac_f32_e32 v14, v27, v28
	ds_write_b64 v21, v[9:10] offset:20472
	ds_write_b64 v21, v[13:14] offset:16384
	ds_read_b64 v[9:10], v25 offset:16384
	ds_read_b64 v[17:18], v21
	ds_read_b64 v[19:20], v21 offset:12280
	v_mul_f32_e64 v22, v14, -v16
	v_mul_f32_e32 v14, v14, v15
	v_fmac_f32_e32 v22, v15, v13
	v_fmac_f32_e32 v14, v16, v13
	s_waitcnt lgkmcnt(2)
	v_sub_f32_e32 v9, v9, v22
	v_sub_f32_e32 v10, v10, v14
	ds_write_b64 v25, v[9:10] offset:16384
	s_waitcnt lgkmcnt(2)
	v_mul_f32_e64 v10, v18, -v12
	v_fmac_f32_e32 v10, v11, v17
	v_mul_f32_e32 v11, v18, v11
	v_fmac_f32_e32 v11, v12, v17
	v_mul_f32_e32 v9, v29, v11
	v_mul_f32_e64 v11, v11, -v28
	v_fma_f32 v9, -v28, v10, v9
	v_fma_f32 v10, -v29, v10, v11
	ds_read_b64 v[13:14], v26 offset:12280
	ds_read_b64 v[15:16], v26 offset:20472
	ds_write_b64 v21, v[9:10] offset:4088
	s_waitcnt lgkmcnt(4)
	v_mul_f32_e64 v9, v8, -v20
	v_mul_f32_e32 v8, v8, v19
	v_fmac_f32_e32 v8, v20, v7
	v_mul_f32_e64 v11, v18, -v29
	v_mul_f32_e32 v12, v28, v18
	v_fmac_f32_e32 v9, v19, v7
	v_mul_f32_e32 v7, v29, v8
	v_fmac_f32_e32 v11, v28, v17
	v_fmac_f32_e32 v12, v29, v17
	v_fma_f32 v17, -v28, v9, v7
	v_mul_f32_e64 v7, v8, -v28
	v_fma_f32 v18, -v29, v9, v7
	v_mul_f32_e64 v7, v20, -v29
	v_mul_f32_e32 v8, v28, v20
	v_fmac_f32_e32 v7, v28, v19
	v_fmac_f32_e32 v8, v29, v19
	ds_write_b64 v21, v[11:12]
	ds_write_b64 v21, v[17:18] offset:8192
	ds_write_b64 v21, v[7:8] offset:12280
	ds_read2st64_b64 v[7:10], v25 offset1:16
	ds_read_b64 v[19:20], v21 offset:20472
	s_waitcnt lgkmcnt(1)
	v_mul_f32_e64 v22, v18, -v8
	v_mul_f32_e32 v18, v18, v7
	v_fmac_f32_e32 v22, v7, v17
	v_fmac_f32_e32 v18, v8, v17
	v_mul_f32_e32 v17, v12, v8
	v_fma_f32 v17, -v7, v11, v17
	v_mul_f32_e64 v7, v12, -v7
	v_sub_f32_e32 v9, v9, v22
	v_sub_f32_e32 v10, v10, v18
	v_fma_f32 v18, -v8, v11, v7
	ds_write2st64_b64 v25, v[17:18], v[9:10] offset1:16
	ds_read_b64 v[7:8], v21 offset:4088
	ds_read_b64 v[9:10], v26 offset:4088
	;; [unrolled: 1-line block ×4, first 2 shown]
	s_waitcnt lgkmcnt(5)
	v_mul_f32_e64 v21, v20, -v14
	v_mul_f32_e32 v20, v20, v13
	v_fmac_f32_e32 v21, v13, v19
	v_fmac_f32_e32 v20, v14, v19
	v_sub_f32_e32 v13, v15, v21
	v_sub_f32_e32 v14, v16, v20
	ds_write_b64 v26, v[13:14] offset:20472
	s_waitcnt lgkmcnt(1)
	v_mul_f32_e64 v13, v18, -v8
	v_mul_f32_e32 v14, v18, v7
	v_fmac_f32_e32 v13, v7, v17
	v_fmac_f32_e32 v14, v8, v17
	v_sub_f32_e32 v7, v9, v13
	v_sub_f32_e32 v8, v10, v14
	v_mul_f32_e32 v9, v18, v12
	v_mul_f32_e64 v10, v12, -v17
	v_fma_f32 v9, -v17, v11, v9
	v_fma_f32 v10, -v18, v11, v10
	v_add_u32_e32 v11, 0x1f8, v26
	ds_write2st64_b64 v11, v[7:8], v[9:10] offset0:7 offset1:23
	s_branch .LBB193_1
.LBB193_4:
	v_cmp_gt_u32_e32 vcc, 2, v0
	v_lshlrev_b32_e32 v7, 8, v0
	s_and_saveexec_b64 s[0:1], vcc
	s_cbranch_execz .LBB193_6
; %bb.5:
	v_max_u32_e32 v8, 1, v7
	v_lshlrev_b32_e32 v20, 11, v0
	v_lshlrev_b32_e32 v21, 3, v8
	ds_read_b64 v[8:9], v20 offset:13304
	v_min_u32_e32 v10, 0xff, v7
	v_lshlrev_b32_e32 v22, 3, v10
	ds_read_b64 v[10:11], v21 offset:20472
	ds_read_b64 v[12:13], v22 offset:18432
	ds_read_b64 v[14:15], v20 offset:21496
	ds_read_b64 v[16:17], v20 offset:5112
	ds_read_b64 v[18:19], v20 offset:9216
	s_waitcnt lgkmcnt(4)
	v_mul_f32_e64 v23, v11, -v9
	v_fmac_f32_e32 v23, v8, v10
	v_mul_f32_e32 v11, v11, v8
	v_fmac_f32_e32 v11, v9, v10
	s_waitcnt lgkmcnt(2)
	v_sub_f32_e32 v14, v14, v23
	s_waitcnt lgkmcnt(1)
	v_mul_f32_e64 v23, v13, -v17
	v_mul_f32_e32 v13, v13, v16
	v_sub_f32_e32 v15, v15, v11
	v_fmac_f32_e32 v23, v16, v12
	v_fmac_f32_e32 v13, v17, v12
	v_sub_f32_e32 v12, v14, v23
	v_sub_f32_e32 v13, v15, v13
	ds_write_b64 v20, v[12:13] offset:21496
	ds_read_b64 v[8:9], v20 offset:17408
	ds_read_b64 v[12:13], v21 offset:20472
	ds_read_b64 v[10:11], v20 offset:1024
	s_waitcnt lgkmcnt(1)
	v_mul_f32_e64 v14, v13, -v19
	v_mul_f32_e32 v13, v13, v18
	v_fmac_f32_e32 v14, v18, v12
	v_fmac_f32_e32 v13, v19, v12
	v_sub_f32_e32 v8, v8, v14
	v_sub_f32_e32 v9, v9, v13
	ds_write_b64 v20, v[8:9] offset:17408
	ds_read_b64 v[12:13], v22 offset:18432
	s_waitcnt lgkmcnt(0)
	v_mul_f32_e64 v14, v13, -v11
	v_fmac_f32_e32 v14, v10, v12
	v_mul_f32_e32 v10, v13, v10
	v_fmac_f32_e32 v10, v11, v12
	v_sub_f32_e32 v8, v8, v14
	v_sub_f32_e32 v9, v9, v10
	ds_write_b64 v20, v[8:9] offset:17408
.LBB193_6:
	s_or_b64 exec, exec, s[0:1]
	v_cmp_gt_u32_e32 vcc, 4, v0
	v_lshlrev_b32_e32 v8, 7, v0
	s_waitcnt lgkmcnt(0)
	s_barrier
	s_and_saveexec_b64 s[0:1], vcc
	s_cbranch_execz .LBB193_8
; %bb.7:
	v_max_u32_e32 v9, 1, v8
	v_lshlrev_b32_e32 v21, 10, v0
	v_lshlrev_b32_e32 v22, 3, v9
	ds_read_b64 v[9:10], v21 offset:12792
	v_min_u32_e32 v11, 0x17f, v8
	v_lshlrev_b32_e32 v23, 3, v11
	ds_read_b64 v[11:12], v22 offset:20472
	ds_read_b64 v[13:14], v23 offset:17408
	ds_read_b64 v[15:16], v21 offset:20984
	ds_read_b64 v[17:18], v21 offset:4600
	ds_read_b64 v[19:20], v21 offset:8704
	s_waitcnt lgkmcnt(4)
	v_mul_f32_e64 v24, v12, -v10
	v_fmac_f32_e32 v24, v9, v11
	v_mul_f32_e32 v12, v12, v9
	v_fmac_f32_e32 v12, v10, v11
	s_waitcnt lgkmcnt(2)
	v_sub_f32_e32 v15, v15, v24
	s_waitcnt lgkmcnt(1)
	v_mul_f32_e64 v24, v14, -v18
	v_mul_f32_e32 v14, v14, v17
	v_sub_f32_e32 v16, v16, v12
	v_fmac_f32_e32 v24, v17, v13
	v_fmac_f32_e32 v14, v18, v13
	v_sub_f32_e32 v13, v15, v24
	v_sub_f32_e32 v14, v16, v14
	ds_write_b64 v21, v[13:14] offset:20984
	ds_read_b64 v[9:10], v21 offset:16896
	ds_read_b64 v[13:14], v22 offset:20472
	ds_read_b64 v[11:12], v21 offset:512
	s_waitcnt lgkmcnt(1)
	v_mul_f32_e64 v15, v14, -v20
	v_mul_f32_e32 v14, v14, v19
	v_fmac_f32_e32 v15, v19, v13
	v_fmac_f32_e32 v14, v20, v13
	v_sub_f32_e32 v9, v9, v15
	v_sub_f32_e32 v10, v10, v14
	ds_write_b64 v21, v[9:10] offset:16896
	ds_read_b64 v[13:14], v23 offset:17408
	s_waitcnt lgkmcnt(0)
	v_mul_f32_e64 v15, v14, -v12
	v_fmac_f32_e32 v15, v11, v13
	v_mul_f32_e32 v11, v14, v11
	v_fmac_f32_e32 v11, v12, v13
	v_sub_f32_e32 v9, v9, v15
	v_sub_f32_e32 v10, v10, v11
	ds_write_b64 v21, v[9:10] offset:16896
.LBB193_8:
	s_or_b64 exec, exec, s[0:1]
	v_cmp_gt_u32_e32 vcc, 8, v0
	v_lshlrev_b32_e32 v9, 6, v0
	s_waitcnt lgkmcnt(0)
	s_barrier
	;; [unrolled: 56-line block ×3, first 2 shown]
	s_and_saveexec_b64 s[0:1], vcc
	s_cbranch_execz .LBB193_12
; %bb.11:
	v_max_u32_e32 v11, 1, v10
	v_lshlrev_b32_e32 v21, 3, v11
	ds_read_b64 v[11:12], v7 offset:12408
	ds_read_b64 v[13:14], v21 offset:20472
	;; [unrolled: 1-line block ×3, first 2 shown]
	v_min_u32_e32 v17, 0x1df, v10
	v_lshlrev_b32_e32 v22, 3, v17
	ds_read_b64 v[17:18], v7 offset:4216
	ds_read_b64 v[19:20], v22 offset:16640
	s_waitcnt lgkmcnt(3)
	v_mul_f32_e64 v23, v14, -v12
	v_fmac_f32_e32 v23, v11, v13
	v_mul_f32_e32 v11, v14, v11
	v_fmac_f32_e32 v11, v12, v13
	s_waitcnt lgkmcnt(2)
	v_sub_f32_e32 v13, v16, v11
	s_waitcnt lgkmcnt(0)
	v_mul_f32_e64 v11, v20, -v18
	v_mul_f32_e32 v14, v20, v17
	v_sub_f32_e32 v12, v15, v23
	v_fmac_f32_e32 v11, v17, v19
	v_fmac_f32_e32 v14, v18, v19
	v_sub_f32_e32 v11, v12, v11
	v_sub_f32_e32 v12, v13, v14
	ds_write_b64 v7, v[11:12] offset:20600
	ds_read_b64 v[11:12], v7 offset:8320
	ds_read_b64 v[13:14], v21 offset:20472
	;; [unrolled: 1-line block ×4, first 2 shown]
	s_waitcnt lgkmcnt(2)
	v_mul_f32_e64 v19, v14, -v12
	v_mul_f32_e32 v14, v14, v11
	v_fmac_f32_e32 v19, v11, v13
	v_fmac_f32_e32 v14, v12, v13
	s_waitcnt lgkmcnt(1)
	v_sub_f32_e32 v11, v15, v19
	v_sub_f32_e32 v12, v16, v14
	ds_write_b64 v7, v[11:12] offset:16512
	ds_read_b64 v[13:14], v22 offset:16640
	s_waitcnt lgkmcnt(0)
	v_mul_f32_e64 v15, v14, -v18
	v_mul_f32_e32 v14, v14, v17
	v_fmac_f32_e32 v15, v17, v13
	v_fmac_f32_e32 v14, v18, v13
	v_sub_f32_e32 v11, v11, v15
	v_sub_f32_e32 v12, v12, v14
	ds_write_b64 v7, v[11:12] offset:16512
.LBB193_12:
	s_or_b64 exec, exec, s[0:1]
	v_cmp_gt_u32_e32 vcc, 32, v0
	v_lshlrev_b32_e32 v7, 4, v0
	s_waitcnt lgkmcnt(0)
	s_barrier
	s_and_saveexec_b64 s[0:1], vcc
	s_cbranch_execz .LBB193_14
; %bb.13:
	v_max_u32_e32 v11, 1, v7
	v_lshlrev_b32_e32 v21, 3, v11
	ds_read_b64 v[11:12], v8 offset:12344
	ds_read_b64 v[13:14], v21 offset:20472
	;; [unrolled: 1-line block ×3, first 2 shown]
	v_min_u32_e32 v17, 0x1ef, v7
	v_lshlrev_b32_e32 v22, 3, v17
	ds_read_b64 v[17:18], v8 offset:4152
	ds_read_b64 v[19:20], v22 offset:16512
	s_waitcnt lgkmcnt(3)
	v_mul_f32_e64 v23, v14, -v12
	v_fmac_f32_e32 v23, v11, v13
	v_mul_f32_e32 v11, v14, v11
	v_fmac_f32_e32 v11, v12, v13
	s_waitcnt lgkmcnt(2)
	v_sub_f32_e32 v13, v16, v11
	s_waitcnt lgkmcnt(0)
	v_mul_f32_e64 v11, v20, -v18
	v_mul_f32_e32 v14, v20, v17
	v_sub_f32_e32 v12, v15, v23
	v_fmac_f32_e32 v11, v17, v19
	v_fmac_f32_e32 v14, v18, v19
	v_sub_f32_e32 v11, v12, v11
	v_sub_f32_e32 v12, v13, v14
	ds_write_b64 v8, v[11:12] offset:20536
	ds_read_b64 v[11:12], v8 offset:8256
	ds_read_b64 v[13:14], v21 offset:20472
	ds_read_b64 v[15:16], v8 offset:16448
	ds_read_b64 v[17:18], v8 offset:64
	s_waitcnt lgkmcnt(2)
	v_mul_f32_e64 v19, v14, -v12
	v_mul_f32_e32 v14, v14, v11
	v_fmac_f32_e32 v19, v11, v13
	v_fmac_f32_e32 v14, v12, v13
	s_waitcnt lgkmcnt(1)
	v_sub_f32_e32 v11, v15, v19
	v_sub_f32_e32 v12, v16, v14
	ds_write_b64 v8, v[11:12] offset:16448
	ds_read_b64 v[13:14], v22 offset:16512
	s_waitcnt lgkmcnt(0)
	v_mul_f32_e64 v15, v14, -v18
	v_mul_f32_e32 v14, v14, v17
	v_fmac_f32_e32 v15, v17, v13
	v_fmac_f32_e32 v14, v18, v13
	v_sub_f32_e32 v11, v11, v15
	v_sub_f32_e32 v12, v12, v14
	ds_write_b64 v8, v[11:12] offset:16448
.LBB193_14:
	s_or_b64 exec, exec, s[0:1]
	v_cmp_gt_u32_e32 vcc, 64, v0
	s_waitcnt lgkmcnt(0)
	s_barrier
	s_and_saveexec_b64 s[0:1], vcc
	s_cbranch_execz .LBB193_16
; %bb.15:
	v_max_u32_e32 v8, 1, v6
	v_lshlrev_b32_e32 v8, 3, v8
	ds_read_b64 v[11:12], v9 offset:12312
	ds_read_b64 v[13:14], v8 offset:20472
	;; [unrolled: 1-line block ×3, first 2 shown]
	v_min_u32_e32 v6, 0x1f7, v6
	v_lshlrev_b32_e32 v6, 3, v6
	ds_read_b64 v[17:18], v9 offset:4120
	ds_read_b64 v[19:20], v6 offset:16448
	s_waitcnt lgkmcnt(3)
	v_mul_f32_e64 v21, v14, -v12
	v_fmac_f32_e32 v21, v11, v13
	v_mul_f32_e32 v11, v14, v11
	v_fmac_f32_e32 v11, v12, v13
	s_waitcnt lgkmcnt(2)
	v_sub_f32_e32 v13, v16, v11
	s_waitcnt lgkmcnt(0)
	v_mul_f32_e64 v11, v20, -v18
	v_mul_f32_e32 v14, v20, v17
	v_sub_f32_e32 v12, v15, v21
	v_fmac_f32_e32 v11, v17, v19
	v_fmac_f32_e32 v14, v18, v19
	v_sub_f32_e32 v11, v12, v11
	v_sub_f32_e32 v12, v13, v14
	ds_write_b64 v9, v[11:12] offset:20504
	ds_read_b64 v[11:12], v9 offset:8224
	ds_read_b64 v[13:14], v8 offset:20472
	;; [unrolled: 1-line block ×4, first 2 shown]
	s_waitcnt lgkmcnt(2)
	v_mul_f32_e64 v8, v14, -v12
	v_mul_f32_e32 v14, v14, v11
	v_fmac_f32_e32 v8, v11, v13
	v_fmac_f32_e32 v14, v12, v13
	s_waitcnt lgkmcnt(1)
	v_sub_f32_e32 v11, v15, v8
	v_sub_f32_e32 v12, v16, v14
	ds_write_b64 v9, v[11:12] offset:16416
	ds_read_b64 v[13:14], v6 offset:16448
	s_waitcnt lgkmcnt(0)
	v_mul_f32_e64 v6, v14, -v18
	v_mul_f32_e32 v8, v14, v17
	v_fmac_f32_e32 v6, v17, v13
	v_fmac_f32_e32 v8, v18, v13
	v_sub_f32_e32 v11, v11, v6
	v_sub_f32_e32 v12, v12, v8
	ds_write_b64 v9, v[11:12] offset:16416
.LBB193_16:
	s_or_b64 exec, exec, s[0:1]
	s_movk_i32 s0, 0x80
	v_cmp_gt_u32_e32 vcc, s0, v0
	s_waitcnt lgkmcnt(0)
	s_barrier
	s_and_saveexec_b64 s[0:1], vcc
	s_cbranch_execz .LBB193_18
; %bb.17:
	v_lshlrev_b32_e32 v6, 2, v0
	v_max_u32_e32 v8, 1, v6
	v_lshlrev_b32_e32 v19, 3, v8
	ds_read_b64 v[8:9], v10 offset:12296
	ds_read_b64 v[11:12], v19 offset:20472
	;; [unrolled: 1-line block ×3, first 2 shown]
	v_min_u32_e32 v6, 0x1fb, v6
	v_lshlrev_b32_e32 v6, 3, v6
	ds_read_b64 v[15:16], v10 offset:4104
	ds_read_b64 v[17:18], v6 offset:16416
	s_waitcnt lgkmcnt(3)
	v_mul_f32_e64 v20, v12, -v9
	v_fmac_f32_e32 v20, v8, v11
	v_mul_f32_e32 v8, v12, v8
	v_fmac_f32_e32 v8, v9, v11
	s_waitcnt lgkmcnt(2)
	v_sub_f32_e32 v11, v14, v8
	s_waitcnt lgkmcnt(0)
	v_mul_f32_e64 v8, v18, -v16
	v_mul_f32_e32 v12, v18, v15
	v_sub_f32_e32 v9, v13, v20
	v_fmac_f32_e32 v8, v15, v17
	v_fmac_f32_e32 v12, v16, v17
	v_sub_f32_e32 v8, v9, v8
	v_sub_f32_e32 v9, v11, v12
	ds_write_b64 v10, v[8:9] offset:20488
	ds_read_b64 v[8:9], v10 offset:8208
	ds_read_b64 v[11:12], v19 offset:20472
	;; [unrolled: 1-line block ×4, first 2 shown]
	s_waitcnt lgkmcnt(2)
	v_mul_f32_e64 v17, v12, -v9
	v_mul_f32_e32 v12, v12, v8
	v_fmac_f32_e32 v17, v8, v11
	v_fmac_f32_e32 v12, v9, v11
	s_waitcnt lgkmcnt(1)
	v_sub_f32_e32 v8, v13, v17
	v_sub_f32_e32 v9, v14, v12
	ds_write_b64 v10, v[8:9] offset:16400
	ds_read_b64 v[11:12], v6 offset:16416
	s_waitcnt lgkmcnt(0)
	v_mul_f32_e64 v6, v12, -v16
	v_mul_f32_e32 v12, v12, v15
	v_fmac_f32_e32 v6, v15, v11
	v_fmac_f32_e32 v12, v16, v11
	v_sub_f32_e32 v8, v8, v6
	v_sub_f32_e32 v9, v9, v12
	ds_write_b64 v10, v[8:9] offset:16400
.LBB193_18:
	s_or_b64 exec, exec, s[0:1]
	s_movk_i32 s0, 0x100
	v_cmp_gt_u32_e32 vcc, s0, v0
	s_waitcnt lgkmcnt(0)
	s_barrier
	s_and_saveexec_b64 s[0:1], vcc
	s_cbranch_execz .LBB193_20
; %bb.19:
	v_lshlrev_b32_e32 v0, 1, v0
	v_max_u32_e32 v6, 1, v0
	v_lshlrev_b32_e32 v6, 3, v6
	ds_read_b64 v[8:9], v7 offset:12288
	ds_read_b64 v[10:11], v6 offset:20472
	;; [unrolled: 1-line block ×3, first 2 shown]
	v_min_u32_e32 v0, 0x1fd, v0
	v_lshlrev_b32_e32 v0, 3, v0
	ds_read_b64 v[14:15], v7 offset:4096
	ds_read_b64 v[16:17], v0 offset:16400
	s_waitcnt lgkmcnt(3)
	v_mul_f32_e64 v18, v11, -v9
	v_fmac_f32_e32 v18, v8, v10
	v_mul_f32_e32 v8, v11, v8
	v_fmac_f32_e32 v8, v9, v10
	s_waitcnt lgkmcnt(2)
	v_sub_f32_e32 v10, v13, v8
	s_waitcnt lgkmcnt(0)
	v_mul_f32_e64 v8, v17, -v15
	v_mul_f32_e32 v11, v17, v14
	v_sub_f32_e32 v9, v12, v18
	v_fmac_f32_e32 v8, v14, v16
	v_fmac_f32_e32 v11, v15, v16
	v_sub_f32_e32 v8, v9, v8
	v_sub_f32_e32 v9, v10, v11
	ds_write_b64 v7, v[8:9] offset:20480
	ds_read_b64 v[8:9], v7 offset:8200
	ds_read_b64 v[10:11], v6 offset:20472
	ds_read_b64 v[12:13], v7 offset:16392
	ds_read_b64 v[14:15], v7 offset:8
	s_waitcnt lgkmcnt(2)
	v_mul_f32_e64 v6, v11, -v9
	v_mul_f32_e32 v11, v11, v8
	v_fmac_f32_e32 v6, v8, v10
	v_fmac_f32_e32 v11, v9, v10
	s_waitcnt lgkmcnt(1)
	v_sub_f32_e32 v8, v12, v6
	v_sub_f32_e32 v9, v13, v11
	ds_write_b64 v7, v[8:9] offset:16392
	ds_read_b64 v[10:11], v0 offset:16400
	s_waitcnt lgkmcnt(0)
	v_mul_f32_e64 v0, v11, -v15
	v_mul_f32_e32 v6, v11, v14
	v_fmac_f32_e32 v0, v14, v10
	v_fmac_f32_e32 v6, v15, v10
	v_sub_f32_e32 v8, v8, v0
	v_sub_f32_e32 v9, v9, v6
	ds_write_b64 v7, v[8:9] offset:16392
.LBB193_20:
	s_or_b64 exec, exec, s[0:1]
	s_waitcnt lgkmcnt(0)
	s_barrier
	ds_read2st64_b64 v[5:8], v5 offset1:8
	s_waitcnt lgkmcnt(0)
	global_store_dwordx2 v[1:2], v[5:6], off
	global_store_dwordx2 v[3:4], v[7:8], off
	s_endpgm
	.section	.rodata,"a",@progbits
	.p2align	6, 0x0
	.amdhsa_kernel _ZN9rocsparseL34gtsv_solve_spike_grid_level_kernelILj512E21rocsparse_complex_numIfEEEviiiPT0_PKS3_S6_
		.amdhsa_group_segment_fixed_size 24576
		.amdhsa_private_segment_fixed_size 0
		.amdhsa_kernarg_size 40
		.amdhsa_user_sgpr_count 6
		.amdhsa_user_sgpr_private_segment_buffer 1
		.amdhsa_user_sgpr_dispatch_ptr 0
		.amdhsa_user_sgpr_queue_ptr 0
		.amdhsa_user_sgpr_kernarg_segment_ptr 1
		.amdhsa_user_sgpr_dispatch_id 0
		.amdhsa_user_sgpr_flat_scratch_init 0
		.amdhsa_user_sgpr_private_segment_size 0
		.amdhsa_uses_dynamic_stack 0
		.amdhsa_system_sgpr_private_segment_wavefront_offset 0
		.amdhsa_system_sgpr_workgroup_id_x 1
		.amdhsa_system_sgpr_workgroup_id_y 1
		.amdhsa_system_sgpr_workgroup_id_z 0
		.amdhsa_system_sgpr_workgroup_info 0
		.amdhsa_system_vgpr_workitem_id 0
		.amdhsa_next_free_vgpr 49
		.amdhsa_next_free_sgpr 98
		.amdhsa_reserve_vcc 1
		.amdhsa_reserve_flat_scratch 0
		.amdhsa_float_round_mode_32 0
		.amdhsa_float_round_mode_16_64 0
		.amdhsa_float_denorm_mode_32 3
		.amdhsa_float_denorm_mode_16_64 3
		.amdhsa_dx10_clamp 1
		.amdhsa_ieee_mode 1
		.amdhsa_fp16_overflow 0
		.amdhsa_exception_fp_ieee_invalid_op 0
		.amdhsa_exception_fp_denorm_src 0
		.amdhsa_exception_fp_ieee_div_zero 0
		.amdhsa_exception_fp_ieee_overflow 0
		.amdhsa_exception_fp_ieee_underflow 0
		.amdhsa_exception_fp_ieee_inexact 0
		.amdhsa_exception_int_div_zero 0
	.end_amdhsa_kernel
	.section	.text._ZN9rocsparseL34gtsv_solve_spike_grid_level_kernelILj512E21rocsparse_complex_numIfEEEviiiPT0_PKS3_S6_,"axG",@progbits,_ZN9rocsparseL34gtsv_solve_spike_grid_level_kernelILj512E21rocsparse_complex_numIfEEEviiiPT0_PKS3_S6_,comdat
.Lfunc_end193:
	.size	_ZN9rocsparseL34gtsv_solve_spike_grid_level_kernelILj512E21rocsparse_complex_numIfEEEviiiPT0_PKS3_S6_, .Lfunc_end193-_ZN9rocsparseL34gtsv_solve_spike_grid_level_kernelILj512E21rocsparse_complex_numIfEEEviiiPT0_PKS3_S6_
                                        ; -- End function
	.set _ZN9rocsparseL34gtsv_solve_spike_grid_level_kernelILj512E21rocsparse_complex_numIfEEEviiiPT0_PKS3_S6_.num_vgpr, 30
	.set _ZN9rocsparseL34gtsv_solve_spike_grid_level_kernelILj512E21rocsparse_complex_numIfEEEviiiPT0_PKS3_S6_.num_agpr, 0
	.set _ZN9rocsparseL34gtsv_solve_spike_grid_level_kernelILj512E21rocsparse_complex_numIfEEEviiiPT0_PKS3_S6_.numbered_sgpr, 12
	.set _ZN9rocsparseL34gtsv_solve_spike_grid_level_kernelILj512E21rocsparse_complex_numIfEEEviiiPT0_PKS3_S6_.num_named_barrier, 0
	.set _ZN9rocsparseL34gtsv_solve_spike_grid_level_kernelILj512E21rocsparse_complex_numIfEEEviiiPT0_PKS3_S6_.private_seg_size, 0
	.set _ZN9rocsparseL34gtsv_solve_spike_grid_level_kernelILj512E21rocsparse_complex_numIfEEEviiiPT0_PKS3_S6_.uses_vcc, 1
	.set _ZN9rocsparseL34gtsv_solve_spike_grid_level_kernelILj512E21rocsparse_complex_numIfEEEviiiPT0_PKS3_S6_.uses_flat_scratch, 0
	.set _ZN9rocsparseL34gtsv_solve_spike_grid_level_kernelILj512E21rocsparse_complex_numIfEEEviiiPT0_PKS3_S6_.has_dyn_sized_stack, 0
	.set _ZN9rocsparseL34gtsv_solve_spike_grid_level_kernelILj512E21rocsparse_complex_numIfEEEviiiPT0_PKS3_S6_.has_recursion, 0
	.set _ZN9rocsparseL34gtsv_solve_spike_grid_level_kernelILj512E21rocsparse_complex_numIfEEEviiiPT0_PKS3_S6_.has_indirect_call, 0
	.section	.AMDGPU.csdata,"",@progbits
; Kernel info:
; codeLenInByte = 3460
; TotalNumSgprs: 16
; NumVgprs: 30
; ScratchSize: 0
; MemoryBound: 0
; FloatMode: 240
; IeeeMode: 1
; LDSByteSize: 24576 bytes/workgroup (compile time only)
; SGPRBlocks: 12
; VGPRBlocks: 12
; NumSGPRsForWavesPerEU: 102
; NumVGPRsForWavesPerEU: 49
; Occupancy: 4
; WaveLimiterHint : 1
; COMPUTE_PGM_RSRC2:SCRATCH_EN: 0
; COMPUTE_PGM_RSRC2:USER_SGPR: 6
; COMPUTE_PGM_RSRC2:TRAP_HANDLER: 0
; COMPUTE_PGM_RSRC2:TGID_X_EN: 1
; COMPUTE_PGM_RSRC2:TGID_Y_EN: 1
; COMPUTE_PGM_RSRC2:TGID_Z_EN: 0
; COMPUTE_PGM_RSRC2:TIDIG_COMP_CNT: 0
	.section	.text._ZN9rocsparseL33gtsv_solve_spike_propagate_kernelILj256ELj2E21rocsparse_complex_numIfEEEviiiPT1_PKS3_S6_S6_,"axG",@progbits,_ZN9rocsparseL33gtsv_solve_spike_propagate_kernelILj256ELj2E21rocsparse_complex_numIfEEEviiiPT1_PKS3_S6_S6_,comdat
	.globl	_ZN9rocsparseL33gtsv_solve_spike_propagate_kernelILj256ELj2E21rocsparse_complex_numIfEEEviiiPT1_PKS3_S6_S6_ ; -- Begin function _ZN9rocsparseL33gtsv_solve_spike_propagate_kernelILj256ELj2E21rocsparse_complex_numIfEEEviiiPT1_PKS3_S6_S6_
	.p2align	8
	.type	_ZN9rocsparseL33gtsv_solve_spike_propagate_kernelILj256ELj2E21rocsparse_complex_numIfEEEviiiPT1_PKS3_S6_S6_,@function
_ZN9rocsparseL33gtsv_solve_spike_propagate_kernelILj256ELj2E21rocsparse_complex_numIfEEEviiiPT1_PKS3_S6_S6_: ; @_ZN9rocsparseL33gtsv_solve_spike_propagate_kernelILj256ELj2E21rocsparse_complex_numIfEEEviiiPT1_PKS3_S6_S6_
; %bb.0:
	s_load_dword s10, s[4:5], 0x0
	v_lshl_or_b32 v1, s6, 8, v0
	v_lshlrev_b32_e32 v8, 3, v0
	s_waitcnt lgkmcnt(0)
	s_lshr_b32 s14, s10, 1
	v_cmp_gt_i32_e32 vcc, s14, v1
	v_cmp_le_i32_e64 s[0:1], s14, v1
	s_and_saveexec_b64 s[2:3], s[0:1]
	s_xor_b64 s[2:3], exec, s[2:3]
; %bb.1:
	v_mov_b32_e32 v2, 0
	v_mov_b32_e32 v3, v2
	ds_write_b64 v8, v[2:3] offset:8208
; %bb.2:
	s_or_saveexec_b64 s[8:9], s[2:3]
	v_mov_b32_e32 v4, 0
	v_ashrrev_i32_e32 v2, 31, v1
	v_add_u32_e32 v3, s14, v1
	v_mov_b32_e32 v5, 0
	s_xor_b64 exec, exec, s[8:9]
	s_cbranch_execz .LBB194_4
; %bb.3:
	s_load_dwordx2 s[12:13], s[4:5], 0x18
	v_lshlrev_b64 v[4:5], 3, v[1:2]
	s_waitcnt lgkmcnt(0)
	v_mov_b32_e32 v7, s13
	v_add_co_u32_e64 v6, s[2:3], s12, v4
	v_mov_b32_e32 v4, 0
	v_addc_co_u32_e64 v7, s[2:3], v7, v5, s[2:3]
	v_lshlrev_b64 v[4:5], 3, v[3:4]
	v_mov_b32_e32 v10, s13
	v_add_co_u32_e64 v9, s[2:3], s12, v4
	v_addc_co_u32_e64 v10, s[2:3], v10, v5, s[2:3]
	global_load_dwordx2 v[11:12], v[6:7], off
	global_load_dwordx2 v[4:5], v[9:10], off
	s_waitcnt vmcnt(1)
	ds_write_b64 v8, v[11:12] offset:8208
.LBB194_4:
	s_or_b64 exec, exec, s[8:9]
	s_waitcnt vmcnt(0)
	ds_write_b64 v8, v[4:5] offset:10256
	s_and_saveexec_b64 s[2:3], s[0:1]
	s_xor_b64 s[0:1], exec, s[2:3]
; %bb.5:
	v_mov_b32_e32 v2, 0
	v_mov_b32_e32 v3, v2
	ds_write_b64 v8, v[2:3] offset:4112
                                        ; implicit-def: $vgpr3
; %bb.6:
	s_or_saveexec_b64 s[8:9], s[0:1]
	s_load_dwordx2 s[2:3], s[4:5], 0x10
	v_mov_b32_e32 v5, 0
	v_mov_b32_e32 v6, 0
	v_mov_b32_e32 v7, 0
	s_xor_b64 exec, exec, s[8:9]
	s_cbranch_execz .LBB194_8
; %bb.7:
	s_load_dwordx2 s[12:13], s[4:5], 0x20
	v_lshlrev_b64 v[6:7], 3, v[1:2]
	v_mov_b32_e32 v4, 0
	s_waitcnt lgkmcnt(0)
	v_mov_b32_e32 v2, s13
	v_add_co_u32_e64 v9, s[0:1], s12, v6
	v_addc_co_u32_e64 v10, s[0:1], v2, v7, s[0:1]
	v_lshlrev_b64 v[2:3], 3, v[3:4]
	v_mov_b32_e32 v4, s13
	v_add_co_u32_e64 v2, s[0:1], s12, v2
	v_addc_co_u32_e64 v3, s[0:1], v4, v3, s[0:1]
	global_load_dwordx2 v[11:12], v[9:10], off
	global_load_dwordx2 v[6:7], v[2:3], off
	s_waitcnt vmcnt(1)
	ds_write_b64 v8, v[11:12] offset:4112
.LBB194_8:
	s_or_b64 exec, exec, s[8:9]
	s_mul_i32 s10, s10, s7
	v_mov_b32_e32 v4, 0
	s_waitcnt vmcnt(0)
	ds_write_b64 v8, v[6:7] offset:6160
	s_and_saveexec_b64 s[8:9], vcc
	s_cbranch_execz .LBB194_10
; %bb.9:
	s_add_i32 s0, s10, s14
	v_add_u32_e32 v2, s0, v1
	v_mov_b32_e32 v3, 0
	v_lshlrev_b64 v[2:3], 3, v[2:3]
	s_waitcnt lgkmcnt(0)
	v_mov_b32_e32 v4, s3
	v_add_co_u32_e64 v2, s[0:1], s2, v2
	v_addc_co_u32_e64 v3, s[0:1], v4, v3, s[0:1]
	global_load_dwordx2 v[4:5], v[2:3], off
.LBB194_10:
	s_or_b64 exec, exec, s[8:9]
	v_mov_b32_e32 v3, 0
	v_add_u32_e32 v1, s10, v1
	v_mov_b32_e32 v2, 0
	s_waitcnt vmcnt(0)
	ds_write_b64 v8, v[4:5] offset:8
	s_and_saveexec_b64 s[8:9], vcc
	s_cbranch_execz .LBB194_12
; %bb.11:
	v_ashrrev_i32_e32 v2, 31, v1
	v_lshlrev_b64 v[2:3], 3, v[1:2]
	s_waitcnt lgkmcnt(0)
	v_mov_b32_e32 v4, s3
	v_add_co_u32_e64 v2, s[0:1], s2, v2
	v_addc_co_u32_e64 v3, s[0:1], v4, v3, s[0:1]
	global_load_dwordx2 v[2:3], v[2:3], off
.LBB194_12:
	s_or_b64 exec, exec, s[8:9]
	s_mov_b32 s13, 0
	v_cmp_eq_u32_e64 s[0:1], 0, v0
	s_waitcnt vmcnt(0)
	ds_write_b64 v8, v[2:3] offset:2056
	s_waitcnt lgkmcnt(0)
	s_barrier
	s_and_saveexec_b64 s[8:9], s[0:1]
	s_cbranch_execz .LBB194_18
; %bb.13:
	s_load_dword s15, s[4:5], 0x30
	s_load_dwordx2 s[10:11], s[4:5], 0x28
	s_cmp_lt_i32 s6, 1
	s_mov_b32 s12, 0
	s_waitcnt lgkmcnt(0)
	s_mul_i32 s7, s7, s15
	s_cbranch_scc1 .LBB194_15
; %bb.14:
	s_lshl_b32 s4, s7, 1
	s_add_i32 s5, s6, s15
	s_add_i32 s4, s5, s4
	s_add_i32 s4, s4, -1
	s_mov_b32 s5, 0
	s_lshl_b64 s[4:5], s[4:5], 3
	s_add_u32 s4, s10, s4
	s_addc_u32 s5, s11, s5
	s_load_dwordx2 s[12:13], s[4:5], 0x0
.LBB194_15:
	s_add_i32 s4, s15, -1
	s_waitcnt lgkmcnt(0)
	v_mov_b32_e32 v3, s12
	v_mov_b32_e32 v4, s13
	;; [unrolled: 1-line block ×3, first 2 shown]
	s_mov_b32 s5, 0
	s_cmp_ge_u32 s6, s4
	s_mov_b32 s13, 0
	s_mov_b32 s12, 0
	ds_write_b64 v2, v[3:4]
	s_cbranch_scc1 .LBB194_17
; %bb.16:
	s_lshl_b32 s4, s7, 1
	s_add_i32 s4, s6, s4
	s_add_i32 s12, s4, 1
	s_lshl_b64 s[12:13], s[12:13], 3
	s_add_u32 s16, s10, s12
	s_addc_u32 s17, s11, s13
	s_load_dwordx2 s[12:13], s[16:17], 0x0
.LBB194_17:
	s_lshl_b32 s4, s7, 1
	s_add_i32 s4, s4, s6
	s_lshl_b64 s[6:7], s[4:5], 3
	s_add_u32 s6, s10, s6
	s_addc_u32 s7, s11, s7
	s_add_i32 s4, s4, s15
	s_lshl_b64 s[4:5], s[4:5], 3
	s_add_u32 s4, s10, s4
	s_addc_u32 s5, s11, s5
	s_load_dwordx2 s[10:11], s[4:5], 0x0
	s_load_dwordx2 s[16:17], s[6:7], 0x0
	s_waitcnt lgkmcnt(0)
	v_mov_b32_e32 v3, s12
	v_mov_b32_e32 v4, s13
	ds_write_b64 v2, v[3:4] offset:4104
	v_mov_b32_e32 v3, s10
	v_mov_b32_e32 v4, s11
	;; [unrolled: 1-line block ×4, first 2 shown]
	ds_write_b128 v2, v[3:6] offset:2048
.LBB194_18:
	s_or_b64 exec, exec, s[8:9]
	s_waitcnt lgkmcnt(0)
	s_barrier
	s_and_saveexec_b64 s[4:5], s[0:1]
	s_cbranch_execz .LBB194_20
; %bb.19:
	s_movk_i32 s0, 0x1410
	v_add_u32_e64 v6, s0, 0
	v_add_u32_e64 v2, 8, 0
	s_movk_i32 s0, 0x2410
	ds_read2st64_b64 v[2:5], v2 offset0:6 offset1:8
	ds_read2_b64 v[9:12], v6 offset1:255
	v_mov_b32_e32 v21, 0
	v_add_u32_e64 v7, s0, 0
	ds_read2st64_b64 v[13:16], v21 offset1:2
	ds_read2_b64 v[17:20], v7 offset1:255
	s_waitcnt lgkmcnt(2)
	v_mul_f32_e64 v6, v5, -v12
	v_mul_f32_e32 v7, v5, v11
	v_fmac_f32_e32 v6, v11, v4
	v_fmac_f32_e32 v7, v12, v4
	s_waitcnt lgkmcnt(0)
	v_mul_f32_e64 v11, v14, -v20
	v_mul_f32_e32 v12, v14, v19
	v_sub_f32_e32 v6, v15, v6
	v_sub_f32_e32 v7, v16, v7
	v_fmac_f32_e32 v11, v19, v13
	v_fmac_f32_e32 v12, v20, v13
	v_sub_f32_e32 v6, v6, v11
	v_sub_f32_e32 v7, v7, v12
	ds_write_b64 v21, v[6:7] offset:1024
	v_mul_f32_e64 v6, v5, -v10
	v_mul_f32_e32 v5, v5, v9
	v_fmac_f32_e32 v5, v10, v4
	v_fmac_f32_e32 v6, v9, v4
	v_sub_f32_e32 v3, v3, v5
	v_mul_f32_e64 v4, v14, -v18
	v_mul_f32_e32 v5, v14, v17
	v_sub_f32_e32 v2, v2, v6
	v_fmac_f32_e32 v4, v17, v13
	v_fmac_f32_e32 v5, v18, v13
	v_sub_f32_e32 v2, v2, v4
	v_sub_f32_e32 v3, v3, v5
	ds_write_b64 v21, v[2:3] offset:3080
.LBB194_20:
	s_or_b64 exec, exec, s[4:5]
	v_cmp_gt_u32_e64 s[0:1], 2, v0
	s_waitcnt lgkmcnt(0)
	s_barrier
	s_and_saveexec_b64 s[4:5], s[0:1]
	s_cbranch_execz .LBB194_22
; %bb.21:
	v_lshlrev_b32_e32 v6, 10, v0
	v_add_u32_e32 v2, 0x1210, v6
	ds_read2_b64 v[2:5], v2 offset1:255
	v_add_u32_e32 v7, 8, v6
	ds_read2st64_b64 v[9:12], v7 offset0:5 offset1:6
	ds_read2st64_b64 v[13:16], v6 offset1:1
	v_add_u32_e32 v7, 0x2210, v6
	ds_read2_b64 v[17:20], v7 offset1:255
	s_waitcnt lgkmcnt(2)
	v_mul_f32_e64 v21, v12, -v5
	v_fmac_f32_e32 v21, v4, v11
	v_mul_f32_e32 v4, v12, v4
	v_fmac_f32_e32 v4, v5, v11
	s_waitcnt lgkmcnt(1)
	v_sub_f32_e32 v5, v15, v21
	v_sub_f32_e32 v7, v16, v4
	s_waitcnt lgkmcnt(0)
	v_mul_f32_e64 v4, v14, -v20
	v_mul_f32_e32 v15, v14, v19
	v_fmac_f32_e32 v4, v19, v13
	v_fmac_f32_e32 v15, v20, v13
	v_sub_f32_e32 v4, v5, v4
	v_sub_f32_e32 v5, v7, v15
	ds_write_b64 v6, v[4:5] offset:512
	v_mul_f32_e64 v4, v12, -v3
	v_fmac_f32_e32 v4, v2, v11
	v_mul_f32_e32 v2, v12, v2
	v_fmac_f32_e32 v2, v3, v11
	v_sub_f32_e32 v3, v9, v4
	v_sub_f32_e32 v4, v10, v2
	v_mul_f32_e64 v2, v14, -v18
	v_mul_f32_e32 v5, v14, v17
	v_fmac_f32_e32 v2, v17, v13
	v_fmac_f32_e32 v5, v18, v13
	v_sub_f32_e32 v2, v3, v2
	v_sub_f32_e32 v3, v4, v5
	ds_write_b64 v6, v[2:3] offset:2568
.LBB194_22:
	s_or_b64 exec, exec, s[4:5]
	v_cmp_gt_u32_e64 s[0:1], 4, v0
	s_waitcnt lgkmcnt(0)
	s_barrier
	s_and_saveexec_b64 s[4:5], s[0:1]
	s_cbranch_execz .LBB194_24
; %bb.23:
	v_lshlrev_b32_e32 v6, 9, v0
	v_add_u32_e32 v2, 0x1110, v6
	ds_read2_b64 v[2:5], v2 offset1:255
	v_add_u32_e32 v7, 0x800, v6
	ds_read2_b64 v[9:12], v7 offset0:33 offset1:65
	ds_read2_b64 v[13:16], v6 offset1:32
	v_add_u32_e32 v7, 0x2110, v6
	ds_read2_b64 v[17:20], v7 offset1:255
	s_waitcnt lgkmcnt(2)
	v_mul_f32_e64 v21, v12, -v5
	v_fmac_f32_e32 v21, v4, v11
	v_mul_f32_e32 v4, v12, v4
	v_fmac_f32_e32 v4, v5, v11
	s_waitcnt lgkmcnt(1)
	v_sub_f32_e32 v5, v15, v21
	v_sub_f32_e32 v7, v16, v4
	s_waitcnt lgkmcnt(0)
	v_mul_f32_e64 v4, v14, -v20
	v_mul_f32_e32 v15, v14, v19
	v_fmac_f32_e32 v4, v19, v13
	v_fmac_f32_e32 v15, v20, v13
	v_sub_f32_e32 v4, v5, v4
	v_sub_f32_e32 v5, v7, v15
	ds_write_b64 v6, v[4:5] offset:256
	v_mul_f32_e64 v4, v12, -v3
	v_fmac_f32_e32 v4, v2, v11
	v_mul_f32_e32 v2, v12, v2
	v_fmac_f32_e32 v2, v3, v11
	v_sub_f32_e32 v3, v9, v4
	v_sub_f32_e32 v4, v10, v2
	v_mul_f32_e64 v2, v14, -v18
	v_mul_f32_e32 v5, v14, v17
	v_fmac_f32_e32 v2, v17, v13
	v_fmac_f32_e32 v5, v18, v13
	v_sub_f32_e32 v2, v3, v2
	v_sub_f32_e32 v3, v4, v5
	ds_write_b64 v6, v[2:3] offset:2312
.LBB194_24:
	s_or_b64 exec, exec, s[4:5]
	v_cmp_gt_u32_e64 s[0:1], 8, v0
	s_waitcnt lgkmcnt(0)
	s_barrier
	s_and_saveexec_b64 s[4:5], s[0:1]
	s_cbranch_execz .LBB194_26
; %bb.25:
	v_lshlrev_b32_e32 v6, 8, v0
	v_add_u32_e32 v2, 0x1090, v6
	ds_read2_b64 v[2:5], v2 offset1:255
	v_add_u32_e32 v7, 0x800, v6
	ds_read2_b64 v[9:12], v7 offset0:17 offset1:33
	ds_read2_b64 v[13:16], v6 offset1:16
	v_add_u32_e32 v7, 0x2090, v6
	ds_read2_b64 v[17:20], v7 offset1:255
	s_waitcnt lgkmcnt(2)
	v_mul_f32_e64 v21, v12, -v5
	v_fmac_f32_e32 v21, v4, v11
	v_mul_f32_e32 v4, v12, v4
	v_fmac_f32_e32 v4, v5, v11
	s_waitcnt lgkmcnt(1)
	v_sub_f32_e32 v5, v15, v21
	v_sub_f32_e32 v7, v16, v4
	s_waitcnt lgkmcnt(0)
	v_mul_f32_e64 v4, v14, -v20
	v_mul_f32_e32 v15, v14, v19
	v_fmac_f32_e32 v4, v19, v13
	v_fmac_f32_e32 v15, v20, v13
	v_sub_f32_e32 v4, v5, v4
	v_sub_f32_e32 v5, v7, v15
	ds_write_b64 v6, v[4:5] offset:128
	v_mul_f32_e64 v4, v12, -v3
	v_fmac_f32_e32 v4, v2, v11
	v_mul_f32_e32 v2, v12, v2
	v_fmac_f32_e32 v2, v3, v11
	v_sub_f32_e32 v3, v9, v4
	v_sub_f32_e32 v4, v10, v2
	v_mul_f32_e64 v2, v14, -v18
	v_mul_f32_e32 v5, v14, v17
	v_fmac_f32_e32 v2, v17, v13
	v_fmac_f32_e32 v5, v18, v13
	v_sub_f32_e32 v2, v3, v2
	v_sub_f32_e32 v3, v4, v5
	ds_write_b64 v6, v[2:3] offset:2184
.LBB194_26:
	;; [unrolled: 45-line block ×5, first 2 shown]
	s_or_b64 exec, exec, s[4:5]
	s_movk_i32 s0, 0x80
	v_cmp_gt_u32_e64 s[0:1], s0, v0
	s_waitcnt lgkmcnt(0)
	s_barrier
	s_and_saveexec_b64 s[4:5], s[0:1]
	s_cbranch_execz .LBB194_34
; %bb.33:
	v_lshlrev_b32_e32 v0, 4, v0
	v_add_u32_e32 v2, 0x1018, v0
	ds_read2_b64 v[2:5], v2 offset1:255
	v_add_u32_e32 v6, 0x800, v0
	ds_read2_b64 v[9:12], v6 offset0:2 offset1:3
	ds_read2_b64 v[13:16], v0 offset1:1
	v_add_u32_e32 v6, 0x2018, v0
	ds_read2_b64 v[17:20], v6 offset1:255
	s_waitcnt lgkmcnt(2)
	v_mul_f32_e64 v7, v12, -v5
	v_fmac_f32_e32 v7, v4, v11
	v_mul_f32_e32 v4, v12, v4
	v_fmac_f32_e32 v4, v5, v11
	s_waitcnt lgkmcnt(1)
	v_sub_f32_e32 v5, v15, v7
	v_sub_f32_e32 v6, v16, v4
	s_waitcnt lgkmcnt(0)
	v_mul_f32_e64 v4, v14, -v20
	v_mul_f32_e32 v7, v14, v19
	v_fmac_f32_e32 v4, v19, v13
	v_fmac_f32_e32 v7, v20, v13
	v_sub_f32_e32 v4, v5, v4
	v_sub_f32_e32 v5, v6, v7
	ds_write_b64 v0, v[4:5] offset:8
	v_mul_f32_e64 v4, v12, -v3
	v_fmac_f32_e32 v4, v2, v11
	v_mul_f32_e32 v2, v12, v2
	v_fmac_f32_e32 v2, v3, v11
	v_sub_f32_e32 v3, v9, v4
	v_sub_f32_e32 v4, v10, v2
	v_mul_f32_e64 v2, v14, -v18
	v_mul_f32_e32 v5, v14, v17
	v_fmac_f32_e32 v2, v17, v13
	v_fmac_f32_e32 v5, v18, v13
	v_sub_f32_e32 v2, v3, v2
	v_sub_f32_e32 v3, v4, v5
	ds_write_b64 v0, v[2:3] offset:2064
.LBB194_34:
	s_or_b64 exec, exec, s[4:5]
	s_waitcnt lgkmcnt(0)
	s_barrier
	s_and_saveexec_b64 s[0:1], vcc
	s_cbranch_execz .LBB194_36
; %bb.35:
	v_ashrrev_i32_e32 v2, 31, v1
	v_lshlrev_b64 v[6:7], 3, v[1:2]
	v_add_u32_e32 v2, 8, v8
	ds_read2st64_b64 v[2:5], v2 offset1:4
	v_mov_b32_e32 v0, s3
	v_add_co_u32_e32 v6, vcc, s2, v6
	v_addc_co_u32_e32 v7, vcc, v0, v7, vcc
	v_add_u32_e32 v0, s14, v1
	v_mov_b32_e32 v1, 0
	v_lshlrev_b64 v[0:1], 3, v[0:1]
	s_waitcnt lgkmcnt(0)
	global_store_dwordx2 v[6:7], v[4:5], off
	v_mov_b32_e32 v4, s3
	v_add_co_u32_e32 v0, vcc, s2, v0
	v_addc_co_u32_e32 v1, vcc, v4, v1, vcc
	global_store_dwordx2 v[0:1], v[2:3], off
.LBB194_36:
	s_endpgm
	.section	.rodata,"a",@progbits
	.p2align	6, 0x0
	.amdhsa_kernel _ZN9rocsparseL33gtsv_solve_spike_propagate_kernelILj256ELj2E21rocsparse_complex_numIfEEEviiiPT1_PKS3_S6_S6_
		.amdhsa_group_segment_fixed_size 12304
		.amdhsa_private_segment_fixed_size 0
		.amdhsa_kernarg_size 304
		.amdhsa_user_sgpr_count 6
		.amdhsa_user_sgpr_private_segment_buffer 1
		.amdhsa_user_sgpr_dispatch_ptr 0
		.amdhsa_user_sgpr_queue_ptr 0
		.amdhsa_user_sgpr_kernarg_segment_ptr 1
		.amdhsa_user_sgpr_dispatch_id 0
		.amdhsa_user_sgpr_flat_scratch_init 0
		.amdhsa_user_sgpr_private_segment_size 0
		.amdhsa_uses_dynamic_stack 0
		.amdhsa_system_sgpr_private_segment_wavefront_offset 0
		.amdhsa_system_sgpr_workgroup_id_x 1
		.amdhsa_system_sgpr_workgroup_id_y 1
		.amdhsa_system_sgpr_workgroup_id_z 0
		.amdhsa_system_sgpr_workgroup_info 0
		.amdhsa_system_vgpr_workitem_id 0
		.amdhsa_next_free_vgpr 41
		.amdhsa_next_free_sgpr 98
		.amdhsa_reserve_vcc 1
		.amdhsa_reserve_flat_scratch 0
		.amdhsa_float_round_mode_32 0
		.amdhsa_float_round_mode_16_64 0
		.amdhsa_float_denorm_mode_32 3
		.amdhsa_float_denorm_mode_16_64 3
		.amdhsa_dx10_clamp 1
		.amdhsa_ieee_mode 1
		.amdhsa_fp16_overflow 0
		.amdhsa_exception_fp_ieee_invalid_op 0
		.amdhsa_exception_fp_denorm_src 0
		.amdhsa_exception_fp_ieee_div_zero 0
		.amdhsa_exception_fp_ieee_overflow 0
		.amdhsa_exception_fp_ieee_underflow 0
		.amdhsa_exception_fp_ieee_inexact 0
		.amdhsa_exception_int_div_zero 0
	.end_amdhsa_kernel
	.section	.text._ZN9rocsparseL33gtsv_solve_spike_propagate_kernelILj256ELj2E21rocsparse_complex_numIfEEEviiiPT1_PKS3_S6_S6_,"axG",@progbits,_ZN9rocsparseL33gtsv_solve_spike_propagate_kernelILj256ELj2E21rocsparse_complex_numIfEEEviiiPT1_PKS3_S6_S6_,comdat
.Lfunc_end194:
	.size	_ZN9rocsparseL33gtsv_solve_spike_propagate_kernelILj256ELj2E21rocsparse_complex_numIfEEEviiiPT1_PKS3_S6_S6_, .Lfunc_end194-_ZN9rocsparseL33gtsv_solve_spike_propagate_kernelILj256ELj2E21rocsparse_complex_numIfEEEviiiPT1_PKS3_S6_S6_
                                        ; -- End function
	.set _ZN9rocsparseL33gtsv_solve_spike_propagate_kernelILj256ELj2E21rocsparse_complex_numIfEEEviiiPT1_PKS3_S6_S6_.num_vgpr, 22
	.set _ZN9rocsparseL33gtsv_solve_spike_propagate_kernelILj256ELj2E21rocsparse_complex_numIfEEEviiiPT1_PKS3_S6_S6_.num_agpr, 0
	.set _ZN9rocsparseL33gtsv_solve_spike_propagate_kernelILj256ELj2E21rocsparse_complex_numIfEEEviiiPT1_PKS3_S6_S6_.numbered_sgpr, 18
	.set _ZN9rocsparseL33gtsv_solve_spike_propagate_kernelILj256ELj2E21rocsparse_complex_numIfEEEviiiPT1_PKS3_S6_S6_.num_named_barrier, 0
	.set _ZN9rocsparseL33gtsv_solve_spike_propagate_kernelILj256ELj2E21rocsparse_complex_numIfEEEviiiPT1_PKS3_S6_S6_.private_seg_size, 0
	.set _ZN9rocsparseL33gtsv_solve_spike_propagate_kernelILj256ELj2E21rocsparse_complex_numIfEEEviiiPT1_PKS3_S6_S6_.uses_vcc, 1
	.set _ZN9rocsparseL33gtsv_solve_spike_propagate_kernelILj256ELj2E21rocsparse_complex_numIfEEEviiiPT1_PKS3_S6_S6_.uses_flat_scratch, 0
	.set _ZN9rocsparseL33gtsv_solve_spike_propagate_kernelILj256ELj2E21rocsparse_complex_numIfEEEviiiPT1_PKS3_S6_S6_.has_dyn_sized_stack, 0
	.set _ZN9rocsparseL33gtsv_solve_spike_propagate_kernelILj256ELj2E21rocsparse_complex_numIfEEEviiiPT1_PKS3_S6_S6_.has_recursion, 0
	.set _ZN9rocsparseL33gtsv_solve_spike_propagate_kernelILj256ELj2E21rocsparse_complex_numIfEEEviiiPT1_PKS3_S6_S6_.has_indirect_call, 0
	.section	.AMDGPU.csdata,"",@progbits
; Kernel info:
; codeLenInByte = 2752
; TotalNumSgprs: 22
; NumVgprs: 22
; ScratchSize: 0
; MemoryBound: 0
; FloatMode: 240
; IeeeMode: 1
; LDSByteSize: 12304 bytes/workgroup (compile time only)
; SGPRBlocks: 12
; VGPRBlocks: 10
; NumSGPRsForWavesPerEU: 102
; NumVGPRsForWavesPerEU: 41
; Occupancy: 5
; WaveLimiterHint : 0
; COMPUTE_PGM_RSRC2:SCRATCH_EN: 0
; COMPUTE_PGM_RSRC2:USER_SGPR: 6
; COMPUTE_PGM_RSRC2:TRAP_HANDLER: 0
; COMPUTE_PGM_RSRC2:TGID_X_EN: 1
; COMPUTE_PGM_RSRC2:TGID_Y_EN: 1
; COMPUTE_PGM_RSRC2:TGID_Z_EN: 0
; COMPUTE_PGM_RSRC2:TIDIG_COMP_CNT: 0
	.section	.text._ZN9rocsparseL39gtsv_spike_backward_substitution_kernelILj256ELj2E21rocsparse_complex_numIfEEEviiiPT1_PKS3_S6_,"axG",@progbits,_ZN9rocsparseL39gtsv_spike_backward_substitution_kernelILj256ELj2E21rocsparse_complex_numIfEEEviiiPT1_PKS3_S6_,comdat
	.globl	_ZN9rocsparseL39gtsv_spike_backward_substitution_kernelILj256ELj2E21rocsparse_complex_numIfEEEviiiPT1_PKS3_S6_ ; -- Begin function _ZN9rocsparseL39gtsv_spike_backward_substitution_kernelILj256ELj2E21rocsparse_complex_numIfEEEviiiPT1_PKS3_S6_
	.p2align	8
	.type	_ZN9rocsparseL39gtsv_spike_backward_substitution_kernelILj256ELj2E21rocsparse_complex_numIfEEEviiiPT1_PKS3_S6_,@function
_ZN9rocsparseL39gtsv_spike_backward_substitution_kernelILj256ELj2E21rocsparse_complex_numIfEEEviiiPT1_PKS3_S6_: ; @_ZN9rocsparseL39gtsv_spike_backward_substitution_kernelILj256ELj2E21rocsparse_complex_numIfEEEviiiPT1_PKS3_S6_
; %bb.0:
	s_endpgm
	.section	.rodata,"a",@progbits
	.p2align	6, 0x0
	.amdhsa_kernel _ZN9rocsparseL39gtsv_spike_backward_substitution_kernelILj256ELj2E21rocsparse_complex_numIfEEEviiiPT1_PKS3_S6_
		.amdhsa_group_segment_fixed_size 0
		.amdhsa_private_segment_fixed_size 0
		.amdhsa_kernarg_size 40
		.amdhsa_user_sgpr_count 6
		.amdhsa_user_sgpr_private_segment_buffer 1
		.amdhsa_user_sgpr_dispatch_ptr 0
		.amdhsa_user_sgpr_queue_ptr 0
		.amdhsa_user_sgpr_kernarg_segment_ptr 1
		.amdhsa_user_sgpr_dispatch_id 0
		.amdhsa_user_sgpr_flat_scratch_init 0
		.amdhsa_user_sgpr_private_segment_size 0
		.amdhsa_uses_dynamic_stack 0
		.amdhsa_system_sgpr_private_segment_wavefront_offset 0
		.amdhsa_system_sgpr_workgroup_id_x 1
		.amdhsa_system_sgpr_workgroup_id_y 0
		.amdhsa_system_sgpr_workgroup_id_z 0
		.amdhsa_system_sgpr_workgroup_info 0
		.amdhsa_system_vgpr_workitem_id 0
		.amdhsa_next_free_vgpr 1
		.amdhsa_next_free_sgpr 0
		.amdhsa_reserve_vcc 0
		.amdhsa_reserve_flat_scratch 0
		.amdhsa_float_round_mode_32 0
		.amdhsa_float_round_mode_16_64 0
		.amdhsa_float_denorm_mode_32 3
		.amdhsa_float_denorm_mode_16_64 3
		.amdhsa_dx10_clamp 1
		.amdhsa_ieee_mode 1
		.amdhsa_fp16_overflow 0
		.amdhsa_exception_fp_ieee_invalid_op 0
		.amdhsa_exception_fp_denorm_src 0
		.amdhsa_exception_fp_ieee_div_zero 0
		.amdhsa_exception_fp_ieee_overflow 0
		.amdhsa_exception_fp_ieee_underflow 0
		.amdhsa_exception_fp_ieee_inexact 0
		.amdhsa_exception_int_div_zero 0
	.end_amdhsa_kernel
	.section	.text._ZN9rocsparseL39gtsv_spike_backward_substitution_kernelILj256ELj2E21rocsparse_complex_numIfEEEviiiPT1_PKS3_S6_,"axG",@progbits,_ZN9rocsparseL39gtsv_spike_backward_substitution_kernelILj256ELj2E21rocsparse_complex_numIfEEEviiiPT1_PKS3_S6_,comdat
.Lfunc_end195:
	.size	_ZN9rocsparseL39gtsv_spike_backward_substitution_kernelILj256ELj2E21rocsparse_complex_numIfEEEviiiPT1_PKS3_S6_, .Lfunc_end195-_ZN9rocsparseL39gtsv_spike_backward_substitution_kernelILj256ELj2E21rocsparse_complex_numIfEEEviiiPT1_PKS3_S6_
                                        ; -- End function
	.set _ZN9rocsparseL39gtsv_spike_backward_substitution_kernelILj256ELj2E21rocsparse_complex_numIfEEEviiiPT1_PKS3_S6_.num_vgpr, 0
	.set _ZN9rocsparseL39gtsv_spike_backward_substitution_kernelILj256ELj2E21rocsparse_complex_numIfEEEviiiPT1_PKS3_S6_.num_agpr, 0
	.set _ZN9rocsparseL39gtsv_spike_backward_substitution_kernelILj256ELj2E21rocsparse_complex_numIfEEEviiiPT1_PKS3_S6_.numbered_sgpr, 0
	.set _ZN9rocsparseL39gtsv_spike_backward_substitution_kernelILj256ELj2E21rocsparse_complex_numIfEEEviiiPT1_PKS3_S6_.num_named_barrier, 0
	.set _ZN9rocsparseL39gtsv_spike_backward_substitution_kernelILj256ELj2E21rocsparse_complex_numIfEEEviiiPT1_PKS3_S6_.private_seg_size, 0
	.set _ZN9rocsparseL39gtsv_spike_backward_substitution_kernelILj256ELj2E21rocsparse_complex_numIfEEEviiiPT1_PKS3_S6_.uses_vcc, 0
	.set _ZN9rocsparseL39gtsv_spike_backward_substitution_kernelILj256ELj2E21rocsparse_complex_numIfEEEviiiPT1_PKS3_S6_.uses_flat_scratch, 0
	.set _ZN9rocsparseL39gtsv_spike_backward_substitution_kernelILj256ELj2E21rocsparse_complex_numIfEEEviiiPT1_PKS3_S6_.has_dyn_sized_stack, 0
	.set _ZN9rocsparseL39gtsv_spike_backward_substitution_kernelILj256ELj2E21rocsparse_complex_numIfEEEviiiPT1_PKS3_S6_.has_recursion, 0
	.set _ZN9rocsparseL39gtsv_spike_backward_substitution_kernelILj256ELj2E21rocsparse_complex_numIfEEEviiiPT1_PKS3_S6_.has_indirect_call, 0
	.section	.AMDGPU.csdata,"",@progbits
; Kernel info:
; codeLenInByte = 4
; TotalNumSgprs: 4
; NumVgprs: 0
; ScratchSize: 0
; MemoryBound: 0
; FloatMode: 240
; IeeeMode: 1
; LDSByteSize: 0 bytes/workgroup (compile time only)
; SGPRBlocks: 0
; VGPRBlocks: 0
; NumSGPRsForWavesPerEU: 4
; NumVGPRsForWavesPerEU: 1
; Occupancy: 10
; WaveLimiterHint : 0
; COMPUTE_PGM_RSRC2:SCRATCH_EN: 0
; COMPUTE_PGM_RSRC2:USER_SGPR: 6
; COMPUTE_PGM_RSRC2:TRAP_HANDLER: 0
; COMPUTE_PGM_RSRC2:TGID_X_EN: 1
; COMPUTE_PGM_RSRC2:TGID_Y_EN: 0
; COMPUTE_PGM_RSRC2:TGID_Z_EN: 0
; COMPUTE_PGM_RSRC2:TIDIG_COMP_CNT: 0
	.section	.text._ZN9rocsparseL32gtsv_transpose_back_array_kernelILj256ELj2E21rocsparse_complex_numIfEEEviiiPKT1_PS3_,"axG",@progbits,_ZN9rocsparseL32gtsv_transpose_back_array_kernelILj256ELj2E21rocsparse_complex_numIfEEEviiiPKT1_PS3_,comdat
	.globl	_ZN9rocsparseL32gtsv_transpose_back_array_kernelILj256ELj2E21rocsparse_complex_numIfEEEviiiPKT1_PS3_ ; -- Begin function _ZN9rocsparseL32gtsv_transpose_back_array_kernelILj256ELj2E21rocsparse_complex_numIfEEEviiiPKT1_PS3_
	.p2align	8
	.type	_ZN9rocsparseL32gtsv_transpose_back_array_kernelILj256ELj2E21rocsparse_complex_numIfEEEviiiPKT1_PS3_,@function
_ZN9rocsparseL32gtsv_transpose_back_array_kernelILj256ELj2E21rocsparse_complex_numIfEEEviiiPKT1_PS3_: ; @_ZN9rocsparseL32gtsv_transpose_back_array_kernelILj256ELj2E21rocsparse_complex_numIfEEEviiiPKT1_PS3_
; %bb.0:
	s_load_dwordx4 s[0:3], s[4:5], 0x0
	s_waitcnt lgkmcnt(0)
	v_cvt_f32_u32_e32 v1, s1
	s_sub_i32 s3, 0, s1
	v_rcp_iflag_f32_e32 v1, v1
	v_mul_f32_e32 v1, 0x4f7ffffe, v1
	v_cvt_u32_f32_e32 v2, v1
	v_mul_lo_u32 v1, s3, v2
	v_mul_hi_u32 v3, v2, v1
	v_lshl_or_b32 v1, s6, 8, v0
	v_lshlrev_b32_e32 v0, 1, v1
	v_add_u32_e32 v2, v2, v3
	v_mul_hi_u32 v2, v0, v2
	v_mul_lo_u32 v3, v2, s1
	v_add_u32_e32 v4, 1, v2
	v_sub_u32_e32 v3, v0, v3
	v_cmp_le_u32_e32 vcc, s1, v3
	v_cndmask_b32_e32 v2, v2, v4, vcc
	v_subrev_u32_e32 v4, s1, v3
	v_cndmask_b32_e32 v3, v3, v4, vcc
	v_add_u32_e32 v4, 1, v2
	v_cmp_le_u32_e32 vcc, s1, v3
	v_cndmask_b32_e32 v2, v2, v4, vcc
	v_mul_lo_u32 v3, v2, s1
	v_sub_u32_e32 v0, v0, v3
	v_add_u32_e32 v0, v2, v0
	v_cmp_gt_i32_e32 vcc, s0, v0
	s_and_saveexec_b64 s[8:9], vcc
	s_cbranch_execz .LBB196_2
; %bb.1:
	s_load_dwordx4 s[8:11], s[4:5], 0x10
	s_mul_i32 s0, s1, s7
	v_add_u32_e32 v1, s0, v1
	v_ashrrev_i32_e32 v2, 31, v1
	v_lshlrev_b64 v[1:2], 3, v[1:2]
	s_waitcnt lgkmcnt(0)
	v_mov_b32_e32 v3, s9
	v_add_co_u32_e32 v1, vcc, s8, v1
	v_addc_co_u32_e32 v2, vcc, v3, v2, vcc
	global_load_dwordx2 v[1:2], v[1:2], off
	s_mul_i32 s0, s2, s7
	v_add_u32_e32 v3, s0, v0
	v_ashrrev_i32_e32 v4, 31, v3
	v_lshlrev_b64 v[3:4], 3, v[3:4]
	v_mov_b32_e32 v0, s11
	v_add_co_u32_e32 v3, vcc, s10, v3
	v_addc_co_u32_e32 v4, vcc, v0, v4, vcc
	s_waitcnt vmcnt(0)
	global_store_dwordx2 v[3:4], v[1:2], off
.LBB196_2:
	s_endpgm
	.section	.rodata,"a",@progbits
	.p2align	6, 0x0
	.amdhsa_kernel _ZN9rocsparseL32gtsv_transpose_back_array_kernelILj256ELj2E21rocsparse_complex_numIfEEEviiiPKT1_PS3_
		.amdhsa_group_segment_fixed_size 0
		.amdhsa_private_segment_fixed_size 0
		.amdhsa_kernarg_size 32
		.amdhsa_user_sgpr_count 6
		.amdhsa_user_sgpr_private_segment_buffer 1
		.amdhsa_user_sgpr_dispatch_ptr 0
		.amdhsa_user_sgpr_queue_ptr 0
		.amdhsa_user_sgpr_kernarg_segment_ptr 1
		.amdhsa_user_sgpr_dispatch_id 0
		.amdhsa_user_sgpr_flat_scratch_init 0
		.amdhsa_user_sgpr_private_segment_size 0
		.amdhsa_uses_dynamic_stack 0
		.amdhsa_system_sgpr_private_segment_wavefront_offset 0
		.amdhsa_system_sgpr_workgroup_id_x 1
		.amdhsa_system_sgpr_workgroup_id_y 1
		.amdhsa_system_sgpr_workgroup_id_z 0
		.amdhsa_system_sgpr_workgroup_info 0
		.amdhsa_system_vgpr_workitem_id 0
		.amdhsa_next_free_vgpr 5
		.amdhsa_next_free_sgpr 12
		.amdhsa_reserve_vcc 1
		.amdhsa_reserve_flat_scratch 0
		.amdhsa_float_round_mode_32 0
		.amdhsa_float_round_mode_16_64 0
		.amdhsa_float_denorm_mode_32 3
		.amdhsa_float_denorm_mode_16_64 3
		.amdhsa_dx10_clamp 1
		.amdhsa_ieee_mode 1
		.amdhsa_fp16_overflow 0
		.amdhsa_exception_fp_ieee_invalid_op 0
		.amdhsa_exception_fp_denorm_src 0
		.amdhsa_exception_fp_ieee_div_zero 0
		.amdhsa_exception_fp_ieee_overflow 0
		.amdhsa_exception_fp_ieee_underflow 0
		.amdhsa_exception_fp_ieee_inexact 0
		.amdhsa_exception_int_div_zero 0
	.end_amdhsa_kernel
	.section	.text._ZN9rocsparseL32gtsv_transpose_back_array_kernelILj256ELj2E21rocsparse_complex_numIfEEEviiiPKT1_PS3_,"axG",@progbits,_ZN9rocsparseL32gtsv_transpose_back_array_kernelILj256ELj2E21rocsparse_complex_numIfEEEviiiPKT1_PS3_,comdat
.Lfunc_end196:
	.size	_ZN9rocsparseL32gtsv_transpose_back_array_kernelILj256ELj2E21rocsparse_complex_numIfEEEviiiPKT1_PS3_, .Lfunc_end196-_ZN9rocsparseL32gtsv_transpose_back_array_kernelILj256ELj2E21rocsparse_complex_numIfEEEviiiPKT1_PS3_
                                        ; -- End function
	.set _ZN9rocsparseL32gtsv_transpose_back_array_kernelILj256ELj2E21rocsparse_complex_numIfEEEviiiPKT1_PS3_.num_vgpr, 5
	.set _ZN9rocsparseL32gtsv_transpose_back_array_kernelILj256ELj2E21rocsparse_complex_numIfEEEviiiPKT1_PS3_.num_agpr, 0
	.set _ZN9rocsparseL32gtsv_transpose_back_array_kernelILj256ELj2E21rocsparse_complex_numIfEEEviiiPKT1_PS3_.numbered_sgpr, 12
	.set _ZN9rocsparseL32gtsv_transpose_back_array_kernelILj256ELj2E21rocsparse_complex_numIfEEEviiiPKT1_PS3_.num_named_barrier, 0
	.set _ZN9rocsparseL32gtsv_transpose_back_array_kernelILj256ELj2E21rocsparse_complex_numIfEEEviiiPKT1_PS3_.private_seg_size, 0
	.set _ZN9rocsparseL32gtsv_transpose_back_array_kernelILj256ELj2E21rocsparse_complex_numIfEEEviiiPKT1_PS3_.uses_vcc, 1
	.set _ZN9rocsparseL32gtsv_transpose_back_array_kernelILj256ELj2E21rocsparse_complex_numIfEEEviiiPKT1_PS3_.uses_flat_scratch, 0
	.set _ZN9rocsparseL32gtsv_transpose_back_array_kernelILj256ELj2E21rocsparse_complex_numIfEEEviiiPKT1_PS3_.has_dyn_sized_stack, 0
	.set _ZN9rocsparseL32gtsv_transpose_back_array_kernelILj256ELj2E21rocsparse_complex_numIfEEEviiiPKT1_PS3_.has_recursion, 0
	.set _ZN9rocsparseL32gtsv_transpose_back_array_kernelILj256ELj2E21rocsparse_complex_numIfEEEviiiPKT1_PS3_.has_indirect_call, 0
	.section	.AMDGPU.csdata,"",@progbits
; Kernel info:
; codeLenInByte = 248
; TotalNumSgprs: 16
; NumVgprs: 5
; ScratchSize: 0
; MemoryBound: 0
; FloatMode: 240
; IeeeMode: 1
; LDSByteSize: 0 bytes/workgroup (compile time only)
; SGPRBlocks: 1
; VGPRBlocks: 1
; NumSGPRsForWavesPerEU: 16
; NumVGPRsForWavesPerEU: 5
; Occupancy: 10
; WaveLimiterHint : 0
; COMPUTE_PGM_RSRC2:SCRATCH_EN: 0
; COMPUTE_PGM_RSRC2:USER_SGPR: 6
; COMPUTE_PGM_RSRC2:TRAP_HANDLER: 0
; COMPUTE_PGM_RSRC2:TGID_X_EN: 1
; COMPUTE_PGM_RSRC2:TGID_Y_EN: 1
; COMPUTE_PGM_RSRC2:TGID_Z_EN: 0
; COMPUTE_PGM_RSRC2:TIDIG_COMP_CNT: 0
	.section	.text._ZN9rocsparseL42gtsv_transpose_and_pad_array_shared_kernelILj256ELj4E21rocsparse_complex_numIfEEEviiiPKT1_PS3_S3_,"axG",@progbits,_ZN9rocsparseL42gtsv_transpose_and_pad_array_shared_kernelILj256ELj4E21rocsparse_complex_numIfEEEviiiPKT1_PS3_S3_,comdat
	.globl	_ZN9rocsparseL42gtsv_transpose_and_pad_array_shared_kernelILj256ELj4E21rocsparse_complex_numIfEEEviiiPKT1_PS3_S3_ ; -- Begin function _ZN9rocsparseL42gtsv_transpose_and_pad_array_shared_kernelILj256ELj4E21rocsparse_complex_numIfEEEviiiPKT1_PS3_S3_
	.p2align	8
	.type	_ZN9rocsparseL42gtsv_transpose_and_pad_array_shared_kernelILj256ELj4E21rocsparse_complex_numIfEEEviiiPKT1_PS3_S3_,@function
_ZN9rocsparseL42gtsv_transpose_and_pad_array_shared_kernelILj256ELj4E21rocsparse_complex_numIfEEEviiiPKT1_PS3_S3_: ; @_ZN9rocsparseL42gtsv_transpose_and_pad_array_shared_kernelILj256ELj4E21rocsparse_complex_numIfEEEviiiPKT1_PS3_S3_
; %bb.0:
	s_load_dwordx4 s[0:3], s[4:5], 0x0
	v_lshl_or_b32 v3, s6, 8, v0
                                        ; implicit-def: $sgpr10_sgpr11
	s_waitcnt lgkmcnt(0)
	v_cmp_le_i32_e32 vcc, s0, v3
	s_and_saveexec_b64 s[8:9], vcc
	s_xor_b64 s[8:9], exec, s[8:9]
; %bb.1:
	s_load_dwordx2 s[10:11], s[4:5], 0x20
                                        ; implicit-def: $vgpr3
; %bb.2:
	s_or_saveexec_b64 s[8:9], s[8:9]
	s_waitcnt lgkmcnt(0)
	v_mov_b32_e32 v1, s10
	v_mov_b32_e32 v2, s11
	s_xor_b64 exec, exec, s[8:9]
	s_cbranch_execz .LBB197_4
; %bb.3:
	s_load_dwordx2 s[10:11], s[4:5], 0x10
	s_mul_i32 s0, s2, s7
	v_add_u32_e32 v1, s0, v3
	v_ashrrev_i32_e32 v2, 31, v1
	v_lshlrev_b64 v[1:2], 3, v[1:2]
	s_waitcnt lgkmcnt(0)
	v_mov_b32_e32 v3, s11
	v_add_co_u32_e32 v1, vcc, s10, v1
	v_addc_co_u32_e32 v2, vcc, v3, v2, vcc
	global_load_dwordx2 v[1:2], v[1:2], off
.LBB197_4:
	s_or_b64 exec, exec, s[8:9]
	v_lshrrev_b32_e32 v3, 6, v0
	v_and_b32_e32 v4, 63, v0
	v_lshlrev_b32_e32 v0, 3, v0
	s_waitcnt vmcnt(0)
	ds_write_b64 v0, v[1:2]
	s_lshr_b32 s0, s1, 2
	v_lshl_or_b32 v0, s6, 6, v4
	v_mad_u64_u32 v[0:1], s[2:3], s0, v3, v[0:1]
	s_waitcnt lgkmcnt(0)
	s_barrier
	v_cmp_gt_i32_e32 vcc, s1, v0
	s_and_saveexec_b64 s[2:3], vcc
	s_cbranch_execz .LBB197_6
; %bb.5:
	s_load_dwordx2 s[2:3], s[4:5], 0x18
	v_lshlrev_b32_e32 v1, 3, v3
	s_mul_i32 s0, s1, s7
	v_lshl_or_b32 v2, v4, 5, v1
	v_add_u32_e32 v0, s0, v0
	v_ashrrev_i32_e32 v1, 31, v0
	ds_read_b64 v[2:3], v2
	v_lshlrev_b64 v[0:1], 3, v[0:1]
	s_waitcnt lgkmcnt(0)
	v_mov_b32_e32 v4, s3
	v_add_co_u32_e32 v0, vcc, s2, v0
	v_addc_co_u32_e32 v1, vcc, v4, v1, vcc
	global_store_dwordx2 v[0:1], v[2:3], off
.LBB197_6:
	s_endpgm
	.section	.rodata,"a",@progbits
	.p2align	6, 0x0
	.amdhsa_kernel _ZN9rocsparseL42gtsv_transpose_and_pad_array_shared_kernelILj256ELj4E21rocsparse_complex_numIfEEEviiiPKT1_PS3_S3_
		.amdhsa_group_segment_fixed_size 2048
		.amdhsa_private_segment_fixed_size 0
		.amdhsa_kernarg_size 40
		.amdhsa_user_sgpr_count 6
		.amdhsa_user_sgpr_private_segment_buffer 1
		.amdhsa_user_sgpr_dispatch_ptr 0
		.amdhsa_user_sgpr_queue_ptr 0
		.amdhsa_user_sgpr_kernarg_segment_ptr 1
		.amdhsa_user_sgpr_dispatch_id 0
		.amdhsa_user_sgpr_flat_scratch_init 0
		.amdhsa_user_sgpr_private_segment_size 0
		.amdhsa_uses_dynamic_stack 0
		.amdhsa_system_sgpr_private_segment_wavefront_offset 0
		.amdhsa_system_sgpr_workgroup_id_x 1
		.amdhsa_system_sgpr_workgroup_id_y 1
		.amdhsa_system_sgpr_workgroup_id_z 0
		.amdhsa_system_sgpr_workgroup_info 0
		.amdhsa_system_vgpr_workitem_id 0
		.amdhsa_next_free_vgpr 5
		.amdhsa_next_free_sgpr 12
		.amdhsa_reserve_vcc 1
		.amdhsa_reserve_flat_scratch 0
		.amdhsa_float_round_mode_32 0
		.amdhsa_float_round_mode_16_64 0
		.amdhsa_float_denorm_mode_32 3
		.amdhsa_float_denorm_mode_16_64 3
		.amdhsa_dx10_clamp 1
		.amdhsa_ieee_mode 1
		.amdhsa_fp16_overflow 0
		.amdhsa_exception_fp_ieee_invalid_op 0
		.amdhsa_exception_fp_denorm_src 0
		.amdhsa_exception_fp_ieee_div_zero 0
		.amdhsa_exception_fp_ieee_overflow 0
		.amdhsa_exception_fp_ieee_underflow 0
		.amdhsa_exception_fp_ieee_inexact 0
		.amdhsa_exception_int_div_zero 0
	.end_amdhsa_kernel
	.section	.text._ZN9rocsparseL42gtsv_transpose_and_pad_array_shared_kernelILj256ELj4E21rocsparse_complex_numIfEEEviiiPKT1_PS3_S3_,"axG",@progbits,_ZN9rocsparseL42gtsv_transpose_and_pad_array_shared_kernelILj256ELj4E21rocsparse_complex_numIfEEEviiiPKT1_PS3_S3_,comdat
.Lfunc_end197:
	.size	_ZN9rocsparseL42gtsv_transpose_and_pad_array_shared_kernelILj256ELj4E21rocsparse_complex_numIfEEEviiiPKT1_PS3_S3_, .Lfunc_end197-_ZN9rocsparseL42gtsv_transpose_and_pad_array_shared_kernelILj256ELj4E21rocsparse_complex_numIfEEEviiiPKT1_PS3_S3_
                                        ; -- End function
	.set _ZN9rocsparseL42gtsv_transpose_and_pad_array_shared_kernelILj256ELj4E21rocsparse_complex_numIfEEEviiiPKT1_PS3_S3_.num_vgpr, 5
	.set _ZN9rocsparseL42gtsv_transpose_and_pad_array_shared_kernelILj256ELj4E21rocsparse_complex_numIfEEEviiiPKT1_PS3_S3_.num_agpr, 0
	.set _ZN9rocsparseL42gtsv_transpose_and_pad_array_shared_kernelILj256ELj4E21rocsparse_complex_numIfEEEviiiPKT1_PS3_S3_.numbered_sgpr, 12
	.set _ZN9rocsparseL42gtsv_transpose_and_pad_array_shared_kernelILj256ELj4E21rocsparse_complex_numIfEEEviiiPKT1_PS3_S3_.num_named_barrier, 0
	.set _ZN9rocsparseL42gtsv_transpose_and_pad_array_shared_kernelILj256ELj4E21rocsparse_complex_numIfEEEviiiPKT1_PS3_S3_.private_seg_size, 0
	.set _ZN9rocsparseL42gtsv_transpose_and_pad_array_shared_kernelILj256ELj4E21rocsparse_complex_numIfEEEviiiPKT1_PS3_S3_.uses_vcc, 1
	.set _ZN9rocsparseL42gtsv_transpose_and_pad_array_shared_kernelILj256ELj4E21rocsparse_complex_numIfEEEviiiPKT1_PS3_S3_.uses_flat_scratch, 0
	.set _ZN9rocsparseL42gtsv_transpose_and_pad_array_shared_kernelILj256ELj4E21rocsparse_complex_numIfEEEviiiPKT1_PS3_S3_.has_dyn_sized_stack, 0
	.set _ZN9rocsparseL42gtsv_transpose_and_pad_array_shared_kernelILj256ELj4E21rocsparse_complex_numIfEEEviiiPKT1_PS3_S3_.has_recursion, 0
	.set _ZN9rocsparseL42gtsv_transpose_and_pad_array_shared_kernelILj256ELj4E21rocsparse_complex_numIfEEEviiiPKT1_PS3_S3_.has_indirect_call, 0
	.section	.AMDGPU.csdata,"",@progbits
; Kernel info:
; codeLenInByte = 260
; TotalNumSgprs: 16
; NumVgprs: 5
; ScratchSize: 0
; MemoryBound: 0
; FloatMode: 240
; IeeeMode: 1
; LDSByteSize: 2048 bytes/workgroup (compile time only)
; SGPRBlocks: 1
; VGPRBlocks: 1
; NumSGPRsForWavesPerEU: 16
; NumVGPRsForWavesPerEU: 5
; Occupancy: 10
; WaveLimiterHint : 0
; COMPUTE_PGM_RSRC2:SCRATCH_EN: 0
; COMPUTE_PGM_RSRC2:USER_SGPR: 6
; COMPUTE_PGM_RSRC2:TRAP_HANDLER: 0
; COMPUTE_PGM_RSRC2:TGID_X_EN: 1
; COMPUTE_PGM_RSRC2:TGID_Y_EN: 1
; COMPUTE_PGM_RSRC2:TGID_Z_EN: 0
; COMPUTE_PGM_RSRC2:TIDIG_COMP_CNT: 0
	.section	.text._ZN9rocsparseL18gtsv_LBM_wv_kernelILj256ELj4E21rocsparse_complex_numIfEEEviiiPKT1_S5_S5_PS3_S6_S6_Pi,"axG",@progbits,_ZN9rocsparseL18gtsv_LBM_wv_kernelILj256ELj4E21rocsparse_complex_numIfEEEviiiPKT1_S5_S5_PS3_S6_S6_Pi,comdat
	.globl	_ZN9rocsparseL18gtsv_LBM_wv_kernelILj256ELj4E21rocsparse_complex_numIfEEEviiiPKT1_S5_S5_PS3_S6_S6_Pi ; -- Begin function _ZN9rocsparseL18gtsv_LBM_wv_kernelILj256ELj4E21rocsparse_complex_numIfEEEviiiPKT1_S5_S5_PS3_S6_S6_Pi
	.p2align	8
	.type	_ZN9rocsparseL18gtsv_LBM_wv_kernelILj256ELj4E21rocsparse_complex_numIfEEEviiiPKT1_S5_S5_PS3_S6_S6_Pi,@function
_ZN9rocsparseL18gtsv_LBM_wv_kernelILj256ELj4E21rocsparse_complex_numIfEEEviiiPKT1_S5_S5_PS3_S6_S6_Pi: ; @_ZN9rocsparseL18gtsv_LBM_wv_kernelILj256ELj4E21rocsparse_complex_numIfEEEviiiPKT1_S5_S5_PS3_S6_S6_Pi
; %bb.0:
	s_load_dword s29, s[4:5], 0x0
	v_lshl_or_b32 v0, s6, 8, v0
	s_waitcnt lgkmcnt(0)
	s_lshr_b32 s28, s29, 2
	v_cmp_gt_i32_e32 vcc, s28, v0
	s_and_saveexec_b64 s[0:1], vcc
	s_cbranch_execz .LBB198_72
; %bb.1:
	s_load_dwordx2 s[16:17], s[4:5], 0x10
	s_load_dwordx8 s[8:15], s[4:5], 0x20
	v_ashrrev_i32_e32 v1, 31, v0
	v_lshlrev_b64 v[4:5], 3, v[0:1]
	s_mul_i32 s30, s28, 3
	s_waitcnt lgkmcnt(0)
	v_mov_b32_e32 v2, s17
	v_add_co_u32_e32 v1, vcc, s16, v4
	v_addc_co_u32_e32 v2, vcc, v2, v5, vcc
	global_load_dwordx2 v[6:7], v[1:2], off
	v_add_u32_e32 v2, s30, v0
	v_mov_b32_e32 v3, 0
	v_lshlrev_b64 v[8:9], 3, v[2:3]
	v_mov_b32_e32 v2, s9
	v_add_co_u32_e32 v1, vcc, s8, v8
	v_addc_co_u32_e32 v2, vcc, v2, v9, vcc
	global_load_dwordx2 v[10:11], v[1:2], off
	s_load_dwordx2 s[6:7], s[4:5], 0x40
	v_mov_b32_e32 v2, s11
	v_add_co_u32_e32 v1, vcc, s10, v4
	v_addc_co_u32_e32 v2, vcc, v2, v5, vcc
	s_cmp_lt_i32 s29, 1
	v_add_u32_e32 v35, s28, v0
	v_mov_b32_e32 v12, s13
	v_add_co_u32_e32 v8, vcc, s12, v8
	v_addc_co_u32_e32 v9, vcc, v12, v9, vcc
	s_waitcnt vmcnt(1)
	global_store_dwordx2 v[1:2], v[6:7], off
	s_waitcnt vmcnt(1)
	global_store_dwordx2 v[8:9], v[10:11], off
	s_cbranch_scc1 .LBB198_65
; %bb.2:
	s_load_dwordx2 s[18:19], s[4:5], 0x18
	s_mov_b32 s22, 0x372fe950
	s_lshl_b32 s31, s28, 1
	v_add_u32_e32 v36, s28, v35
	s_mov_b64 s[20:21], 0
	s_waitcnt lgkmcnt(0)
	v_mov_b32_e32 v6, s19
	v_add_co_u32_e32 v3, vcc, s18, v4
	v_addc_co_u32_e32 v4, vcc, v6, v5, vcc
	global_load_dwordx2 v[7:8], v[3:4], off
	v_mov_b32_e32 v3, 0
	s_mov_b32 s33, 0xf800000
	v_mov_b32_e32 v37, 0x260
	s_mov_b32 s23, 0x3fe3c6ef
	v_mov_b32_e32 v38, 2
	v_mov_b32_e32 v39, 1
	s_branch .LBB198_5
.LBB198_3:                              ;   in Loop: Header=BB198_5 Depth=1
	s_or_b64 exec, exec, s[4:5]
	v_mul_f32_e64 v5, v7, -v25
	v_mul_f32_e32 v6, v7, v24
	v_fmac_f32_e32 v5, v24, v4
	v_fmac_f32_e32 v6, v25, v4
	v_sub_f32_e32 v7, v19, v5
	v_sub_f32_e32 v8, v20, v6
	v_mov_b32_e32 v4, s28
.LBB198_4:                              ;   in Loop: Header=BB198_5 Depth=1
	s_or_b64 exec, exec, s[2:3]
	v_add_u32_e32 v3, v4, v3
	v_cmp_le_i32_e32 vcc, s29, v3
	s_or_b64 s[20:21], vcc, s[20:21]
	s_andn2_b64 exec, exec, s[20:21]
	s_cbranch_execz .LBB198_64
.LBB198_5:                              ; =>This Inner Loop Header: Depth=1
	v_add_u32_e32 v11, v3, v0
	v_ashrrev_i32_e32 v12, 31, v11
	v_lshlrev_b64 v[15:16], 3, v[11:12]
	v_mov_b32_e32 v5, s9
	v_add_co_u32_e32 v4, vcc, s8, v15
	v_addc_co_u32_e32 v5, vcc, v5, v16, vcc
	global_load_dwordx2 v[13:14], v[4:5], off
	v_cmp_gt_u32_e64 s[0:1], s30, v3
	v_mov_b32_e32 v5, 0
	v_mov_b32_e32 v6, 0
	s_and_saveexec_b64 s[2:3], s[0:1]
	s_cbranch_execz .LBB198_7
; %bb.6:                                ;   in Loop: Header=BB198_5 Depth=1
	v_add_u32_e32 v4, v35, v3
	v_ashrrev_i32_e32 v5, 31, v4
	v_lshlrev_b64 v[4:5], 3, v[4:5]
	v_mov_b32_e32 v6, s17
	v_add_co_u32_e32 v4, vcc, s16, v4
	v_addc_co_u32_e32 v5, vcc, v6, v5, vcc
	global_load_dwordx2 v[5:6], v[4:5], off
.LBB198_7:                              ;   in Loop: Header=BB198_5 Depth=1
	s_or_b64 exec, exec, s[2:3]
	v_mov_b32_e32 v9, 0
	v_mov_b32_e32 v19, 0
	;; [unrolled: 1-line block ×3, first 2 shown]
	s_and_saveexec_b64 s[2:3], s[0:1]
	s_cbranch_execz .LBB198_9
; %bb.8:                                ;   in Loop: Header=BB198_5 Depth=1
	v_add_u32_e32 v17, v35, v3
	v_ashrrev_i32_e32 v18, 31, v17
	v_lshlrev_b64 v[17:18], 3, v[17:18]
	v_mov_b32_e32 v4, s19
	v_add_co_u32_e32 v17, vcc, s18, v17
	v_addc_co_u32_e32 v18, vcc, v4, v18, vcc
	global_load_dwordx2 v[19:20], v[17:18], off
.LBB198_9:                              ;   in Loop: Header=BB198_5 Depth=1
	s_or_b64 exec, exec, s[2:3]
	v_mov_b32_e32 v10, 0
	s_and_saveexec_b64 s[2:3], s[0:1]
	s_cbranch_execz .LBB198_11
; %bb.10:                               ;   in Loop: Header=BB198_5 Depth=1
	v_add_u32_e32 v9, v35, v3
	v_ashrrev_i32_e32 v10, 31, v9
	v_lshlrev_b64 v[9:10], 3, v[9:10]
	v_mov_b32_e32 v4, s9
	v_add_co_u32_e32 v9, vcc, s8, v9
	v_addc_co_u32_e32 v10, vcc, v4, v10, vcc
	global_load_dwordx2 v[9:10], v[9:10], off
.LBB198_11:                             ;   in Loop: Header=BB198_5 Depth=1
	s_or_b64 exec, exec, s[2:3]
	v_cmp_gt_u32_e64 s[2:3], s31, v3
	v_mov_b32_e32 v17, 0
	v_mov_b32_e32 v18, 0
	s_and_saveexec_b64 s[4:5], s[2:3]
	s_cbranch_execz .LBB198_13
; %bb.12:                               ;   in Loop: Header=BB198_5 Depth=1
	v_add_u32_e32 v17, v36, v3
	v_ashrrev_i32_e32 v18, 31, v17
	v_lshlrev_b64 v[17:18], 3, v[17:18]
	v_mov_b32_e32 v4, s17
	v_add_co_u32_e32 v17, vcc, s16, v17
	v_addc_co_u32_e32 v18, vcc, v4, v18, vcc
	global_load_dwordx2 v[17:18], v[17:18], off
.LBB198_13:                             ;   in Loop: Header=BB198_5 Depth=1
	s_or_b64 exec, exec, s[4:5]
	s_waitcnt vmcnt(0)
	v_cmp_gt_f32_e32 vcc, 0, v5
	v_cndmask_b32_e64 v21, v5, -v5, vcc
	v_cmp_gt_f32_e32 vcc, 0, v6
	v_cndmask_b32_e64 v22, v6, -v6, vcc
	v_cmp_ngt_f32_e32 vcc, v21, v22
                                        ; implicit-def: $vgpr4
	s_and_saveexec_b64 s[4:5], vcc
	s_xor_b64 s[24:25], exec, s[4:5]
	s_cbranch_execz .LBB198_17
; %bb.14:                               ;   in Loop: Header=BB198_5 Depth=1
	v_mov_b32_e32 v4, 0
	v_cmp_neq_f32_e32 vcc, 0, v6
	s_and_saveexec_b64 s[26:27], vcc
	s_cbranch_execz .LBB198_16
; %bb.15:                               ;   in Loop: Header=BB198_5 Depth=1
	v_div_scale_f32 v4, s[4:5], v22, v22, v21
	v_div_scale_f32 v23, vcc, v21, v22, v21
	v_rcp_f32_e32 v24, v4
	v_fma_f32 v25, -v4, v24, 1.0
	v_fmac_f32_e32 v24, v25, v24
	v_mul_f32_e32 v25, v23, v24
	v_fma_f32 v26, -v4, v25, v23
	v_fmac_f32_e32 v25, v26, v24
	v_fma_f32 v4, -v4, v25, v23
	v_div_fmas_f32 v4, v4, v24, v25
	v_div_fixup_f32 v4, v4, v22, v21
	v_fma_f32 v4, v4, v4, 1.0
	v_mul_f32_e32 v21, 0x4f800000, v4
	v_cmp_gt_f32_e32 vcc, s33, v4
	v_cndmask_b32_e32 v4, v4, v21, vcc
	v_sqrt_f32_e32 v21, v4
	v_add_u32_e32 v23, -1, v21
	v_add_u32_e32 v24, 1, v21
	v_fma_f32 v25, -v23, v21, v4
	v_fma_f32 v26, -v24, v21, v4
	v_cmp_ge_f32_e64 s[4:5], 0, v25
	v_cndmask_b32_e64 v21, v21, v23, s[4:5]
	v_cmp_lt_f32_e64 s[4:5], 0, v26
	v_cndmask_b32_e64 v21, v21, v24, s[4:5]
	v_mul_f32_e32 v23, 0x37800000, v21
	v_cndmask_b32_e32 v21, v21, v23, vcc
	v_cmp_class_f32_e32 vcc, v4, v37
	v_cndmask_b32_e32 v4, v21, v4, vcc
	v_mul_f32_e32 v4, v22, v4
.LBB198_16:                             ;   in Loop: Header=BB198_5 Depth=1
	s_or_b64 exec, exec, s[26:27]
                                        ; implicit-def: $vgpr21
                                        ; implicit-def: $vgpr22
.LBB198_17:                             ;   in Loop: Header=BB198_5 Depth=1
	s_andn2_saveexec_b64 s[24:25], s[24:25]
	s_cbranch_execz .LBB198_19
; %bb.18:                               ;   in Loop: Header=BB198_5 Depth=1
	v_div_scale_f32 v4, s[4:5], v21, v21, v22
	v_div_scale_f32 v23, vcc, v22, v21, v22
	v_rcp_f32_e32 v24, v4
	v_fma_f32 v25, -v4, v24, 1.0
	v_fmac_f32_e32 v24, v25, v24
	v_mul_f32_e32 v25, v23, v24
	v_fma_f32 v26, -v4, v25, v23
	v_fmac_f32_e32 v25, v26, v24
	v_fma_f32 v4, -v4, v25, v23
	v_div_fmas_f32 v4, v4, v24, v25
	v_div_fixup_f32 v4, v4, v21, v22
	v_fma_f32 v4, v4, v4, 1.0
	v_mul_f32_e32 v22, 0x4f800000, v4
	v_cmp_gt_f32_e32 vcc, s33, v4
	v_cndmask_b32_e32 v4, v4, v22, vcc
	v_sqrt_f32_e32 v22, v4
	v_add_u32_e32 v23, -1, v22
	v_add_u32_e32 v24, 1, v22
	v_fma_f32 v25, -v23, v22, v4
	v_fma_f32 v26, -v24, v22, v4
	v_cmp_ge_f32_e64 s[4:5], 0, v25
	v_cndmask_b32_e64 v22, v22, v23, s[4:5]
	v_cmp_lt_f32_e64 s[4:5], 0, v26
	v_cndmask_b32_e64 v22, v22, v24, s[4:5]
	v_mul_f32_e32 v23, 0x37800000, v22
	v_cndmask_b32_e32 v22, v22, v23, vcc
	v_cmp_class_f32_e32 vcc, v4, v37
	v_cndmask_b32_e32 v4, v22, v4, vcc
	v_mul_f32_e32 v4, v21, v4
.LBB198_19:                             ;   in Loop: Header=BB198_5 Depth=1
	s_or_b64 exec, exec, s[24:25]
	v_cmp_gt_f32_e32 vcc, 0, v17
	v_cndmask_b32_e64 v22, v17, -v17, vcc
	v_cmp_gt_f32_e32 vcc, 0, v18
	v_cndmask_b32_e64 v23, v18, -v18, vcc
	v_cmp_ngt_f32_e32 vcc, v22, v23
                                        ; implicit-def: $vgpr21
	s_and_saveexec_b64 s[4:5], vcc
	s_xor_b64 s[24:25], exec, s[4:5]
	s_cbranch_execz .LBB198_23
; %bb.20:                               ;   in Loop: Header=BB198_5 Depth=1
	v_mov_b32_e32 v21, 0
	v_cmp_neq_f32_e32 vcc, 0, v18
	s_and_saveexec_b64 s[26:27], vcc
	s_cbranch_execz .LBB198_22
; %bb.21:                               ;   in Loop: Header=BB198_5 Depth=1
	v_div_scale_f32 v21, s[4:5], v23, v23, v22
	v_div_scale_f32 v24, vcc, v22, v23, v22
	v_rcp_f32_e32 v25, v21
	v_fma_f32 v26, -v21, v25, 1.0
	v_fmac_f32_e32 v25, v26, v25
	v_mul_f32_e32 v26, v24, v25
	v_fma_f32 v27, -v21, v26, v24
	v_fmac_f32_e32 v26, v27, v25
	v_fma_f32 v21, -v21, v26, v24
	v_div_fmas_f32 v21, v21, v25, v26
	v_div_fixup_f32 v21, v21, v23, v22
	v_fma_f32 v21, v21, v21, 1.0
	v_mul_f32_e32 v22, 0x4f800000, v21
	v_cmp_gt_f32_e32 vcc, s33, v21
	v_cndmask_b32_e32 v21, v21, v22, vcc
	v_sqrt_f32_e32 v22, v21
	v_add_u32_e32 v24, -1, v22
	v_add_u32_e32 v25, 1, v22
	v_fma_f32 v26, -v24, v22, v21
	v_fma_f32 v27, -v25, v22, v21
	v_cmp_ge_f32_e64 s[4:5], 0, v26
	v_cndmask_b32_e64 v22, v22, v24, s[4:5]
	v_cmp_lt_f32_e64 s[4:5], 0, v27
	v_cndmask_b32_e64 v22, v22, v25, s[4:5]
	v_mul_f32_e32 v24, 0x37800000, v22
	v_cndmask_b32_e32 v22, v22, v24, vcc
	v_cmp_class_f32_e32 vcc, v21, v37
	v_cndmask_b32_e32 v21, v22, v21, vcc
	v_mul_f32_e32 v21, v23, v21
.LBB198_22:                             ;   in Loop: Header=BB198_5 Depth=1
	s_or_b64 exec, exec, s[26:27]
                                        ; implicit-def: $vgpr22
                                        ; implicit-def: $vgpr23
.LBB198_23:                             ;   in Loop: Header=BB198_5 Depth=1
	s_andn2_saveexec_b64 s[24:25], s[24:25]
	s_cbranch_execz .LBB198_25
; %bb.24:                               ;   in Loop: Header=BB198_5 Depth=1
	v_div_scale_f32 v21, s[4:5], v22, v22, v23
	v_div_scale_f32 v24, vcc, v23, v22, v23
	v_rcp_f32_e32 v25, v21
	v_fma_f32 v26, -v21, v25, 1.0
	v_fmac_f32_e32 v25, v26, v25
	v_mul_f32_e32 v26, v24, v25
	v_fma_f32 v27, -v21, v26, v24
	v_fmac_f32_e32 v26, v27, v25
	v_fma_f32 v21, -v21, v26, v24
	v_div_fmas_f32 v21, v21, v25, v26
	v_div_fixup_f32 v21, v21, v22, v23
	v_fma_f32 v21, v21, v21, 1.0
	v_mul_f32_e32 v23, 0x4f800000, v21
	v_cmp_gt_f32_e32 vcc, s33, v21
	v_cndmask_b32_e32 v21, v21, v23, vcc
	v_sqrt_f32_e32 v23, v21
	v_add_u32_e32 v24, -1, v23
	v_add_u32_e32 v25, 1, v23
	v_fma_f32 v26, -v24, v23, v21
	v_fma_f32 v27, -v25, v23, v21
	v_cmp_ge_f32_e64 s[4:5], 0, v26
	v_cndmask_b32_e64 v23, v23, v24, s[4:5]
	v_cmp_lt_f32_e64 s[4:5], 0, v27
	v_cndmask_b32_e64 v23, v23, v25, s[4:5]
	v_mul_f32_e32 v24, 0x37800000, v23
	v_cndmask_b32_e32 v23, v23, v24, vcc
	v_cmp_class_f32_e32 vcc, v21, v37
	v_cndmask_b32_e32 v21, v23, v21, vcc
	v_mul_f32_e32 v21, v22, v21
.LBB198_25:                             ;   in Loop: Header=BB198_5 Depth=1
	s_or_b64 exec, exec, s[24:25]
	v_cmp_gt_f32_e32 vcc, 0, v19
	v_cndmask_b32_e64 v23, v19, -v19, vcc
	v_cmp_gt_f32_e32 vcc, 0, v20
	v_cndmask_b32_e64 v24, v20, -v20, vcc
	v_cmp_ngt_f32_e32 vcc, v23, v24
                                        ; implicit-def: $vgpr22
	s_and_saveexec_b64 s[4:5], vcc
	s_xor_b64 s[24:25], exec, s[4:5]
	s_cbranch_execz .LBB198_29
; %bb.26:                               ;   in Loop: Header=BB198_5 Depth=1
	v_mov_b32_e32 v22, 0
	v_cmp_neq_f32_e32 vcc, 0, v20
	s_and_saveexec_b64 s[26:27], vcc
	s_cbranch_execz .LBB198_28
; %bb.27:                               ;   in Loop: Header=BB198_5 Depth=1
	v_div_scale_f32 v22, s[4:5], v24, v24, v23
	v_div_scale_f32 v25, vcc, v23, v24, v23
	v_rcp_f32_e32 v26, v22
	v_fma_f32 v27, -v22, v26, 1.0
	v_fmac_f32_e32 v26, v27, v26
	v_mul_f32_e32 v27, v25, v26
	v_fma_f32 v28, -v22, v27, v25
	v_fmac_f32_e32 v27, v28, v26
	v_fma_f32 v22, -v22, v27, v25
	v_div_fmas_f32 v22, v22, v26, v27
	v_div_fixup_f32 v22, v22, v24, v23
	v_fma_f32 v22, v22, v22, 1.0
	v_mul_f32_e32 v23, 0x4f800000, v22
	v_cmp_gt_f32_e32 vcc, s33, v22
	v_cndmask_b32_e32 v22, v22, v23, vcc
	v_sqrt_f32_e32 v23, v22
	v_add_u32_e32 v25, -1, v23
	v_add_u32_e32 v26, 1, v23
	v_fma_f32 v27, -v25, v23, v22
	v_fma_f32 v28, -v26, v23, v22
	v_cmp_ge_f32_e64 s[4:5], 0, v27
	v_cndmask_b32_e64 v23, v23, v25, s[4:5]
	v_cmp_lt_f32_e64 s[4:5], 0, v28
	v_cndmask_b32_e64 v23, v23, v26, s[4:5]
	v_mul_f32_e32 v25, 0x37800000, v23
	v_cndmask_b32_e32 v23, v23, v25, vcc
	v_cmp_class_f32_e32 vcc, v22, v37
	v_cndmask_b32_e32 v22, v23, v22, vcc
	v_mul_f32_e32 v22, v24, v22
.LBB198_28:                             ;   in Loop: Header=BB198_5 Depth=1
	s_or_b64 exec, exec, s[26:27]
                                        ; implicit-def: $vgpr23
                                        ; implicit-def: $vgpr24
.LBB198_29:                             ;   in Loop: Header=BB198_5 Depth=1
	s_andn2_saveexec_b64 s[24:25], s[24:25]
	s_cbranch_execz .LBB198_31
; %bb.30:                               ;   in Loop: Header=BB198_5 Depth=1
	v_div_scale_f32 v22, s[4:5], v23, v23, v24
	v_div_scale_f32 v25, vcc, v24, v23, v24
	v_rcp_f32_e32 v26, v22
	v_fma_f32 v27, -v22, v26, 1.0
	v_fmac_f32_e32 v26, v27, v26
	v_mul_f32_e32 v27, v25, v26
	v_fma_f32 v28, -v22, v27, v25
	v_fmac_f32_e32 v27, v28, v26
	v_fma_f32 v22, -v22, v27, v25
	v_div_fmas_f32 v22, v22, v26, v27
	v_div_fixup_f32 v22, v22, v23, v24
	v_fma_f32 v22, v22, v22, 1.0
	v_mul_f32_e32 v24, 0x4f800000, v22
	v_cmp_gt_f32_e32 vcc, s33, v22
	v_cndmask_b32_e32 v22, v22, v24, vcc
	v_sqrt_f32_e32 v24, v22
	v_add_u32_e32 v25, -1, v24
	v_add_u32_e32 v26, 1, v24
	v_fma_f32 v27, -v25, v24, v22
	v_fma_f32 v28, -v26, v24, v22
	v_cmp_ge_f32_e64 s[4:5], 0, v27
	v_cndmask_b32_e64 v24, v24, v25, s[4:5]
	v_cmp_lt_f32_e64 s[4:5], 0, v28
	v_cndmask_b32_e64 v24, v24, v26, s[4:5]
	v_mul_f32_e32 v25, 0x37800000, v24
	v_cndmask_b32_e32 v24, v24, v25, vcc
	v_cmp_class_f32_e32 vcc, v22, v37
	v_cndmask_b32_e32 v22, v24, v22, vcc
	v_mul_f32_e32 v22, v23, v22
.LBB198_31:                             ;   in Loop: Header=BB198_5 Depth=1
	s_or_b64 exec, exec, s[24:25]
	v_cmp_gt_f32_e32 vcc, 0, v13
	v_cndmask_b32_e64 v24, v13, -v13, vcc
	v_cmp_gt_f32_e32 vcc, 0, v14
	v_cndmask_b32_e64 v25, v14, -v14, vcc
	v_cmp_ngt_f32_e32 vcc, v24, v25
                                        ; implicit-def: $vgpr23
	s_and_saveexec_b64 s[4:5], vcc
	s_xor_b64 s[24:25], exec, s[4:5]
	s_cbranch_execz .LBB198_35
; %bb.32:                               ;   in Loop: Header=BB198_5 Depth=1
	v_mov_b32_e32 v23, 0
	v_cmp_neq_f32_e32 vcc, 0, v14
	s_and_saveexec_b64 s[26:27], vcc
	s_cbranch_execz .LBB198_34
; %bb.33:                               ;   in Loop: Header=BB198_5 Depth=1
	v_div_scale_f32 v23, s[4:5], v25, v25, v24
	v_div_scale_f32 v26, vcc, v24, v25, v24
	v_rcp_f32_e32 v27, v23
	v_fma_f32 v28, -v23, v27, 1.0
	v_fmac_f32_e32 v27, v28, v27
	v_mul_f32_e32 v28, v26, v27
	v_fma_f32 v29, -v23, v28, v26
	v_fmac_f32_e32 v28, v29, v27
	v_fma_f32 v23, -v23, v28, v26
	v_div_fmas_f32 v23, v23, v27, v28
	v_div_fixup_f32 v23, v23, v25, v24
	v_fma_f32 v23, v23, v23, 1.0
	v_mul_f32_e32 v24, 0x4f800000, v23
	v_cmp_gt_f32_e32 vcc, s33, v23
	v_cndmask_b32_e32 v23, v23, v24, vcc
	v_sqrt_f32_e32 v24, v23
	v_add_u32_e32 v26, -1, v24
	v_add_u32_e32 v27, 1, v24
	v_fma_f32 v28, -v26, v24, v23
	v_fma_f32 v29, -v27, v24, v23
	v_cmp_ge_f32_e64 s[4:5], 0, v28
	v_cndmask_b32_e64 v24, v24, v26, s[4:5]
	v_cmp_lt_f32_e64 s[4:5], 0, v29
	v_cndmask_b32_e64 v24, v24, v27, s[4:5]
	v_mul_f32_e32 v26, 0x37800000, v24
	v_cndmask_b32_e32 v24, v24, v26, vcc
	v_cmp_class_f32_e32 vcc, v23, v37
	v_cndmask_b32_e32 v23, v24, v23, vcc
	v_mul_f32_e32 v23, v25, v23
.LBB198_34:                             ;   in Loop: Header=BB198_5 Depth=1
	s_or_b64 exec, exec, s[26:27]
                                        ; implicit-def: $vgpr24
                                        ; implicit-def: $vgpr25
.LBB198_35:                             ;   in Loop: Header=BB198_5 Depth=1
	s_andn2_saveexec_b64 s[24:25], s[24:25]
	s_cbranch_execz .LBB198_37
; %bb.36:                               ;   in Loop: Header=BB198_5 Depth=1
	v_div_scale_f32 v23, s[4:5], v24, v24, v25
	v_div_scale_f32 v26, vcc, v25, v24, v25
	v_rcp_f32_e32 v27, v23
	v_fma_f32 v28, -v23, v27, 1.0
	v_fmac_f32_e32 v27, v28, v27
	v_mul_f32_e32 v28, v26, v27
	v_fma_f32 v29, -v23, v28, v26
	v_fmac_f32_e32 v28, v29, v27
	v_fma_f32 v23, -v23, v28, v26
	v_div_fmas_f32 v23, v23, v27, v28
	v_div_fixup_f32 v23, v23, v24, v25
	v_fma_f32 v23, v23, v23, 1.0
	v_mul_f32_e32 v25, 0x4f800000, v23
	v_cmp_gt_f32_e32 vcc, s33, v23
	v_cndmask_b32_e32 v23, v23, v25, vcc
	v_sqrt_f32_e32 v25, v23
	v_add_u32_e32 v26, -1, v25
	v_add_u32_e32 v27, 1, v25
	v_fma_f32 v28, -v26, v25, v23
	v_fma_f32 v29, -v27, v25, v23
	v_cmp_ge_f32_e64 s[4:5], 0, v28
	v_cndmask_b32_e64 v25, v25, v26, s[4:5]
	v_cmp_lt_f32_e64 s[4:5], 0, v29
	v_cndmask_b32_e64 v25, v25, v27, s[4:5]
	v_mul_f32_e32 v26, 0x37800000, v25
	v_cndmask_b32_e32 v25, v25, v26, vcc
	v_cmp_class_f32_e32 vcc, v23, v37
	v_cndmask_b32_e32 v23, v25, v23, vcc
	v_mul_f32_e32 v23, v24, v23
.LBB198_37:                             ;   in Loop: Header=BB198_5 Depth=1
	s_or_b64 exec, exec, s[24:25]
	v_cmp_gt_f32_e32 vcc, 0, v9
	v_cndmask_b32_e64 v24, v9, -v9, vcc
	v_cmp_gt_f32_e32 vcc, 0, v10
	v_cndmask_b32_e64 v25, v10, -v10, vcc
	v_cmp_ngt_f32_e32 vcc, v24, v25
                                        ; implicit-def: $vgpr26
	s_and_saveexec_b64 s[4:5], vcc
	s_xor_b64 s[24:25], exec, s[4:5]
	s_cbranch_execz .LBB198_41
; %bb.38:                               ;   in Loop: Header=BB198_5 Depth=1
	v_mov_b32_e32 v26, 0
	v_cmp_neq_f32_e32 vcc, 0, v10
	s_and_saveexec_b64 s[26:27], vcc
	s_cbranch_execz .LBB198_40
; %bb.39:                               ;   in Loop: Header=BB198_5 Depth=1
	v_div_scale_f32 v26, s[4:5], v25, v25, v24
	v_div_scale_f32 v27, vcc, v24, v25, v24
	v_rcp_f32_e32 v28, v26
	v_fma_f32 v29, -v26, v28, 1.0
	v_fmac_f32_e32 v28, v29, v28
	v_mul_f32_e32 v29, v27, v28
	v_fma_f32 v30, -v26, v29, v27
	v_fmac_f32_e32 v29, v30, v28
	v_fma_f32 v26, -v26, v29, v27
	v_div_fmas_f32 v26, v26, v28, v29
	v_div_fixup_f32 v24, v26, v25, v24
	v_fma_f32 v24, v24, v24, 1.0
	v_mul_f32_e32 v26, 0x4f800000, v24
	v_cmp_gt_f32_e32 vcc, s33, v24
	v_cndmask_b32_e32 v24, v24, v26, vcc
	v_sqrt_f32_e32 v26, v24
	v_add_u32_e32 v27, -1, v26
	v_add_u32_e32 v28, 1, v26
	v_fma_f32 v29, -v27, v26, v24
	v_fma_f32 v30, -v28, v26, v24
	v_cmp_ge_f32_e64 s[4:5], 0, v29
	v_cndmask_b32_e64 v26, v26, v27, s[4:5]
	v_cmp_lt_f32_e64 s[4:5], 0, v30
	v_cndmask_b32_e64 v26, v26, v28, s[4:5]
	v_mul_f32_e32 v27, 0x37800000, v26
	v_cndmask_b32_e32 v26, v26, v27, vcc
	v_cmp_class_f32_e32 vcc, v24, v37
	v_cndmask_b32_e32 v24, v26, v24, vcc
	v_mul_f32_e32 v26, v25, v24
.LBB198_40:                             ;   in Loop: Header=BB198_5 Depth=1
	s_or_b64 exec, exec, s[26:27]
                                        ; implicit-def: $vgpr24
                                        ; implicit-def: $vgpr25
.LBB198_41:                             ;   in Loop: Header=BB198_5 Depth=1
	s_andn2_saveexec_b64 s[24:25], s[24:25]
	s_cbranch_execz .LBB198_43
; %bb.42:                               ;   in Loop: Header=BB198_5 Depth=1
	v_div_scale_f32 v26, s[4:5], v24, v24, v25
	v_div_scale_f32 v27, vcc, v25, v24, v25
	v_rcp_f32_e32 v28, v26
	v_fma_f32 v29, -v26, v28, 1.0
	v_fmac_f32_e32 v28, v29, v28
	v_mul_f32_e32 v29, v27, v28
	v_fma_f32 v30, -v26, v29, v27
	v_fmac_f32_e32 v29, v30, v28
	v_fma_f32 v26, -v26, v29, v27
	v_div_fmas_f32 v26, v26, v28, v29
	v_div_fixup_f32 v25, v26, v24, v25
	v_fma_f32 v25, v25, v25, 1.0
	v_mul_f32_e32 v26, 0x4f800000, v25
	v_cmp_gt_f32_e32 vcc, s33, v25
	v_cndmask_b32_e32 v25, v25, v26, vcc
	v_sqrt_f32_e32 v26, v25
	v_add_u32_e32 v27, -1, v26
	v_add_u32_e32 v28, 1, v26
	v_fma_f32 v29, -v27, v26, v25
	v_fma_f32 v30, -v28, v26, v25
	v_cmp_ge_f32_e64 s[4:5], 0, v29
	v_cndmask_b32_e64 v26, v26, v27, s[4:5]
	v_cmp_lt_f32_e64 s[4:5], 0, v30
	v_cndmask_b32_e64 v26, v26, v28, s[4:5]
	v_mul_f32_e32 v27, 0x37800000, v26
	v_cndmask_b32_e32 v26, v26, v27, vcc
	v_cmp_class_f32_e32 vcc, v25, v37
	v_cndmask_b32_e32 v25, v26, v25, vcc
	v_mul_f32_e32 v26, v24, v25
.LBB198_43:                             ;   in Loop: Header=BB198_5 Depth=1
	s_or_b64 exec, exec, s[24:25]
	v_cmp_gt_f32_e32 vcc, 0, v7
	v_cndmask_b32_e64 v24, v7, -v7, vcc
	v_cmp_gt_f32_e32 vcc, 0, v8
	v_cndmask_b32_e64 v25, v8, -v8, vcc
	v_cmp_ngt_f32_e32 vcc, v24, v25
                                        ; implicit-def: $vgpr27
	s_and_saveexec_b64 s[4:5], vcc
	s_xor_b64 s[24:25], exec, s[4:5]
	s_cbranch_execz .LBB198_47
; %bb.44:                               ;   in Loop: Header=BB198_5 Depth=1
	v_mov_b32_e32 v27, 0
	v_cmp_neq_f32_e32 vcc, 0, v8
	s_and_saveexec_b64 s[26:27], vcc
	s_cbranch_execz .LBB198_46
; %bb.45:                               ;   in Loop: Header=BB198_5 Depth=1
	v_div_scale_f32 v27, s[4:5], v25, v25, v24
	v_div_scale_f32 v28, vcc, v24, v25, v24
	v_rcp_f32_e32 v29, v27
	v_fma_f32 v30, -v27, v29, 1.0
	v_fmac_f32_e32 v29, v30, v29
	v_mul_f32_e32 v30, v28, v29
	v_fma_f32 v31, -v27, v30, v28
	v_fmac_f32_e32 v30, v31, v29
	v_fma_f32 v27, -v27, v30, v28
	v_div_fmas_f32 v27, v27, v29, v30
	v_div_fixup_f32 v24, v27, v25, v24
	v_fma_f32 v24, v24, v24, 1.0
	v_mul_f32_e32 v27, 0x4f800000, v24
	v_cmp_gt_f32_e32 vcc, s33, v24
	v_cndmask_b32_e32 v24, v24, v27, vcc
	v_sqrt_f32_e32 v27, v24
	v_add_u32_e32 v28, -1, v27
	v_add_u32_e32 v29, 1, v27
	v_fma_f32 v30, -v28, v27, v24
	v_fma_f32 v31, -v29, v27, v24
	v_cmp_ge_f32_e64 s[4:5], 0, v30
	v_cndmask_b32_e64 v27, v27, v28, s[4:5]
	v_cmp_lt_f32_e64 s[4:5], 0, v31
	v_cndmask_b32_e64 v27, v27, v29, s[4:5]
	v_mul_f32_e32 v28, 0x37800000, v27
	v_cndmask_b32_e32 v27, v27, v28, vcc
	v_cmp_class_f32_e32 vcc, v24, v37
	v_cndmask_b32_e32 v24, v27, v24, vcc
	v_mul_f32_e32 v27, v25, v24
.LBB198_46:                             ;   in Loop: Header=BB198_5 Depth=1
	s_or_b64 exec, exec, s[26:27]
                                        ; implicit-def: $vgpr24
                                        ; implicit-def: $vgpr25
.LBB198_47:                             ;   in Loop: Header=BB198_5 Depth=1
	s_andn2_saveexec_b64 s[24:25], s[24:25]
	s_cbranch_execz .LBB198_49
; %bb.48:                               ;   in Loop: Header=BB198_5 Depth=1
	v_div_scale_f32 v27, s[4:5], v24, v24, v25
	v_div_scale_f32 v28, vcc, v25, v24, v25
	v_rcp_f32_e32 v29, v27
	v_fma_f32 v30, -v27, v29, 1.0
	v_fmac_f32_e32 v29, v30, v29
	v_mul_f32_e32 v30, v28, v29
	v_fma_f32 v31, -v27, v30, v28
	v_fmac_f32_e32 v30, v31, v29
	v_fma_f32 v27, -v27, v30, v28
	v_div_fmas_f32 v27, v27, v29, v30
	v_div_fixup_f32 v25, v27, v24, v25
	v_fma_f32 v25, v25, v25, 1.0
	v_mul_f32_e32 v27, 0x4f800000, v25
	v_cmp_gt_f32_e32 vcc, s33, v25
	v_cndmask_b32_e32 v25, v25, v27, vcc
	v_sqrt_f32_e32 v27, v25
	v_add_u32_e32 v28, -1, v27
	v_add_u32_e32 v29, 1, v27
	v_fma_f32 v30, -v28, v27, v25
	v_fma_f32 v31, -v29, v27, v25
	v_cmp_ge_f32_e64 s[4:5], 0, v30
	v_cndmask_b32_e64 v27, v27, v28, s[4:5]
	v_cmp_lt_f32_e64 s[4:5], 0, v31
	v_cndmask_b32_e64 v27, v27, v29, s[4:5]
	v_mul_f32_e32 v28, 0x37800000, v27
	v_cndmask_b32_e32 v27, v27, v28, vcc
	v_cmp_class_f32_e32 vcc, v25, v37
	v_cndmask_b32_e32 v25, v27, v25, vcc
	v_mul_f32_e32 v27, v24, v25
.LBB198_49:                             ;   in Loop: Header=BB198_5 Depth=1
	s_or_b64 exec, exec, s[24:25]
	v_mul_f32_e64 v24, v14, -v6
	v_fmac_f32_e32 v24, v5, v13
	v_mul_f32_e32 v25, v5, v14
	v_fmac_f32_e32 v25, v6, v13
	v_cmp_gt_f32_e32 vcc, 0, v24
	v_cndmask_b32_e64 v28, v24, -v24, vcc
	v_cmp_gt_f32_e32 vcc, 0, v25
	v_cndmask_b32_e64 v29, v25, -v25, vcc
	v_cmp_ngt_f32_e32 vcc, v28, v29
                                        ; implicit-def: $vgpr30
	s_and_saveexec_b64 s[4:5], vcc
	s_xor_b64 s[24:25], exec, s[4:5]
	s_cbranch_execz .LBB198_53
; %bb.50:                               ;   in Loop: Header=BB198_5 Depth=1
	v_mov_b32_e32 v30, 0
	v_cmp_neq_f32_e32 vcc, 0, v25
	s_and_saveexec_b64 s[26:27], vcc
	s_cbranch_execz .LBB198_52
; %bb.51:                               ;   in Loop: Header=BB198_5 Depth=1
	v_div_scale_f32 v30, s[4:5], v29, v29, v28
	v_div_scale_f32 v31, vcc, v28, v29, v28
	v_rcp_f32_e32 v32, v30
	v_fma_f32 v33, -v30, v32, 1.0
	v_fmac_f32_e32 v32, v33, v32
	v_mul_f32_e32 v33, v31, v32
	v_fma_f32 v34, -v30, v33, v31
	v_fmac_f32_e32 v33, v34, v32
	v_fma_f32 v30, -v30, v33, v31
	v_div_fmas_f32 v30, v30, v32, v33
	v_div_fixup_f32 v28, v30, v29, v28
	v_fma_f32 v28, v28, v28, 1.0
	v_mul_f32_e32 v30, 0x4f800000, v28
	v_cmp_gt_f32_e32 vcc, s33, v28
	v_cndmask_b32_e32 v28, v28, v30, vcc
	v_sqrt_f32_e32 v30, v28
	v_add_u32_e32 v31, -1, v30
	v_add_u32_e32 v32, 1, v30
	v_fma_f32 v33, -v31, v30, v28
	v_fma_f32 v34, -v32, v30, v28
	v_cmp_ge_f32_e64 s[4:5], 0, v33
	v_cndmask_b32_e64 v30, v30, v31, s[4:5]
	v_cmp_lt_f32_e64 s[4:5], 0, v34
	v_cndmask_b32_e64 v30, v30, v32, s[4:5]
	v_mul_f32_e32 v31, 0x37800000, v30
	v_cndmask_b32_e32 v30, v30, v31, vcc
	v_cmp_class_f32_e32 vcc, v28, v37
	v_cndmask_b32_e32 v28, v30, v28, vcc
	v_mul_f32_e32 v30, v29, v28
.LBB198_52:                             ;   in Loop: Header=BB198_5 Depth=1
	s_or_b64 exec, exec, s[26:27]
                                        ; implicit-def: $vgpr28
                                        ; implicit-def: $vgpr29
.LBB198_53:                             ;   in Loop: Header=BB198_5 Depth=1
	s_andn2_saveexec_b64 s[24:25], s[24:25]
	s_cbranch_execz .LBB198_55
; %bb.54:                               ;   in Loop: Header=BB198_5 Depth=1
	v_div_scale_f32 v30, s[4:5], v28, v28, v29
	v_div_scale_f32 v31, vcc, v29, v28, v29
	v_rcp_f32_e32 v32, v30
	v_fma_f32 v33, -v30, v32, 1.0
	v_fmac_f32_e32 v32, v33, v32
	v_mul_f32_e32 v33, v31, v32
	v_fma_f32 v34, -v30, v33, v31
	v_fmac_f32_e32 v33, v34, v32
	v_fma_f32 v30, -v30, v33, v31
	v_div_fmas_f32 v30, v30, v32, v33
	v_div_fixup_f32 v29, v30, v28, v29
	v_fma_f32 v29, v29, v29, 1.0
	v_mul_f32_e32 v30, 0x4f800000, v29
	v_cmp_gt_f32_e32 vcc, s33, v29
	v_cndmask_b32_e32 v29, v29, v30, vcc
	v_sqrt_f32_e32 v30, v29
	v_add_u32_e32 v31, -1, v30
	v_add_u32_e32 v32, 1, v30
	v_fma_f32 v33, -v31, v30, v29
	v_fma_f32 v34, -v32, v30, v29
	v_cmp_ge_f32_e64 s[4:5], 0, v33
	v_cndmask_b32_e64 v30, v30, v31, s[4:5]
	v_cmp_lt_f32_e64 s[4:5], 0, v34
	v_cndmask_b32_e64 v30, v30, v32, s[4:5]
	v_mul_f32_e32 v31, 0x37800000, v30
	v_cndmask_b32_e32 v30, v30, v31, vcc
	v_cmp_class_f32_e32 vcc, v29, v37
	v_cndmask_b32_e32 v29, v30, v29, vcc
	v_mul_f32_e32 v30, v28, v29
.LBB198_55:                             ;   in Loop: Header=BB198_5 Depth=1
	s_or_b64 exec, exec, s[24:25]
	v_cmp_lt_f32_e32 vcc, v4, v21
	v_cndmask_b32_e32 v4, v4, v21, vcc
	v_cmp_lt_f32_e32 vcc, v22, v4
	v_cndmask_b32_e32 v4, v22, v4, vcc
	;; [unrolled: 2-line block ×4, first 2 shown]
	v_cvt_f64_f32_e32 v[21:22], v4
	v_cvt_f64_f32_e32 v[26:27], v27
	v_cvt_f64_f32_e32 v[28:29], v30
	v_cmp_ne_u32_e64 s[4:5], s30, v3
	v_mul_f64 v[21:22], v[21:22], v[26:27]
	v_mul_f64 v[26:27], v[28:29], s[22:23]
	v_cmp_nge_f64_e32 vcc, v[21:22], v[26:27]
	s_and_b64 s[4:5], s[4:5], vcc
	s_and_saveexec_b64 s[24:25], s[4:5]
	s_xor_b64 s[4:5], exec, s[24:25]
	s_cbranch_execz .LBB198_61
; %bb.56:                               ;   in Loop: Header=BB198_5 Depth=1
	v_mul_f32_e64 v4, v20, -v8
	v_mul_f32_e32 v21, v7, v20
	v_fmac_f32_e32 v4, v7, v19
	v_fmac_f32_e32 v21, v8, v19
	v_sub_f32_e32 v23, v4, v24
	v_sub_f32_e32 v24, v21, v25
	v_mul_f32_e32 v33, v24, v24
	v_fmac_f32_e32 v33, v23, v23
	v_div_scale_f32 v21, s[24:25], v33, v33, 1.0
	v_div_scale_f32 v22, vcc, 1.0, v33, 1.0
	v_ashrrev_i32_e32 v4, 31, v3
	v_mov_b32_e32 v30, s11
	v_lshlrev_b64 v[11:12], 2, v[11:12]
	v_rcp_f32_e32 v25, v21
	v_fma_f32 v26, -v21, v25, 1.0
	v_fmac_f32_e32 v25, v26, v25
	v_mul_f32_e32 v26, v22, v25
	v_fma_f32 v27, -v21, v26, v22
	v_fmac_f32_e32 v26, v27, v25
	v_fma_f32 v21, -v21, v26, v22
	v_div_fmas_f32 v34, v21, v25, v26
	v_add_u32_e32 v25, v35, v3
	v_lshlrev_b64 v[21:22], 3, v[3:4]
	v_ashrrev_i32_e32 v26, 31, v25
	v_add_co_u32_e32 v31, vcc, v1, v21
	v_lshlrev_b64 v[27:28], 3, v[25:26]
	v_addc_co_u32_e32 v32, vcc, v2, v22, vcc
	v_add_co_u32_e32 v29, vcc, s10, v27
	v_fma_f32 v4, 0, v24, v23
	v_fma_f32 v23, v23, 0, -v24
	v_addc_co_u32_e32 v30, vcc, v30, v28, vcc
	v_div_fixup_f32 v21, v34, v33, 1.0
	v_mul_f32_e32 v4, v4, v21
	v_mul_f32_e32 v40, v23, v21
	global_load_dwordx2 v[21:22], v[31:32], off
	global_load_dwordx2 v[23:24], v[29:30], off
	s_waitcnt vmcnt(1)
	v_mul_f32_e64 v33, v22, -v20
	s_waitcnt vmcnt(0)
	v_mul_f32_e64 v34, v24, -v14
	v_fmac_f32_e32 v33, v19, v21
	v_fmac_f32_e32 v34, v13, v23
	v_sub_f32_e32 v41, v33, v34
	v_mul_f32_e32 v33, v19, v22
	v_mul_f32_e32 v34, v24, v13
	v_fmac_f32_e32 v33, v20, v21
	v_fmac_f32_e32 v34, v14, v23
	v_sub_f32_e32 v42, v33, v34
	v_mul_f32_e64 v33, v40, -v42
	v_mul_f32_e32 v34, v40, v41
	v_fmac_f32_e32 v33, v41, v4
	v_fmac_f32_e32 v34, v42, v4
	global_store_dwordx2 v[31:32], v[33:34], off
	v_mov_b32_e32 v31, s13
	v_add_co_u32_e32 v41, vcc, s12, v15
	v_addc_co_u32_e32 v42, vcc, v31, v16, vcc
	global_load_dwordx2 v[31:32], v[41:42], off
	s_waitcnt vmcnt(0)
	v_mul_f32_e64 v43, v32, -v20
	v_mul_f32_e32 v44, v19, v32
	v_fmac_f32_e32 v43, v19, v31
	v_fmac_f32_e32 v44, v20, v31
	v_mov_b32_e32 v20, s13
	v_add_co_u32_e32 v19, vcc, s12, v27
	v_addc_co_u32_e32 v20, vcc, v20, v28, vcc
	global_load_dwordx2 v[33:34], v[19:20], off
	v_add_co_u32_e32 v15, vcc, s14, v15
	s_waitcnt vmcnt(0)
	v_mul_f32_e64 v45, v34, -v14
	v_fmac_f32_e32 v45, v13, v33
	v_sub_f32_e32 v45, v43, v45
	v_mul_f32_e32 v43, v34, v13
	v_fmac_f32_e32 v43, v14, v33
	v_sub_f32_e32 v46, v44, v43
	v_mul_f32_e64 v43, v40, -v46
	v_mul_f32_e32 v44, v40, v45
	v_fmac_f32_e32 v43, v45, v4
	v_fmac_f32_e32 v44, v46, v4
	global_store_dwordx2 v[41:42], v[43:44], off
	v_mov_b32_e32 v41, s15
	v_addc_co_u32_e32 v16, vcc, v41, v16, vcc
	v_mul_f32_e32 v41, v10, v14
	v_fma_f32 v41, -v13, v9, v41
	v_mul_f32_e64 v13, v10, -v13
	v_fma_f32 v42, -v14, v9, v13
	v_mul_f32_e64 v13, v40, -v42
	v_mul_f32_e32 v14, v40, v41
	v_fmac_f32_e32 v13, v41, v4
	v_fmac_f32_e32 v14, v42, v4
	global_store_dwordx2 v[15:16], v[13:14], off
	v_mov_b32_e32 v13, s7
	v_add_co_u32_e32 v11, vcc, s6, v11
	v_addc_co_u32_e32 v12, vcc, v13, v12, vcc
	global_store_dword v[11:12], v38, off
	s_and_saveexec_b64 s[24:25], s[0:1]
	s_cbranch_execz .LBB198_58
; %bb.57:                               ;   in Loop: Header=BB198_5 Depth=1
	v_mul_f32_e32 v11, v6, v22
	v_mul_f32_e64 v12, v22, -v5
	v_mul_f32_e64 v13, v24, -v8
	v_mul_f32_e32 v14, v7, v24
	v_fma_f32 v11, -v5, v21, v11
	v_fma_f32 v12, -v6, v21, v12
	v_fmac_f32_e32 v13, v7, v23
	v_fmac_f32_e32 v14, v8, v23
	v_add_f32_e32 v13, v11, v13
	v_add_f32_e32 v14, v12, v14
	v_mul_f32_e64 v11, v40, -v14
	v_mul_f32_e32 v12, v40, v13
	v_fmac_f32_e32 v11, v13, v4
	v_fmac_f32_e32 v12, v14, v4
	global_store_dwordx2 v[29:30], v[11:12], off
	v_mul_f32_e32 v11, v6, v32
	v_mul_f32_e64 v12, v32, -v5
	v_mul_f32_e64 v13, v34, -v8
	v_mul_f32_e32 v14, v7, v34
	v_fma_f32 v11, -v5, v31, v11
	v_fma_f32 v12, -v6, v31, v12
	v_fmac_f32_e32 v13, v7, v33
	v_fmac_f32_e32 v14, v8, v33
	v_add_f32_e32 v13, v11, v13
	v_add_f32_e32 v14, v12, v14
	v_mul_f32_e64 v11, v40, -v14
	v_mul_f32_e32 v12, v40, v13
	v_fmac_f32_e32 v11, v13, v4
	v_fmac_f32_e32 v12, v14, v4
	v_mul_f32_e32 v13, v7, v10
	global_store_dwordx2 v[19:20], v[11:12], off
	v_mul_f32_e64 v12, v10, -v8
	v_fmac_f32_e32 v13, v8, v9
	v_fmac_f32_e32 v12, v7, v9
	v_mul_f32_e64 v11, v40, -v13
	v_fmac_f32_e32 v11, v12, v4
	v_mul_f32_e32 v12, v40, v12
	v_fmac_f32_e32 v12, v13, v4
	v_mov_b32_e32 v14, s15
	v_add_co_u32_e32 v13, vcc, s14, v27
	v_addc_co_u32_e32 v14, vcc, v14, v28, vcc
	global_store_dwordx2 v[13:14], v[11:12], off
	v_lshlrev_b64 v[11:12], 2, v[25:26]
	v_mov_b32_e32 v13, s7
	v_add_co_u32_e32 v11, vcc, s6, v11
	v_addc_co_u32_e32 v12, vcc, v13, v12, vcc
	global_store_dword v[11:12], v38, off
.LBB198_58:                             ;   in Loop: Header=BB198_5 Depth=1
	s_or_b64 exec, exec, s[24:25]
	v_mov_b32_e32 v12, 0
	v_mov_b32_e32 v11, 0
	s_and_saveexec_b64 s[24:25], s[2:3]
	s_cbranch_execz .LBB198_60
; %bb.59:                               ;   in Loop: Header=BB198_5 Depth=1
	v_add_u32_e32 v11, v36, v3
	v_ashrrev_i32_e32 v12, 31, v11
	v_lshlrev_b64 v[11:12], 3, v[11:12]
	v_mov_b32_e32 v14, s11
	v_add_co_u32_e32 v13, vcc, s10, v11
	v_addc_co_u32_e32 v14, vcc, v14, v12, vcc
	v_mov_b32_e32 v19, s19
	v_add_co_u32_e32 v11, vcc, s18, v11
	v_addc_co_u32_e32 v12, vcc, v19, v12, vcc
	global_load_dwordx2 v[15:16], v[13:14], off
	v_mul_f32_e32 v19, v6, v18
	global_load_dwordx2 v[11:12], v[11:12], off
	v_mul_f32_e64 v20, v18, -v5
	v_mul_f32_e64 v25, v18, -v8
	v_mul_f32_e32 v26, v7, v18
	v_mul_f32_e64 v27, v8, -v18
	v_mul_f32_e32 v28, v8, v17
	v_fma_f32 v5, -v5, v17, v19
	v_fma_f32 v6, -v6, v17, v20
	v_fmac_f32_e32 v25, v7, v17
	v_fmac_f32_e32 v26, v8, v17
	;; [unrolled: 1-line block ×4, first 2 shown]
	v_mul_f32_e64 v7, v40, -v6
	v_mul_f32_e32 v8, v40, v5
	v_mul_f32_e64 v17, v40, -v26
	v_mul_f32_e32 v18, v40, v25
	;; [unrolled: 2-line block ×3, first 2 shown]
	v_fmac_f32_e32 v7, v5, v4
	v_fmac_f32_e32 v8, v6, v4
	;; [unrolled: 1-line block ×6, first 2 shown]
	v_mul_f32_e32 v5, v8, v22
	v_mul_f32_e64 v6, v22, -v7
	v_mul_f32_e64 v9, v24, -v18
	v_mul_f32_e32 v20, v17, v24
	v_mul_f32_e64 v22, v40, -v10
	v_mul_f32_e32 v24, v40, v19
	v_fma_f32 v5, -v7, v21, v5
	v_fma_f32 v6, -v8, v21, v6
	v_fmac_f32_e32 v9, v17, v23
	v_fmac_f32_e32 v20, v18, v23
	;; [unrolled: 1-line block ×4, first 2 shown]
	v_sub_f32_e32 v4, v5, v9
	v_sub_f32_e32 v5, v6, v20
	s_waitcnt vmcnt(1)
	v_add_f32_e32 v4, v4, v15
	v_add_f32_e32 v5, v5, v16
	s_waitcnt vmcnt(0)
	v_sub_f32_e32 v11, v11, v22
	v_sub_f32_e32 v12, v12, v24
	global_store_dwordx2 v[13:14], v[4:5], off
.LBB198_60:                             ;   in Loop: Header=BB198_5 Depth=1
	s_or_b64 exec, exec, s[24:25]
	v_mov_b32_e32 v8, v12
	v_mov_b32_e32 v7, v11
                                        ; implicit-def: $vgpr13_vgpr14
                                        ; implicit-def: $vgpr5
                                        ; implicit-def: $vgpr19
                                        ; implicit-def: $vgpr24
                                        ; implicit-def: $vgpr25
                                        ; implicit-def: $vgpr11_vgpr12
                                        ; implicit-def: $vgpr15_vgpr16
.LBB198_61:                             ;   in Loop: Header=BB198_5 Depth=1
	s_or_saveexec_b64 s[2:3], s[4:5]
	v_mov_b32_e32 v4, s31
	s_xor_b64 exec, exec, s[2:3]
	s_cbranch_execz .LBB198_4
; %bb.62:                               ;   in Loop: Header=BB198_5 Depth=1
	v_ashrrev_i32_e32 v4, 31, v3
	v_lshlrev_b64 v[9:10], 3, v[3:4]
	v_mov_b32_e32 v4, s13
	v_add_co_u32_e32 v17, vcc, s12, v15
	v_addc_co_u32_e32 v18, vcc, v4, v16, vcc
	v_add_co_u32_e32 v26, vcc, v1, v9
	v_addc_co_u32_e32 v27, vcc, v2, v10, vcc
	global_load_dwordx2 v[21:22], v[17:18], off
	global_load_dwordx2 v[9:10], v[26:27], off
	v_mul_f32_e32 v4, v8, v8
	v_fmac_f32_e32 v4, v7, v7
	v_div_scale_f32 v23, s[4:5], v4, v4, 1.0
	v_div_scale_f32 v28, vcc, 1.0, v4, 1.0
	v_rcp_f32_e32 v29, v23
	v_fma_f32 v30, -v23, v29, 1.0
	v_fmac_f32_e32 v29, v30, v29
	v_mul_f32_e32 v30, v28, v29
	v_fma_f32 v31, -v23, v30, v28
	v_fmac_f32_e32 v30, v31, v29
	v_fma_f32 v23, -v23, v30, v28
	v_div_fmas_f32 v23, v23, v29, v30
	v_fma_f32 v28, 0, v8, v7
	v_fma_f32 v29, v7, 0, -v8
	v_mov_b32_e32 v30, s15
	v_lshlrev_b64 v[7:8], 2, v[11:12]
	v_add_co_u32_e32 v11, vcc, s14, v15
	v_addc_co_u32_e32 v12, vcc, v30, v16, vcc
	v_add_co_u32_e32 v15, vcc, s6, v7
	v_mov_b32_e32 v31, s7
	v_addc_co_u32_e32 v16, vcc, v31, v8, vcc
	v_div_fixup_f32 v7, v23, v4, 1.0
	v_mul_f32_e32 v4, v28, v7
	v_mul_f32_e32 v7, v29, v7
	v_mul_f32_e64 v28, v7, -v14
	v_mul_f32_e32 v29, v7, v13
	v_fmac_f32_e32 v28, v13, v4
	v_fmac_f32_e32 v29, v14, v4
	global_store_dwordx2 v[11:12], v[28:29], off
	s_waitcnt vmcnt(2)
	v_mul_f32_e64 v11, v7, -v22
	v_mul_f32_e32 v12, v7, v21
	s_waitcnt vmcnt(1)
	v_mul_f32_e64 v13, v7, -v10
	v_mul_f32_e32 v14, v7, v9
	v_fmac_f32_e32 v11, v21, v4
	v_fmac_f32_e32 v12, v22, v4
	;; [unrolled: 1-line block ×4, first 2 shown]
	global_store_dwordx2 v[17:18], v[11:12], off
	global_store_dwordx2 v[26:27], v[13:14], off
	global_store_dword v[15:16], v39, off
	s_and_saveexec_b64 s[4:5], s[0:1]
	s_cbranch_execz .LBB198_3
; %bb.63:                               ;   in Loop: Header=BB198_5 Depth=1
	v_add_u32_e32 v11, v35, v3
	v_ashrrev_i32_e32 v12, 31, v11
	v_lshlrev_b64 v[11:12], 3, v[11:12]
	v_mov_b32_e32 v8, s11
	v_add_co_u32_e32 v11, vcc, s10, v11
	v_addc_co_u32_e32 v12, vcc, v8, v12, vcc
	global_load_dwordx2 v[13:14], v[11:12], off
	v_mul_f32_e32 v8, v7, v5
	v_mul_f32_e64 v15, v7, -v6
	v_fmac_f32_e32 v8, v6, v4
	v_fmac_f32_e32 v15, v5, v4
	v_mul_f32_e32 v5, v8, v10
	v_mul_f32_e64 v6, v10, -v15
	v_fma_f32 v5, -v15, v9, v5
	v_fma_f32 v6, -v8, v9, v6
	s_waitcnt vmcnt(0)
	v_add_f32_e32 v5, v5, v13
	v_add_f32_e32 v6, v6, v14
	global_store_dwordx2 v[11:12], v[5:6], off
	s_branch .LBB198_3
.LBB198_64:
	s_or_b64 exec, exec, s[20:21]
.LBB198_65:
	v_subrev_u32_e32 v5, s28, v3
	v_add_u32_e32 v3, v5, v0
	v_ashrrev_i32_e32 v4, 31, v3
	v_lshlrev_b64 v[3:4], 2, v[3:4]
	s_waitcnt lgkmcnt(0)
	v_mov_b32_e32 v6, s7
	v_add_co_u32_e32 v3, vcc, s6, v3
	v_addc_co_u32_e32 v4, vcc, v6, v4, vcc
	s_waitcnt vmcnt(0)
	buffer_wbinvl1_vol
	global_load_dword v3, v[3:4], off
	s_waitcnt vmcnt(0)
	v_mul_lo_u32 v3, v3, s28
	v_sub_u32_e32 v3, v5, v3
	v_cmp_lt_i32_e32 vcc, -1, v3
	s_and_b64 exec, exec, vcc
	s_cbranch_execz .LBB198_72
; %bb.66:
	v_subrev_u32_e32 v11, s28, v0
	s_lshl_b32 s4, s28, 1
	s_mov_b64 s[0:1], 0
	v_mov_b32_e32 v12, s7
	v_mov_b32_e32 v13, s15
	s_branch .LBB198_68
.LBB198_67:                             ;   in Loop: Header=BB198_68 Depth=1
	s_or_b64 exec, exec, s[2:3]
	s_waitcnt vmcnt(0)
	v_lshlrev_b64 v[5:6], 3, v[7:8]
	v_mov_b32_e32 v7, s13
	v_add_co_u32_e32 v5, vcc, s12, v5
	v_addc_co_u32_e32 v6, vcc, v7, v6, vcc
	global_load_dwordx2 v[7:8], v[5:6], off
	v_sub_u32_e32 v3, v3, v9
	v_cmp_gt_i32_e32 vcc, 0, v3
	s_or_b64 s[0:1], vcc, s[0:1]
	s_waitcnt vmcnt(0)
	v_add_f32_e32 v7, v7, v4
	v_add_f32_e32 v8, v14, v8
	global_store_dwordx2 v[5:6], v[7:8], off
	s_andn2_b64 exec, exec, s[0:1]
	s_cbranch_execz .LBB198_72
.LBB198_68:                             ; =>This Inner Loop Header: Depth=1
	v_add_u32_e32 v7, v3, v0
	v_ashrrev_i32_e32 v8, 31, v7
	v_lshlrev_b64 v[4:5], 2, v[7:8]
	v_lshlrev_b64 v[9:10], 3, v[7:8]
	v_add_co_u32_e32 v4, vcc, s6, v4
	v_addc_co_u32_e32 v5, vcc, v12, v5, vcc
	global_load_dword v14, v[4:5], off
	v_add_co_u32_e32 v4, vcc, s14, v9
	v_addc_co_u32_e32 v5, vcc, v13, v10, vcc
	global_load_dwordx2 v[5:6], v[4:5], off
                                        ; implicit-def: $vgpr4
	s_waitcnt vmcnt(1)
	v_cmp_ne_u32_e32 vcc, 1, v14
                                        ; implicit-def: $vgpr14
	s_and_saveexec_b64 s[2:3], vcc
	s_xor_b64 s[2:3], exec, s[2:3]
	s_cbranch_execz .LBB198_70
; %bb.69:                               ;   in Loop: Header=BB198_68 Depth=1
	v_add_u32_e32 v7, v35, v3
	v_ashrrev_i32_e32 v8, 31, v7
	v_lshlrev_b64 v[7:8], 3, v[7:8]
	v_mov_b32_e32 v4, s11
	v_add_co_u32_e32 v14, vcc, s10, v7
	v_addc_co_u32_e32 v15, vcc, v4, v8, vcc
	v_ashrrev_i32_e32 v4, 31, v3
	v_lshlrev_b64 v[18:19], 3, v[3:4]
	v_mov_b32_e32 v4, s13
	v_add_co_u32_e32 v20, vcc, s12, v7
	v_addc_co_u32_e32 v21, vcc, v4, v8, vcc
	global_load_dwordx2 v[16:17], v[14:15], off
	v_add_co_u32_e32 v18, vcc, v1, v18
	global_load_dwordx2 v[22:23], v[20:21], off
	v_addc_co_u32_e32 v19, vcc, v2, v19, vcc
	global_load_dwordx2 v[24:25], v[18:19], off
	v_add_co_u32_e32 v9, vcc, s12, v9
	v_addc_co_u32_e32 v10, vcc, v4, v10, vcc
	global_load_dwordx2 v[26:27], v[9:10], off
	v_add_u32_e32 v7, v11, v3
	v_ashrrev_i32_e32 v8, 31, v7
	v_lshlrev_b64 v[28:29], 3, v[7:8]
	v_mov_b32_e32 v4, s15
	v_add_co_u32_e32 v30, vcc, s14, v28
	v_addc_co_u32_e32 v31, vcc, v4, v29, vcc
	v_mov_b32_e32 v32, s11
	global_load_dwordx2 v[30:31], v[30:31], off
	s_waitcnt vmcnt(4)
	v_mul_f32_e32 v4, v6, v17
	v_mul_f32_e64 v17, v17, -v5
	v_fma_f32 v4, -v5, v16, v4
	s_waitcnt vmcnt(3)
	v_mul_f32_e32 v33, v6, v23
	v_fma_f32 v16, -v6, v16, v17
	v_mul_f32_e64 v23, v23, -v5
	v_fma_f32 v17, -v5, v22, v33
	s_waitcnt vmcnt(2)
	v_add_f32_e32 v4, v24, v4
	v_add_f32_e32 v5, v16, v25
	v_fma_f32 v6, -v6, v22, v23
	global_store_dwordx2 v[18:19], v[4:5], off
	s_waitcnt vmcnt(2)
	v_add_f32_e32 v16, v26, v17
	v_add_f32_e32 v17, v6, v27
	global_load_dwordx2 v[4:5], v[14:15], off
	v_add_co_u32_e32 v14, vcc, s10, v28
	global_store_dwordx2 v[9:10], v[16:17], off
	v_addc_co_u32_e32 v15, vcc, v32, v29, vcc
	global_load_dwordx2 v[9:10], v[20:21], off
	global_load_dwordx2 v[16:17], v[14:15], off
	s_waitcnt vmcnt(3)
	v_mul_f32_e32 v6, v31, v5
	v_mul_f32_e64 v5, v5, -v30
	v_fma_f32 v6, -v30, v4, v6
	v_fma_f32 v19, -v31, v4, v5
	s_waitcnt vmcnt(1)
	v_mul_f32_e32 v18, v31, v10
	v_mul_f32_e64 v10, v10, -v30
	s_waitcnt vmcnt(0)
	v_add_f32_e32 v5, v16, v6
	v_add_f32_e32 v6, v19, v17
	v_fma_f32 v4, -v30, v9, v18
	global_store_dwordx2 v[14:15], v[5:6], off
	v_fma_f32 v14, -v31, v9, v10
                                        ; implicit-def: $vgpr5_vgpr6
.LBB198_70:                             ;   in Loop: Header=BB198_68 Depth=1
	s_or_saveexec_b64 s[2:3], s[2:3]
	v_mov_b32_e32 v9, s4
	s_xor_b64 exec, exec, s[2:3]
	s_cbranch_execz .LBB198_67
; %bb.71:                               ;   in Loop: Header=BB198_68 Depth=1
	v_add_u32_e32 v9, v35, v3
	v_ashrrev_i32_e32 v10, 31, v9
	v_lshlrev_b64 v[9:10], 3, v[9:10]
	v_mov_b32_e32 v4, s11
	v_add_co_u32_e32 v14, vcc, s10, v9
	v_addc_co_u32_e32 v15, vcc, v4, v10, vcc
	v_ashrrev_i32_e32 v4, 31, v3
	v_mov_b32_e32 v16, s13
	v_add_co_u32_e32 v9, vcc, s12, v9
	v_addc_co_u32_e32 v10, vcc, v16, v10, vcc
	v_lshlrev_b64 v[16:17], 3, v[3:4]
	global_load_dwordx2 v[14:15], v[14:15], off
	v_add_co_u32_e32 v16, vcc, v1, v16
	global_load_dwordx2 v[9:10], v[9:10], off
	v_addc_co_u32_e32 v17, vcc, v2, v17, vcc
	global_load_dwordx2 v[18:19], v[16:17], off
	s_waitcnt vmcnt(2)
	v_mul_f32_e32 v4, v6, v15
	v_mul_f32_e64 v15, v15, -v5
	v_fma_f32 v21, -v5, v14, v4
	s_waitcnt vmcnt(1)
	v_mul_f32_e32 v20, v6, v10
	v_mul_f32_e64 v10, v10, -v5
	v_fma_f32 v15, -v6, v14, v15
	v_fma_f32 v4, -v5, v9, v20
	;; [unrolled: 1-line block ×3, first 2 shown]
	s_waitcnt vmcnt(0)
	v_add_f32_e32 v5, v18, v21
	v_add_f32_e32 v6, v15, v19
	v_mov_b32_e32 v9, s28
	global_store_dwordx2 v[16:17], v[5:6], off
	s_branch .LBB198_67
.LBB198_72:
	s_endpgm
	.section	.rodata,"a",@progbits
	.p2align	6, 0x0
	.amdhsa_kernel _ZN9rocsparseL18gtsv_LBM_wv_kernelILj256ELj4E21rocsparse_complex_numIfEEEviiiPKT1_S5_S5_PS3_S6_S6_Pi
		.amdhsa_group_segment_fixed_size 0
		.amdhsa_private_segment_fixed_size 0
		.amdhsa_kernarg_size 72
		.amdhsa_user_sgpr_count 6
		.amdhsa_user_sgpr_private_segment_buffer 1
		.amdhsa_user_sgpr_dispatch_ptr 0
		.amdhsa_user_sgpr_queue_ptr 0
		.amdhsa_user_sgpr_kernarg_segment_ptr 1
		.amdhsa_user_sgpr_dispatch_id 0
		.amdhsa_user_sgpr_flat_scratch_init 0
		.amdhsa_user_sgpr_private_segment_size 0
		.amdhsa_uses_dynamic_stack 0
		.amdhsa_system_sgpr_private_segment_wavefront_offset 0
		.amdhsa_system_sgpr_workgroup_id_x 1
		.amdhsa_system_sgpr_workgroup_id_y 0
		.amdhsa_system_sgpr_workgroup_id_z 0
		.amdhsa_system_sgpr_workgroup_info 0
		.amdhsa_system_vgpr_workitem_id 0
		.amdhsa_next_free_vgpr 47
		.amdhsa_next_free_sgpr 34
		.amdhsa_reserve_vcc 1
		.amdhsa_reserve_flat_scratch 0
		.amdhsa_float_round_mode_32 0
		.amdhsa_float_round_mode_16_64 0
		.amdhsa_float_denorm_mode_32 3
		.amdhsa_float_denorm_mode_16_64 3
		.amdhsa_dx10_clamp 1
		.amdhsa_ieee_mode 1
		.amdhsa_fp16_overflow 0
		.amdhsa_exception_fp_ieee_invalid_op 0
		.amdhsa_exception_fp_denorm_src 0
		.amdhsa_exception_fp_ieee_div_zero 0
		.amdhsa_exception_fp_ieee_overflow 0
		.amdhsa_exception_fp_ieee_underflow 0
		.amdhsa_exception_fp_ieee_inexact 0
		.amdhsa_exception_int_div_zero 0
	.end_amdhsa_kernel
	.section	.text._ZN9rocsparseL18gtsv_LBM_wv_kernelILj256ELj4E21rocsparse_complex_numIfEEEviiiPKT1_S5_S5_PS3_S6_S6_Pi,"axG",@progbits,_ZN9rocsparseL18gtsv_LBM_wv_kernelILj256ELj4E21rocsparse_complex_numIfEEEviiiPKT1_S5_S5_PS3_S6_S6_Pi,comdat
.Lfunc_end198:
	.size	_ZN9rocsparseL18gtsv_LBM_wv_kernelILj256ELj4E21rocsparse_complex_numIfEEEviiiPKT1_S5_S5_PS3_S6_S6_Pi, .Lfunc_end198-_ZN9rocsparseL18gtsv_LBM_wv_kernelILj256ELj4E21rocsparse_complex_numIfEEEviiiPKT1_S5_S5_PS3_S6_S6_Pi
                                        ; -- End function
	.set _ZN9rocsparseL18gtsv_LBM_wv_kernelILj256ELj4E21rocsparse_complex_numIfEEEviiiPKT1_S5_S5_PS3_S6_S6_Pi.num_vgpr, 47
	.set _ZN9rocsparseL18gtsv_LBM_wv_kernelILj256ELj4E21rocsparse_complex_numIfEEEviiiPKT1_S5_S5_PS3_S6_S6_Pi.num_agpr, 0
	.set _ZN9rocsparseL18gtsv_LBM_wv_kernelILj256ELj4E21rocsparse_complex_numIfEEEviiiPKT1_S5_S5_PS3_S6_S6_Pi.numbered_sgpr, 34
	.set _ZN9rocsparseL18gtsv_LBM_wv_kernelILj256ELj4E21rocsparse_complex_numIfEEEviiiPKT1_S5_S5_PS3_S6_S6_Pi.num_named_barrier, 0
	.set _ZN9rocsparseL18gtsv_LBM_wv_kernelILj256ELj4E21rocsparse_complex_numIfEEEviiiPKT1_S5_S5_PS3_S6_S6_Pi.private_seg_size, 0
	.set _ZN9rocsparseL18gtsv_LBM_wv_kernelILj256ELj4E21rocsparse_complex_numIfEEEviiiPKT1_S5_S5_PS3_S6_S6_Pi.uses_vcc, 1
	.set _ZN9rocsparseL18gtsv_LBM_wv_kernelILj256ELj4E21rocsparse_complex_numIfEEEviiiPKT1_S5_S5_PS3_S6_S6_Pi.uses_flat_scratch, 0
	.set _ZN9rocsparseL18gtsv_LBM_wv_kernelILj256ELj4E21rocsparse_complex_numIfEEEviiiPKT1_S5_S5_PS3_S6_S6_Pi.has_dyn_sized_stack, 0
	.set _ZN9rocsparseL18gtsv_LBM_wv_kernelILj256ELj4E21rocsparse_complex_numIfEEEviiiPKT1_S5_S5_PS3_S6_S6_Pi.has_recursion, 0
	.set _ZN9rocsparseL18gtsv_LBM_wv_kernelILj256ELj4E21rocsparse_complex_numIfEEEviiiPKT1_S5_S5_PS3_S6_S6_Pi.has_indirect_call, 0
	.section	.AMDGPU.csdata,"",@progbits
; Kernel info:
; codeLenInByte = 6084
; TotalNumSgprs: 38
; NumVgprs: 47
; ScratchSize: 0
; MemoryBound: 0
; FloatMode: 240
; IeeeMode: 1
; LDSByteSize: 0 bytes/workgroup (compile time only)
; SGPRBlocks: 4
; VGPRBlocks: 11
; NumSGPRsForWavesPerEU: 38
; NumVGPRsForWavesPerEU: 47
; Occupancy: 5
; WaveLimiterHint : 0
; COMPUTE_PGM_RSRC2:SCRATCH_EN: 0
; COMPUTE_PGM_RSRC2:USER_SGPR: 6
; COMPUTE_PGM_RSRC2:TRAP_HANDLER: 0
; COMPUTE_PGM_RSRC2:TGID_X_EN: 1
; COMPUTE_PGM_RSRC2:TGID_Y_EN: 0
; COMPUTE_PGM_RSRC2:TGID_Z_EN: 0
; COMPUTE_PGM_RSRC2:TIDIG_COMP_CNT: 0
	.section	.text._ZN9rocsparseL19gtsv_LBM_rhs_kernelILj256ELj4ELj8E21rocsparse_complex_numIfEEEviiiPKT2_S5_S5_PS3_S5_PKi,"axG",@progbits,_ZN9rocsparseL19gtsv_LBM_rhs_kernelILj256ELj4ELj8E21rocsparse_complex_numIfEEEviiiPKT2_S5_S5_PS3_S5_PKi,comdat
	.globl	_ZN9rocsparseL19gtsv_LBM_rhs_kernelILj256ELj4ELj8E21rocsparse_complex_numIfEEEviiiPKT2_S5_S5_PS3_S5_PKi ; -- Begin function _ZN9rocsparseL19gtsv_LBM_rhs_kernelILj256ELj4ELj8E21rocsparse_complex_numIfEEEviiiPKT2_S5_S5_PS3_S5_PKi
	.p2align	8
	.type	_ZN9rocsparseL19gtsv_LBM_rhs_kernelILj256ELj4ELj8E21rocsparse_complex_numIfEEEviiiPKT2_S5_S5_PS3_S5_PKi,@function
_ZN9rocsparseL19gtsv_LBM_rhs_kernelILj256ELj4ELj8E21rocsparse_complex_numIfEEEviiiPKT2_S5_S5_PS3_S5_PKi: ; @_ZN9rocsparseL19gtsv_LBM_rhs_kernelILj256ELj4ELj8E21rocsparse_complex_numIfEEEviiiPKT2_S5_S5_PS3_S5_PKi
; %bb.0:
	s_load_dword s23, s[4:5], 0x0
	v_lshl_or_b32 v0, s6, 8, v0
	s_waitcnt lgkmcnt(0)
	s_lshr_b32 s22, s23, 2
	v_cmp_gt_i32_e32 vcc, s22, v0
	s_and_saveexec_b64 s[0:1], vcc
	s_cbranch_execz .LBB199_29
; %bb.1:
	s_load_dwordx4 s[8:11], s[4:5], 0x28
	s_load_dwordx2 s[16:17], s[4:5], 0x38
	s_cmp_lt_i32 s23, 1
	v_add_u32_e32 v25, s22, v0
	s_mul_i32 s24, s7, s23
	s_cbranch_scc1 .LBB199_21
; %bb.2:
	s_load_dwordx4 s[12:15], s[4:5], 0x10
	s_load_dwordx2 s[6:7], s[4:5], 0x20
	v_ashrrev_i32_e32 v1, 31, v0
	v_lshlrev_b64 v[1:2], 3, v[0:1]
	s_lshl_b32 s27, s24, 3
	s_waitcnt lgkmcnt(0)
	v_mov_b32_e32 v3, s15
	v_add_co_u32_e32 v1, vcc, s14, v1
	v_addc_co_u32_e32 v2, vcc, v3, v2, vcc
	global_load_dwordx2 v[3:4], v[1:2], off
	s_add_i32 s28, s27, s23
	s_add_i32 s29, s28, s23
	;; [unrolled: 1-line block ×6, first 2 shown]
	s_mul_i32 s25, s22, 3
	s_lshl_b32 s26, s22, 1
	v_add_u32_e32 v26, s22, v25
	s_add_i32 s35, s34, s23
	v_mov_b32_e32 v2, 0
	s_mov_b64 s[18:19], 0
	v_mov_b32_e32 v28, s7
	v_mov_b32_e32 v27, 0
	s_branch .LBB199_5
.LBB199_3:                              ;   in Loop: Header=BB199_5 Depth=1
	s_or_b64 exec, exec, s[4:5]
	v_fmac_f32_e32 v30, v5, v7
	v_fmac_f32_e32 v29, v6, v7
	v_mul_f32_e64 v1, v31, -v29
	v_mul_f32_e32 v4, v31, v30
	v_fmac_f32_e32 v1, v30, v8
	v_fmac_f32_e32 v4, v29, v8
	v_sub_f32_e32 v3, v9, v1
	v_sub_f32_e32 v4, v10, v4
	v_mov_b32_e32 v8, s22
.LBB199_4:                              ;   in Loop: Header=BB199_5 Depth=1
	s_or_b64 exec, exec, s[2:3]
	v_add_u32_e32 v27, v8, v27
	v_cmp_le_i32_e32 vcc, s23, v27
	s_or_b64 s[18:19], vcc, s[18:19]
	s_andn2_b64 exec, exec, s[18:19]
	s_cbranch_execz .LBB199_20
.LBB199_5:                              ; =>This Inner Loop Header: Depth=1
	v_add_u32_e32 v15, v27, v0
	v_ashrrev_i32_e32 v16, 31, v15
	v_lshlrev_b64 v[5:6], 3, v[15:16]
	v_cmp_gt_u32_e64 s[0:1], s25, v27
	v_add_co_u32_e32 v5, vcc, s6, v5
	v_addc_co_u32_e32 v6, vcc, v28, v6, vcc
	global_load_dwordx2 v[7:8], v[5:6], off
	v_mov_b32_e32 v5, 0
	v_mov_b32_e32 v6, 0
	s_and_saveexec_b64 s[2:3], s[0:1]
	s_cbranch_execz .LBB199_7
; %bb.6:                                ;   in Loop: Header=BB199_5 Depth=1
	v_add_u32_e32 v5, v25, v27
	v_ashrrev_i32_e32 v6, 31, v5
	v_lshlrev_b64 v[5:6], 3, v[5:6]
	v_mov_b32_e32 v1, s13
	v_add_co_u32_e32 v5, vcc, s12, v5
	v_addc_co_u32_e32 v6, vcc, v1, v6, vcc
	global_load_dwordx2 v[5:6], v[5:6], off
.LBB199_7:                              ;   in Loop: Header=BB199_5 Depth=1
	s_or_b64 exec, exec, s[2:3]
	v_mov_b32_e32 v11, 0
	v_mov_b32_e32 v9, 0
	;; [unrolled: 1-line block ×3, first 2 shown]
	s_and_saveexec_b64 s[2:3], s[0:1]
	s_cbranch_execz .LBB199_9
; %bb.8:                                ;   in Loop: Header=BB199_5 Depth=1
	v_add_u32_e32 v9, v25, v27
	v_ashrrev_i32_e32 v10, 31, v9
	v_lshlrev_b64 v[9:10], 3, v[9:10]
	v_mov_b32_e32 v1, s15
	v_add_co_u32_e32 v9, vcc, s14, v9
	v_addc_co_u32_e32 v10, vcc, v1, v10, vcc
	global_load_dwordx2 v[9:10], v[9:10], off
.LBB199_9:                              ;   in Loop: Header=BB199_5 Depth=1
	s_or_b64 exec, exec, s[2:3]
	v_mov_b32_e32 v12, 0
	s_and_saveexec_b64 s[2:3], s[0:1]
	s_cbranch_execz .LBB199_11
; %bb.10:                               ;   in Loop: Header=BB199_5 Depth=1
	v_add_u32_e32 v11, v25, v27
	v_ashrrev_i32_e32 v12, 31, v11
	v_lshlrev_b64 v[11:12], 3, v[11:12]
	v_mov_b32_e32 v1, s7
	v_add_co_u32_e32 v11, vcc, s6, v11
	v_addc_co_u32_e32 v12, vcc, v1, v12, vcc
	global_load_dwordx2 v[11:12], v[11:12], off
.LBB199_11:                             ;   in Loop: Header=BB199_5 Depth=1
	s_or_b64 exec, exec, s[2:3]
	v_cmp_gt_u32_e64 s[2:3], s26, v27
	v_mov_b32_e32 v13, 0
	v_mov_b32_e32 v14, 0
	s_and_saveexec_b64 s[4:5], s[2:3]
	s_cbranch_execz .LBB199_13
; %bb.12:                               ;   in Loop: Header=BB199_5 Depth=1
	v_add_u32_e32 v13, v26, v27
	v_ashrrev_i32_e32 v14, 31, v13
	v_lshlrev_b64 v[13:14], 3, v[13:14]
	v_mov_b32_e32 v1, s13
	v_add_co_u32_e32 v13, vcc, s12, v13
	v_addc_co_u32_e32 v14, vcc, v1, v14, vcc
	global_load_dwordx2 v[13:14], v[13:14], off
.LBB199_13:                             ;   in Loop: Header=BB199_5 Depth=1
	s_or_b64 exec, exec, s[4:5]
	v_lshlrev_b64 v[16:17], 2, v[15:16]
	v_mov_b32_e32 v1, s17
	v_add_co_u32_e32 v16, vcc, s16, v16
	v_addc_co_u32_e32 v17, vcc, v1, v17, vcc
	global_load_dword v20, v[16:17], off
	v_cmp_ne_u32_e32 vcc, s25, v27
	s_waitcnt vmcnt(1)
	v_mul_f32_e64 v30, v8, -v6
	v_mul_f32_e32 v29, v5, v8
	v_add_u32_e32 v1, s27, v15
	v_add_u32_e32 v23, s28, v15
	;; [unrolled: 1-line block ×8, first 2 shown]
	s_waitcnt vmcnt(0)
	v_cmp_ne_u32_e64 s[4:5], 1, v20
	s_and_b64 s[4:5], vcc, s[4:5]
	s_and_saveexec_b64 s[20:21], s[4:5]
	s_xor_b64 s[4:5], exec, s[20:21]
	s_cbranch_execz .LBB199_17
; %bb.14:                               ;   in Loop: Header=BB199_5 Depth=1
	v_mul_f32_e32 v22, v3, v10
	v_mul_f32_e64 v20, v10, -v4
	v_fmac_f32_e32 v22, v4, v9
	v_fmac_f32_e32 v29, v6, v7
	;; [unrolled: 1-line block ×4, first 2 shown]
	v_sub_f32_e32 v33, v22, v29
	v_sub_f32_e32 v20, v20, v30
	v_mul_f32_e32 v35, v33, v33
	v_fmac_f32_e32 v35, v20, v20
	v_div_scale_f32 v31, s[20:21], v35, v35, 1.0
	v_div_scale_f32 v32, vcc, 1.0, v35, 1.0
	v_lshlrev_b64 v[29:30], 3, v[1:2]
	v_mov_b32_e32 v24, v2
	v_mov_b32_e32 v1, s9
	v_lshlrev_b64 v[23:24], 3, v[23:24]
	v_mov_b32_e32 v36, s9
	v_mov_b32_e32 v22, v2
	;; [unrolled: 1-line block ×3, first 2 shown]
	v_rcp_f32_e32 v34, v31
	v_fma_f32 v37, -v31, v34, 1.0
	v_fmac_f32_e32 v34, v37, v34
	v_mul_f32_e32 v37, v32, v34
	v_fma_f32 v38, -v31, v37, v32
	v_fmac_f32_e32 v37, v38, v34
	v_fma_f32 v31, -v31, v37, v32
	v_div_fmas_f32 v39, v31, v34, v37
	v_add_co_u32_e32 v29, vcc, s8, v29
	v_addc_co_u32_e32 v30, vcc, v1, v30, vcc
	v_add_co_u32_e32 v23, vcc, s8, v23
	v_fma_f32 v1, 0, v33, v20
	v_fma_f32 v20, v20, 0, -v33
	v_addc_co_u32_e32 v24, vcc, v36, v24, vcc
	global_load_dwordx2 v[33:34], v[29:30], off
	global_load_dwordx2 v[37:38], v[23:24], off
	v_lshlrev_b64 v[31:32], 3, v[21:22]
	v_add_co_u32_e32 v31, vcc, s8, v31
	v_div_fixup_f32 v22, v39, v35, 1.0
	v_mul_f32_e32 v21, v1, v22
	v_mul_f32_e32 v22, v20, v22
	v_mov_b32_e32 v20, v2
	v_lshlrev_b64 v[19:20], 3, v[19:20]
	v_addc_co_u32_e32 v32, vcc, v40, v32, vcc
	v_add_co_u32_e32 v42, vcc, s8, v19
	v_mov_b32_e32 v19, v2
	v_mov_b32_e32 v1, s9
	v_lshlrev_b64 v[18:19], 3, v[18:19]
	v_addc_co_u32_e32 v43, vcc, v1, v20, vcc
	v_add_co_u32_e32 v53, vcc, s8, v18
	v_add_u32_e32 v39, v25, v27
	v_addc_co_u32_e32 v54, vcc, v1, v19, vcc
	v_add_u32_e32 v1, s27, v39
	v_lshlrev_b64 v[19:20], 3, v[1:2]
	v_mov_b32_e32 v18, v2
	v_mov_b32_e32 v1, s9
	v_add_co_u32_e32 v55, vcc, s8, v19
	v_lshlrev_b64 v[17:18], 3, v[17:18]
	v_addc_co_u32_e32 v56, vcc, v1, v20, vcc
	v_add_co_u32_e32 v57, vcc, s8, v17
	v_mov_b32_e32 v17, v2
	v_lshlrev_b64 v[16:17], 3, v[16:17]
	v_addc_co_u32_e32 v58, vcc, v1, v18, vcc
	v_add_co_u32_e32 v59, vcc, s8, v16
	v_addc_co_u32_e32 v60, vcc, v1, v17, vcc
	v_add_u32_e32 v1, s28, v39
	v_lshlrev_b64 v[17:18], 3, v[1:2]
	v_mov_b32_e32 v16, v2
	v_lshlrev_b64 v[15:16], 3, v[15:16]
	v_mov_b32_e32 v1, s9
	v_add_co_u32_e32 v61, vcc, s8, v17
	v_addc_co_u32_e32 v62, vcc, v1, v18, vcc
	v_mov_b32_e32 v35, s9
	v_add_co_u32_e32 v63, vcc, s8, v15
	v_add_u32_e32 v1, s29, v39
	v_addc_co_u32_e32 v64, vcc, v35, v16, vcc
	v_lshlrev_b64 v[15:16], 3, v[1:2]
	v_mov_b32_e32 v1, s9
	v_add_co_u32_e32 v65, vcc, s8, v15
	global_load_dwordx2 v[19:20], v[55:56], off
	global_load_dwordx2 v[46:47], v[31:32], off
	;; [unrolled: 1-line block ×3, first 2 shown]
	v_addc_co_u32_e32 v66, vcc, v1, v16, vcc
	v_add_u32_e32 v1, s30, v39
	v_lshlrev_b64 v[15:16], 3, v[1:2]
	global_load_dwordx2 v[17:18], v[61:62], off
	v_mov_b32_e32 v1, s9
	v_add_co_u32_e32 v67, vcc, s8, v15
	v_addc_co_u32_e32 v68, vcc, v1, v16, vcc
	v_add_u32_e32 v1, s31, v39
	v_lshlrev_b64 v[35:36], 3, v[1:2]
	global_load_dwordx2 v[15:16], v[65:66], off
	global_load_dwordx2 v[75:76], v[67:68], off
	v_mov_b32_e32 v1, s9
	v_add_co_u32_e32 v69, vcc, s8, v35
	v_addc_co_u32_e32 v70, vcc, v1, v36, vcc
	v_add_u32_e32 v1, s33, v39
	v_lshlrev_b64 v[35:36], 3, v[1:2]
	v_mov_b32_e32 v1, s9
	v_add_co_u32_e32 v71, vcc, s8, v35
	v_addc_co_u32_e32 v72, vcc, v1, v36, vcc
	v_add_u32_e32 v1, s34, v39
	v_lshlrev_b64 v[35:36], 3, v[1:2]
	s_waitcnt vmcnt(7)
	v_mul_f32_e64 v45, v22, -v34
	v_mul_f32_e32 v48, v22, v33
	v_mov_b32_e32 v1, s9
	v_add_co_u32_e32 v77, vcc, s8, v35
	v_fmac_f32_e32 v45, v33, v21
	v_fmac_f32_e32 v48, v34, v21
	global_load_dwordx2 v[33:34], v[53:54], off
	global_load_dwordx2 v[81:82], v[69:70], off
	v_addc_co_u32_e32 v78, vcc, v1, v36, vcc
	v_add_u32_e32 v1, s35, v39
	v_lshlrev_b64 v[35:36], 3, v[1:2]
	v_mov_b32_e32 v1, s9
	v_add_co_u32_e32 v79, vcc, s8, v35
	v_addc_co_u32_e32 v80, vcc, v1, v36, vcc
	global_load_dwordx2 v[83:84], v[57:58], off
	global_load_dwordx2 v[85:86], v[59:60], off
	;; [unrolled: 1-line block ×6, first 2 shown]
	v_mul_f32_e64 v1, v48, -v10
	v_fmac_f32_e32 v1, v9, v45
	s_waitcnt vmcnt(14)
	v_mul_f32_e32 v39, v22, v37
	v_mul_f32_e64 v36, v22, -v38
	v_fmac_f32_e32 v39, v38, v21
	v_fmac_f32_e32 v36, v37, v21
	s_waitcnt vmcnt(13)
	v_mul_f32_e32 v52, v22, v19
	v_mul_f32_e64 v51, v22, -v20
	v_fmac_f32_e32 v52, v20, v21
	v_fmac_f32_e32 v51, v19, v21
	v_mul_f32_e32 v20, v9, v48
	v_mul_f32_e64 v19, v52, -v8
	v_mul_f32_e32 v35, v52, v7
	v_fmac_f32_e32 v20, v10, v45
	v_fmac_f32_e32 v19, v7, v51
	;; [unrolled: 1-line block ×3, first 2 shown]
	s_waitcnt vmcnt(10)
	v_mul_f32_e32 v41, v22, v17
	v_sub_f32_e32 v19, v1, v19
	v_sub_f32_e32 v20, v20, v35
	v_mul_f32_e64 v38, v22, -v18
	v_fmac_f32_e32 v41, v18, v21
	global_store_dwordx2 v[29:30], v[19:20], off
	v_fmac_f32_e32 v38, v17, v21
	v_mul_f32_e64 v1, v39, -v10
	v_mul_f32_e32 v18, v9, v39
	v_mul_f32_e64 v17, v41, -v8
	v_mul_f32_e32 v19, v41, v7
	v_fmac_f32_e32 v1, v9, v36
	v_fmac_f32_e32 v18, v10, v36
	;; [unrolled: 1-line block ×4, first 2 shown]
	v_mul_f32_e32 v49, v22, v46
	s_waitcnt vmcnt(10)
	v_mul_f32_e32 v50, v22, v15
	v_sub_f32_e32 v17, v1, v17
	v_sub_f32_e32 v18, v18, v19
	v_mul_f32_e64 v44, v22, -v47
	v_fmac_f32_e32 v49, v47, v21
	v_mul_f32_e64 v47, v22, -v16
	v_fmac_f32_e32 v50, v16, v21
	global_store_dwordx2 v[23:24], v[17:18], off
	v_fmac_f32_e32 v44, v46, v21
	v_fmac_f32_e32 v47, v15, v21
	v_mul_f32_e64 v1, v49, -v10
	v_mul_f32_e32 v16, v9, v49
	v_mul_f32_e64 v15, v50, -v8
	v_mul_f32_e32 v17, v50, v7
	v_fmac_f32_e32 v1, v9, v44
	v_fmac_f32_e32 v16, v10, v44
	;; [unrolled: 1-line block ×4, first 2 shown]
	v_sub_f32_e32 v15, v1, v15
	v_sub_f32_e32 v16, v16, v17
	v_mul_f32_e32 v35, v22, v73
	s_waitcnt vmcnt(10)
	v_mul_f32_e32 v37, v22, v75
	global_store_dwordx2 v[31:32], v[15:16], off
	v_mul_f32_e64 v30, v22, -v74
	v_fmac_f32_e32 v35, v74, v21
	v_mul_f32_e64 v32, v22, -v76
	v_fmac_f32_e32 v37, v76, v21
	v_fmac_f32_e32 v30, v73, v21
	;; [unrolled: 1-line block ×3, first 2 shown]
	v_mul_f32_e64 v1, v35, -v10
	v_mul_f32_e32 v16, v9, v35
	v_mul_f32_e64 v15, v37, -v8
	v_mul_f32_e32 v17, v37, v7
	v_fmac_f32_e32 v1, v9, v30
	v_fmac_f32_e32 v16, v10, v30
	;; [unrolled: 1-line block ×4, first 2 shown]
	v_sub_f32_e32 v15, v1, v15
	v_sub_f32_e32 v16, v16, v17
	global_store_dwordx2 v[42:43], v[15:16], off
	s_waitcnt vmcnt(11)
	v_mul_f32_e32 v43, v22, v33
	s_waitcnt vmcnt(10)
	v_mul_f32_e32 v46, v22, v81
	v_mul_f32_e64 v40, v22, -v34
	v_fmac_f32_e32 v43, v34, v21
	v_mul_f32_e64 v42, v22, -v82
	v_fmac_f32_e32 v46, v82, v21
	v_fmac_f32_e32 v40, v33, v21
	v_fmac_f32_e32 v42, v81, v21
	v_mul_f32_e64 v1, v43, -v10
	v_mul_f32_e32 v16, v9, v43
	v_mul_f32_e64 v15, v46, -v8
	v_mul_f32_e32 v17, v46, v7
	v_fmac_f32_e32 v1, v9, v40
	v_fmac_f32_e32 v16, v10, v40
	;; [unrolled: 1-line block ×4, first 2 shown]
	s_waitcnt vmcnt(9)
	v_mul_f32_e32 v33, v22, v83
	s_waitcnt vmcnt(6)
	v_mul_f32_e32 v34, v22, v89
	v_sub_f32_e32 v15, v1, v15
	v_sub_f32_e32 v16, v16, v17
	v_mul_f32_e64 v29, v22, -v84
	v_fmac_f32_e32 v33, v84, v21
	v_mul_f32_e64 v31, v22, -v90
	v_fmac_f32_e32 v34, v90, v21
	global_store_dwordx2 v[53:54], v[15:16], off
	v_fmac_f32_e32 v29, v83, v21
	v_fmac_f32_e32 v31, v89, v21
	v_mul_f32_e64 v1, v33, -v10
	v_mul_f32_e32 v16, v9, v33
	v_mul_f32_e64 v15, v34, -v8
	v_mul_f32_e32 v17, v34, v7
	v_fmac_f32_e32 v1, v9, v29
	v_fmac_f32_e32 v16, v10, v29
	;; [unrolled: 1-line block ×4, first 2 shown]
	v_mul_f32_e32 v23, v22, v85
	s_waitcnt vmcnt(6)
	v_mul_f32_e32 v24, v22, v91
	v_sub_f32_e32 v15, v1, v15
	v_sub_f32_e32 v16, v16, v17
	v_mul_f32_e64 v17, v22, -v86
	v_fmac_f32_e32 v23, v86, v21
	v_mul_f32_e64 v19, v22, -v92
	v_fmac_f32_e32 v24, v92, v21
	global_store_dwordx2 v[57:58], v[15:16], off
	v_fmac_f32_e32 v17, v85, v21
	v_fmac_f32_e32 v19, v91, v21
	v_mul_f32_e64 v1, v23, -v10
	v_mul_f32_e32 v16, v9, v23
	v_mul_f32_e64 v15, v24, -v8
	v_mul_f32_e32 v18, v24, v7
	v_fmac_f32_e32 v1, v9, v17
	v_fmac_f32_e32 v16, v10, v17
	;; [unrolled: 1-line block ×4, first 2 shown]
	v_sub_f32_e32 v15, v1, v15
	v_sub_f32_e32 v16, v16, v18
	v_mul_f32_e32 v18, v22, v87
	global_store_dwordx2 v[59:60], v[15:16], off
	v_mul_f32_e64 v15, v22, -v88
	v_fmac_f32_e32 v18, v88, v21
	v_fmac_f32_e32 v15, v87, v21
	s_waitcnt vmcnt(7)
	v_mul_f32_e32 v20, v22, v93
	v_mul_f32_e64 v1, v18, -v10
	v_mul_f32_e64 v16, v22, -v94
	v_fmac_f32_e32 v20, v94, v21
	v_fmac_f32_e32 v1, v9, v15
	v_mul_f32_e32 v9, v9, v18
	v_fmac_f32_e32 v16, v93, v21
	v_fmac_f32_e32 v9, v10, v15
	v_mul_f32_e64 v10, v20, -v8
	v_mul_f32_e32 v53, v20, v7
	v_fmac_f32_e32 v10, v7, v16
	v_fmac_f32_e32 v53, v8, v16
	v_sub_f32_e32 v7, v1, v10
	v_sub_f32_e32 v8, v9, v53
	global_store_dwordx2 v[63:64], v[7:8], off
	v_mul_f32_e64 v7, v48, -v5
	v_mul_f32_e32 v1, v6, v48
	v_fma_f32 v8, -v6, v45, v7
	v_mul_f32_e64 v7, v52, -v4
	v_mul_f32_e32 v9, v3, v52
	v_fma_f32 v1, -v5, v45, v1
	v_fmac_f32_e32 v7, v3, v51
	v_fmac_f32_e32 v9, v4, v51
	v_add_f32_e32 v7, v1, v7
	v_add_f32_e32 v8, v8, v9
	global_store_dwordx2 v[55:56], v[7:8], off
	v_mul_f32_e64 v7, v39, -v5
	v_mul_f32_e32 v1, v6, v39
	v_fma_f32 v8, -v6, v36, v7
	v_mul_f32_e64 v7, v41, -v4
	v_mul_f32_e32 v9, v3, v41
	v_fma_f32 v1, -v5, v36, v1
	v_fmac_f32_e32 v7, v3, v38
	v_fmac_f32_e32 v9, v4, v38
	v_add_f32_e32 v7, v1, v7
	v_add_f32_e32 v8, v8, v9
	global_store_dwordx2 v[61:62], v[7:8], off
	v_mul_f32_e32 v7, v6, v49
	v_mul_f32_e64 v8, v49, -v5
	v_mul_f32_e64 v9, v50, -v4
	v_mul_f32_e32 v10, v3, v50
	v_fma_f32 v7, -v5, v44, v7
	v_fma_f32 v8, -v6, v44, v8
	v_fmac_f32_e32 v9, v3, v47
	v_fmac_f32_e32 v10, v4, v47
	v_add_f32_e32 v7, v7, v9
	v_add_f32_e32 v8, v8, v10
	global_store_dwordx2 v[65:66], v[7:8], off
	v_mul_f32_e32 v7, v6, v35
	v_mul_f32_e64 v8, v35, -v5
	v_mul_f32_e64 v9, v37, -v4
	v_mul_f32_e32 v10, v3, v37
	v_fma_f32 v7, -v5, v30, v7
	;; [unrolled: 11-line block ×6, first 2 shown]
	v_fma_f32 v8, -v6, v15, v8
	v_fmac_f32_e32 v9, v3, v16
	v_fmac_f32_e32 v10, v4, v16
	v_add_f32_e32 v7, v7, v9
	v_add_f32_e32 v8, v8, v10
	v_mov_b32_e32 v1, 0
	global_store_dwordx2 v[79:80], v[7:8], off
	v_mov_b32_e32 v7, 0
	s_and_saveexec_b64 s[20:21], s[2:3]
	s_cbranch_execz .LBB199_16
; %bb.15:                               ;   in Loop: Header=BB199_5 Depth=1
	v_add_u32_e32 v7, v26, v27
	v_add_u32_e32 v1, s27, v7
	v_lshlrev_b64 v[8:9], 3, v[1:2]
	v_mov_b32_e32 v1, s9
	v_add_co_u32_e32 v8, vcc, s8, v8
	v_addc_co_u32_e32 v9, vcc, v1, v9, vcc
	global_load_dwordx2 v[53:54], v[8:9], off
	v_mul_f32_e32 v1, v6, v14
	v_mul_f32_e64 v10, v14, -v5
	v_mul_f32_e64 v57, v14, -v4
	v_mul_f32_e32 v58, v3, v14
	v_fma_f32 v60, -v5, v13, v1
	v_fma_f32 v10, -v6, v13, v10
	v_fmac_f32_e32 v57, v3, v13
	v_fmac_f32_e32 v58, v4, v13
	v_mul_f32_e32 v5, v10, v48
	v_mul_f32_e64 v6, v48, -v60
	v_add_u32_e32 v1, s28, v7
	v_mul_f32_e64 v48, v52, -v58
	v_mul_f32_e32 v52, v57, v52
	v_fma_f32 v56, -v60, v45, v5
	v_fma_f32 v45, -v10, v45, v6
	v_lshlrev_b64 v[5:6], 3, v[1:2]
	v_fmac_f32_e32 v52, v58, v51
	v_add_u32_e32 v1, s29, v7
	v_mov_b32_e32 v55, s9
	v_fmac_f32_e32 v48, v57, v51
	v_sub_f32_e32 v45, v45, v52
	v_lshlrev_b64 v[51:52], 3, v[1:2]
	v_add_co_u32_e32 v5, vcc, s8, v5
	v_sub_f32_e32 v48, v56, v48
	v_addc_co_u32_e32 v6, vcc, v55, v6, vcc
	v_mov_b32_e32 v59, s9
	global_load_dwordx2 v[55:56], v[5:6], off
	v_add_co_u32_e32 v51, vcc, s8, v51
	v_addc_co_u32_e32 v52, vcc, v59, v52, vcc
	v_mul_f32_e32 v1, v10, v39
	v_mul_f32_e64 v39, v39, -v60
	v_mul_f32_e64 v59, v50, -v58
	v_mul_f32_e32 v50, v57, v50
	v_fma_f32 v1, -v60, v36, v1
	v_fma_f32 v36, -v10, v36, v39
	v_fmac_f32_e32 v59, v57, v47
	v_fmac_f32_e32 v50, v58, v47
	s_waitcnt vmcnt(1)
	v_add_f32_e32 v53, v48, v53
	v_add_f32_e32 v54, v45, v54
	global_store_dwordx2 v[8:9], v[53:54], off
	global_load_dwordx2 v[8:9], v[51:52], off
	v_mul_f32_e64 v45, v41, -v58
	v_mul_f32_e32 v41, v57, v41
	v_mul_f32_e32 v54, v10, v49
	v_mul_f32_e64 v49, v49, -v60
	v_fmac_f32_e32 v45, v57, v38
	v_fmac_f32_e32 v41, v58, v38
	v_fma_f32 v38, -v60, v44, v54
	v_fma_f32 v39, -v10, v44, v49
	v_sub_f32_e32 v47, v1, v45
	v_add_u32_e32 v1, s30, v7
	v_sub_f32_e32 v36, v36, v41
	v_sub_f32_e32 v41, v38, v59
	;; [unrolled: 1-line block ×3, first 2 shown]
	v_lshlrev_b64 v[38:39], 3, v[1:2]
	v_add_u32_e32 v1, s31, v7
	v_mov_b32_e32 v48, s9
	v_lshlrev_b64 v[44:45], 3, v[1:2]
	v_add_co_u32_e32 v38, vcc, s8, v38
	v_addc_co_u32_e32 v39, vcc, v48, v39, vcc
	v_mov_b32_e32 v53, s9
	v_add_co_u32_e32 v44, vcc, s8, v44
	v_addc_co_u32_e32 v45, vcc, v53, v45, vcc
	s_waitcnt vmcnt(2)
	v_add_f32_e32 v47, v47, v55
	v_add_f32_e32 v48, v36, v56
	global_store_dwordx2 v[5:6], v[47:48], off
	global_load_dwordx2 v[5:6], v[38:39], off
	v_mul_f32_e32 v1, v10, v35
	v_mul_f32_e64 v36, v37, -v58
	v_mul_f32_e64 v35, v35, -v60
	v_mul_f32_e32 v37, v57, v37
	v_mul_f32_e32 v47, v10, v43
	v_mul_f32_e64 v43, v43, -v60
	v_mul_f32_e64 v48, v46, -v58
	v_mul_f32_e32 v46, v57, v46
	v_fma_f32 v1, -v60, v30, v1
	v_fmac_f32_e32 v36, v57, v32
	v_fma_f32 v30, -v10, v30, v35
	v_fmac_f32_e32 v37, v58, v32
	v_fma_f32 v32, -v60, v40, v47
	v_fma_f32 v35, -v10, v40, v43
	v_fmac_f32_e32 v46, v58, v42
	v_sub_f32_e32 v40, v1, v36
	v_add_u32_e32 v1, s33, v7
	v_fmac_f32_e32 v48, v57, v42
	v_sub_f32_e32 v30, v30, v37
	v_sub_f32_e32 v37, v35, v46
	v_lshlrev_b64 v[35:36], 3, v[1:2]
	v_sub_f32_e32 v32, v32, v48
	v_add_co_u32_e32 v35, vcc, s8, v35
	v_mul_f32_e32 v1, v10, v33
	v_fma_f32 v1, -v60, v29, v1
	s_waitcnt vmcnt(2)
	v_add_f32_e32 v8, v41, v8
	v_add_f32_e32 v9, v49, v9
	global_store_dwordx2 v[51:52], v[8:9], off
	global_load_dwordx2 v[8:9], v[44:45], off
	v_mov_b32_e32 v41, s9
	v_addc_co_u32_e32 v36, vcc, v41, v36, vcc
	s_waitcnt vmcnt(2)
	v_add_f32_e32 v5, v40, v5
	v_add_f32_e32 v6, v30, v6
	global_store_dwordx2 v[38:39], v[5:6], off
	v_mov_b32_e32 v30, s9
	s_waitcnt vmcnt(1)
	v_add_f32_e32 v5, v32, v8
	v_add_f32_e32 v6, v37, v9
	global_store_dwordx2 v[44:45], v[5:6], off
	global_load_dwordx2 v[5:6], v[35:36], off
	v_mul_f32_e64 v9, v34, -v58
	v_mul_f32_e64 v8, v33, -v60
	v_mul_f32_e32 v32, v57, v34
	v_fmac_f32_e32 v9, v57, v31
	v_fma_f32 v8, -v10, v29, v8
	v_fmac_f32_e32 v32, v58, v31
	v_sub_f32_e32 v31, v1, v9
	v_add_u32_e32 v1, s34, v7
	v_sub_f32_e32 v32, v8, v32
	v_lshlrev_b64 v[8:9], 3, v[1:2]
	v_mov_b32_e32 v1, s15
	v_add_co_u32_e32 v29, vcc, s8, v8
	v_addc_co_u32_e32 v30, vcc, v30, v9, vcc
	v_ashrrev_i32_e32 v8, 31, v7
	v_lshlrev_b64 v[8:9], 3, v[7:8]
	v_mul_f32_e64 v33, v24, -v58
	v_mul_f32_e32 v24, v57, v24
	v_add_co_u32_e32 v8, vcc, s14, v8
	v_fmac_f32_e32 v24, v58, v19
	v_addc_co_u32_e32 v9, vcc, v1, v9, vcc
	v_add_u32_e32 v1, s35, v7
	v_fmac_f32_e32 v33, v57, v19
	global_load_dwordx2 v[8:9], v[8:9], off
	v_mul_f32_e64 v7, v18, -v60
	v_fma_f32 v7, -v10, v15, v7
	s_waitcnt vmcnt(1)
	v_add_f32_e32 v5, v31, v5
	v_add_f32_e32 v6, v32, v6
	global_store_dwordx2 v[35:36], v[5:6], off
	global_load_dwordx2 v[5:6], v[29:30], off
	v_mul_f32_e32 v32, v10, v23
	v_mul_f32_e64 v23, v23, -v60
	v_fma_f32 v32, -v60, v17, v32
	v_fma_f32 v17, -v10, v17, v23
	v_sub_f32_e32 v17, v17, v24
	v_lshlrev_b64 v[23:24], 3, v[1:2]
	v_sub_f32_e32 v19, v32, v33
	v_mov_b32_e32 v31, s9
	v_add_co_u32_e32 v23, vcc, s8, v23
	v_addc_co_u32_e32 v24, vcc, v31, v24, vcc
	v_mul_f32_e64 v1, v4, -v14
	v_mul_f32_e32 v4, v4, v13
	v_fmac_f32_e32 v1, v13, v3
	v_fmac_f32_e32 v4, v14, v3
	v_mul_f32_e32 v3, v10, v18
	v_mul_f32_e64 v13, v20, -v58
	v_mul_f32_e32 v14, v57, v20
	v_fma_f32 v3, -v60, v15, v3
	v_fmac_f32_e32 v13, v57, v16
	v_fmac_f32_e32 v14, v58, v16
	s_waitcnt vmcnt(0)
	v_add_f32_e32 v5, v19, v5
	v_add_f32_e32 v6, v17, v6
	global_store_dwordx2 v[29:30], v[5:6], off
	global_load_dwordx2 v[5:6], v[23:24], off
	v_mul_f32_e64 v17, v12, -v4
	v_mul_f32_e32 v12, v12, v1
	v_fmac_f32_e32 v17, v1, v11
	v_fmac_f32_e32 v12, v4, v11
	v_sub_f32_e32 v1, v3, v13
	v_mul_f32_e64 v3, v22, -v12
	v_mul_f32_e32 v10, v22, v17
	v_sub_f32_e32 v4, v7, v14
	v_fmac_f32_e32 v3, v17, v21
	v_fmac_f32_e32 v10, v12, v21
	v_sub_f32_e32 v7, v8, v3
	s_waitcnt vmcnt(0)
	v_add_f32_e32 v3, v1, v5
	v_add_f32_e32 v4, v4, v6
	v_sub_f32_e32 v1, v9, v10
	global_store_dwordx2 v[23:24], v[3:4], off
.LBB199_16:                             ;   in Loop: Header=BB199_5 Depth=1
	s_or_b64 exec, exec, s[20:21]
	v_mov_b32_e32 v4, v1
	v_mov_b32_e32 v3, v7
                                        ; implicit-def: $vgpr7_vgpr8
                                        ; implicit-def: $vgpr5
                                        ; implicit-def: $vgpr9
                                        ; implicit-def: $vgpr30
                                        ; implicit-def: $vgpr29
                                        ; implicit-def: $vgpr23
                                        ; implicit-def: $vgpr21
                                        ; implicit-def: $vgpr19
                                        ; implicit-def: $vgpr18
                                        ; implicit-def: $vgpr17
                                        ; implicit-def: $vgpr16
                                        ; implicit-def: $vgpr15
.LBB199_17:                             ;   in Loop: Header=BB199_5 Depth=1
	s_or_saveexec_b64 s[2:3], s[4:5]
	v_mov_b32_e32 v8, s26
	s_xor_b64 exec, exec, s[2:3]
	s_cbranch_execz .LBB199_4
; %bb.18:                               ;   in Loop: Header=BB199_5 Depth=1
	v_lshlrev_b64 v[11:12], 3, v[1:2]
	v_mov_b32_e32 v24, v2
	v_mov_b32_e32 v1, s9
	v_lshlrev_b64 v[13:14], 3, v[23:24]
	v_add_co_u32_e32 v32, vcc, s8, v11
	v_mov_b32_e32 v22, v2
	v_addc_co_u32_e32 v33, vcc, v1, v12, vcc
	v_mov_b32_e32 v8, s9
	v_lshlrev_b64 v[21:22], 3, v[21:22]
	v_add_co_u32_e32 v34, vcc, s8, v13
	v_mov_b32_e32 v20, v2
	v_addc_co_u32_e32 v35, vcc, v8, v14, vcc
	v_mov_b32_e32 v31, s9
	v_lshlrev_b64 v[19:20], 3, v[19:20]
	v_add_co_u32_e32 v36, vcc, s8, v21
	v_addc_co_u32_e32 v37, vcc, v31, v22, vcc
	v_add_co_u32_e32 v38, vcc, s8, v19
	v_mov_b32_e32 v19, v2
	v_mov_b32_e32 v39, s9
	v_lshlrev_b64 v[13:14], 3, v[18:19]
	v_addc_co_u32_e32 v39, vcc, v39, v20, vcc
	v_add_co_u32_e32 v40, vcc, s8, v13
	v_mov_b32_e32 v18, v2
	v_addc_co_u32_e32 v41, vcc, v1, v14, vcc
	v_lshlrev_b64 v[13:14], 3, v[17:18]
	v_mov_b32_e32 v17, v2
	v_add_co_u32_e32 v44, vcc, s8, v13
	v_addc_co_u32_e32 v45, vcc, v1, v14, vcc
	v_lshlrev_b64 v[13:14], 3, v[16:17]
	v_mov_b32_e32 v16, v2
	v_add_co_u32_e32 v50, vcc, s8, v13
	v_addc_co_u32_e32 v51, vcc, v1, v14, vcc
	v_lshlrev_b64 v[13:14], 3, v[15:16]
	global_load_dwordx2 v[11:12], v[32:33], off
	v_add_co_u32_e32 v56, vcc, s8, v13
	v_addc_co_u32_e32 v57, vcc, v1, v14, vcc
	global_load_dwordx2 v[18:19], v[34:35], off
	global_load_dwordx2 v[42:43], v[36:37], off
	;; [unrolled: 1-line block ×7, first 2 shown]
	v_mul_f32_e32 v1, v4, v4
	v_fmac_f32_e32 v1, v3, v3
	v_div_scale_f32 v8, s[4:5], v1, v1, 1.0
	v_div_scale_f32 v13, vcc, 1.0, v1, 1.0
	v_rcp_f32_e32 v14, v8
	v_fma_f32 v15, -v8, v14, 1.0
	v_fmac_f32_e32 v14, v15, v14
	v_mul_f32_e32 v15, v13, v14
	v_fma_f32 v16, -v8, v15, v13
	v_fmac_f32_e32 v15, v16, v14
	v_fma_f32 v8, -v8, v15, v13
	v_div_fmas_f32 v8, v8, v14, v15
	v_fma_f32 v13, 0, v4, v3
	v_fma_f32 v3, v3, 0, -v4
	v_div_fixup_f32 v1, v8, v1, 1.0
	v_mul_f32_e32 v31, v3, v1
	v_mul_f32_e32 v8, v13, v1
	s_waitcnt vmcnt(7)
	v_mul_f32_e64 v23, v31, -v12
	v_mul_f32_e32 v24, v31, v11
	v_fmac_f32_e32 v23, v11, v8
	v_fmac_f32_e32 v24, v12, v8
	s_waitcnt vmcnt(6)
	v_mul_f32_e64 v21, v31, -v19
	v_mul_f32_e32 v22, v31, v18
	v_fmac_f32_e32 v21, v18, v8
	v_fmac_f32_e32 v22, v19, v8
	s_waitcnt vmcnt(5)
	v_mul_f32_e64 v19, v31, -v43
	v_mul_f32_e32 v20, v31, v42
	s_waitcnt vmcnt(4)
	v_mul_f32_e64 v17, v31, -v47
	v_mul_f32_e32 v18, v31, v46
	;; [unrolled: 3-line block ×6, first 2 shown]
	v_fmac_f32_e32 v19, v42, v8
	v_fmac_f32_e32 v20, v43, v8
	;; [unrolled: 1-line block ×12, first 2 shown]
	global_store_dwordx2 v[32:33], v[23:24], off
	global_store_dwordx2 v[34:35], v[21:22], off
	;; [unrolled: 1-line block ×8, first 2 shown]
	s_and_saveexec_b64 s[4:5], s[0:1]
	s_cbranch_execz .LBB199_3
; %bb.19:                               ;   in Loop: Header=BB199_5 Depth=1
	v_add_u32_e32 v42, v25, v27
	v_add_u32_e32 v1, s27, v42
	v_lshlrev_b64 v[32:33], 3, v[1:2]
	v_mov_b32_e32 v1, s9
	v_add_co_u32_e32 v32, vcc, s8, v32
	v_addc_co_u32_e32 v33, vcc, v1, v33, vcc
	global_load_dwordx2 v[34:35], v[32:33], off
	v_add_u32_e32 v1, s28, v42
	v_lshlrev_b64 v[36:37], 3, v[1:2]
	v_mov_b32_e32 v40, s9
	v_add_u32_e32 v1, s29, v42
	v_add_co_u32_e32 v36, vcc, s8, v36
	v_lshlrev_b64 v[38:39], 3, v[1:2]
	v_addc_co_u32_e32 v37, vcc, v40, v37, vcc
	global_load_dwordx2 v[40:41], v[36:37], off
	v_mov_b32_e32 v43, s9
	v_add_co_u32_e32 v38, vcc, s8, v38
	v_addc_co_u32_e32 v39, vcc, v43, v39, vcc
	v_mov_b32_e32 v44, s9
	s_waitcnt vmcnt(1)
	v_fma_f32 v34, -v5, v23, v34
	v_fma_f32 v1, -v6, v23, v35
	v_fmac_f32_e32 v34, v6, v24
	v_fma_f32 v35, -v5, v24, v1
	global_store_dwordx2 v[32:33], v[34:35], off
	global_load_dwordx2 v[23:24], v[38:39], off
	v_add_u32_e32 v1, s30, v42
	v_lshlrev_b64 v[32:33], 3, v[1:2]
	v_add_u32_e32 v1, s31, v42
	v_lshlrev_b64 v[34:35], 3, v[1:2]
	v_add_co_u32_e32 v32, vcc, s8, v32
	s_waitcnt vmcnt(2)
	v_fma_f32 v40, -v5, v21, v40
	v_fma_f32 v1, -v6, v21, v41
	v_addc_co_u32_e32 v33, vcc, v43, v33, vcc
	v_fmac_f32_e32 v40, v6, v22
	v_fma_f32 v41, -v5, v22, v1
	v_add_co_u32_e32 v34, vcc, s8, v34
	global_store_dwordx2 v[36:37], v[40:41], off
	v_addc_co_u32_e32 v35, vcc, v44, v35, vcc
	global_load_dwordx2 v[21:22], v[32:33], off
	v_mov_b32_e32 v36, s9
	s_waitcnt vmcnt(2)
	v_fma_f32 v23, -v5, v19, v23
	v_fma_f32 v1, -v6, v19, v24
	v_fmac_f32_e32 v23, v6, v20
	v_fma_f32 v24, -v5, v20, v1
	global_store_dwordx2 v[38:39], v[23:24], off
	global_load_dwordx2 v[19:20], v[34:35], off
	v_add_u32_e32 v1, s33, v42
	v_lshlrev_b64 v[23:24], 3, v[1:2]
	v_add_co_u32_e32 v23, vcc, s8, v23
	v_addc_co_u32_e32 v24, vcc, v36, v24, vcc
	s_waitcnt vmcnt(2)
	v_fma_f32 v1, -v6, v17, v22
	v_fma_f32 v21, -v5, v17, v21
	;; [unrolled: 1-line block ×3, first 2 shown]
	v_fmac_f32_e32 v21, v6, v18
	global_store_dwordx2 v[32:33], v[21:22], off
	s_waitcnt vmcnt(1)
	v_fma_f32 v17, -v5, v15, v19
	v_fma_f32 v1, -v6, v15, v20
	v_fmac_f32_e32 v17, v6, v16
	v_fma_f32 v18, -v5, v16, v1
	global_store_dwordx2 v[34:35], v[17:18], off
	global_load_dwordx2 v[15:16], v[23:24], off
	v_add_u32_e32 v1, s34, v42
	v_lshlrev_b64 v[17:18], 3, v[1:2]
	v_mov_b32_e32 v19, s9
	v_add_co_u32_e32 v17, vcc, s8, v17
	v_addc_co_u32_e32 v18, vcc, v19, v18, vcc
	s_waitcnt vmcnt(0)
	v_fma_f32 v15, -v5, v13, v15
	v_fma_f32 v1, -v6, v13, v16
	v_fmac_f32_e32 v15, v6, v14
	v_fma_f32 v16, -v5, v14, v1
	global_store_dwordx2 v[23:24], v[15:16], off
	global_load_dwordx2 v[13:14], v[17:18], off
	v_add_u32_e32 v1, s35, v42
	v_lshlrev_b64 v[15:16], 3, v[1:2]
	v_add_co_u32_e32 v15, vcc, s8, v15
	v_addc_co_u32_e32 v16, vcc, v19, v16, vcc
	s_waitcnt vmcnt(0)
	v_fma_f32 v13, -v5, v11, v13
	v_fma_f32 v1, -v6, v11, v14
	v_fmac_f32_e32 v13, v6, v12
	v_fma_f32 v14, -v5, v12, v1
	global_store_dwordx2 v[17:18], v[13:14], off
	global_load_dwordx2 v[11:12], v[15:16], off
	s_waitcnt vmcnt(0)
	v_fma_f32 v11, -v5, v3, v11
	v_fma_f32 v1, -v6, v3, v12
	v_fmac_f32_e32 v11, v6, v4
	v_fma_f32 v12, -v5, v4, v1
	global_store_dwordx2 v[15:16], v[11:12], off
	s_branch .LBB199_3
.LBB199_20:
	s_or_b64 exec, exec, s[18:19]
	s_branch .LBB199_22
.LBB199_21:
	v_mov_b32_e32 v27, 0
.LBB199_22:
	v_subrev_u32_e32 v3, s22, v27
	v_add_u32_e32 v1, v3, v0
	v_ashrrev_i32_e32 v2, 31, v1
	v_lshlrev_b64 v[1:2], 2, v[1:2]
	s_waitcnt lgkmcnt(0)
	v_mov_b32_e32 v4, s17
	v_add_co_u32_e32 v1, vcc, s16, v1
	v_addc_co_u32_e32 v2, vcc, v4, v2, vcc
	s_waitcnt vmcnt(0)
	buffer_wbinvl1_vol
	global_load_dword v1, v[1:2], off
	s_waitcnt vmcnt(0)
	v_mul_lo_u32 v1, v1, s22
	v_sub_u32_e32 v7, v3, v1
	v_cmp_lt_i32_e32 vcc, -1, v7
	s_and_b64 exec, exec, vcc
	s_cbranch_execz .LBB199_29
; %bb.23:
	s_lshl_b32 s4, s24, 3
	s_add_i32 s5, s4, s23
	s_add_i32 s6, s5, s23
	;; [unrolled: 1-line block ×7, first 2 shown]
	s_lshl_b32 s18, s22, 1
	s_mov_b64 s[0:1], 0
	v_mov_b32_e32 v8, s17
	v_mov_b32_e32 v9, s11
	;; [unrolled: 1-line block ×3, first 2 shown]
	s_branch .LBB199_25
.LBB199_24:                             ;   in Loop: Header=BB199_25 Depth=1
	s_or_b64 exec, exec, s[2:3]
	v_sub_u32_e32 v7, v7, v1
	v_cmp_gt_i32_e32 vcc, 0, v7
	s_or_b64 s[0:1], vcc, s[0:1]
	s_andn2_b64 exec, exec, s[0:1]
	s_cbranch_execz .LBB199_29
.LBB199_25:                             ; =>This Inner Loop Header: Depth=1
	v_add_u32_e32 v5, v7, v0
	v_ashrrev_i32_e32 v6, 31, v5
	s_waitcnt vmcnt(0)
	v_lshlrev_b64 v[3:4], 2, v[5:6]
	v_add_co_u32_e32 v3, vcc, s16, v3
	v_addc_co_u32_e32 v4, vcc, v8, v4, vcc
	global_load_dword v1, v[3:4], off
	v_lshlrev_b64 v[3:4], 3, v[5:6]
	v_add_co_u32_e32 v3, vcc, s10, v3
	v_addc_co_u32_e32 v4, vcc, v9, v4, vcc
	global_load_dwordx2 v[3:4], v[3:4], off
	s_waitcnt vmcnt(1)
	v_cmp_ne_u32_e32 vcc, 1, v1
	s_and_saveexec_b64 s[2:3], vcc
	s_xor_b64 s[2:3], exec, s[2:3]
	s_cbranch_execz .LBB199_27
; %bb.26:                               ;   in Loop: Header=BB199_25 Depth=1
	v_add_u32_e32 v6, v25, v7
	v_add_u32_e32 v1, s4, v6
	v_lshlrev_b64 v[10:11], 3, v[1:2]
	v_mov_b32_e32 v1, s9
	v_add_co_u32_e32 v10, vcc, s8, v10
	v_addc_co_u32_e32 v11, vcc, v1, v11, vcc
	v_add_u32_e32 v1, s5, v6
	v_lshlrev_b64 v[12:13], 3, v[1:2]
	v_add_u32_e32 v1, s6, v6
	v_lshlrev_b64 v[14:15], 3, v[1:2]
	;; [unrolled: 2-line block ×8, first 2 shown]
	v_mov_b32_e32 v1, s9
	v_add_co_u32_e32 v28, vcc, s8, v28
	v_addc_co_u32_e32 v29, vcc, v1, v29, vcc
	global_load_dwordx2 v[10:11], v[10:11], off
	v_add_co_u32_e32 v12, vcc, s8, v12
	global_load_dwordx2 v[30:31], v[28:29], off
	v_addc_co_u32_e32 v13, vcc, v1, v13, vcc
	v_mov_b32_e32 v6, s9
	v_add_co_u32_e32 v14, vcc, s8, v14
	v_addc_co_u32_e32 v15, vcc, v6, v15, vcc
	v_mov_b32_e32 v24, s9
	v_add_co_u32_e32 v16, vcc, s8, v16
	v_addc_co_u32_e32 v17, vcc, v24, v17, vcc
	v_mov_b32_e32 v38, s9
	global_load_dwordx2 v[32:33], v[12:13], off
	global_load_dwordx2 v[34:35], v[14:15], off
	;; [unrolled: 1-line block ×3, first 2 shown]
	v_add_co_u32_e32 v12, vcc, s8, v18
	v_addc_co_u32_e32 v13, vcc, v38, v19, vcc
	v_mov_b32_e32 v39, s9
	v_add_co_u32_e32 v14, vcc, s8, v20
	v_addc_co_u32_e32 v15, vcc, v39, v21, vcc
	v_mov_b32_e32 v40, s9
	v_add_co_u32_e32 v16, vcc, s8, v22
	v_addc_co_u32_e32 v17, vcc, v40, v23, vcc
	v_add_u32_e32 v1, s5, v5
	v_mov_b32_e32 v41, s9
	v_add_co_u32_e32 v18, vcc, s8, v26
	v_lshlrev_b64 v[20:21], 3, v[1:2]
	v_addc_co_u32_e32 v19, vcc, v41, v27, vcc
	global_load_dwordx2 v[22:23], v[12:13], off
	global_load_dwordx2 v[26:27], v[14:15], off
	;; [unrolled: 1-line block ×4, first 2 shown]
	v_mov_b32_e32 v42, s9
	v_add_co_u32_e32 v12, vcc, s8, v20
	v_addc_co_u32_e32 v13, vcc, v42, v21, vcc
	v_mov_b32_e32 v19, s9
	s_waitcnt vmcnt(7)
	v_fma_f32 v14, -v3, v10, v30
	v_fma_f32 v1, -v4, v10, v31
	v_fmac_f32_e32 v14, v4, v11
	v_fma_f32 v15, -v3, v11, v1
	global_store_dwordx2 v[28:29], v[14:15], off
	global_load_dwordx2 v[14:15], v[12:13], off
	v_add_u32_e32 v1, s6, v5
	v_lshlrev_b64 v[16:17], 3, v[1:2]
	v_add_co_u32_e32 v16, vcc, s8, v16
	v_addc_co_u32_e32 v17, vcc, v6, v17, vcc
	s_waitcnt vmcnt(0)
	v_fma_f32 v14, -v3, v32, v14
	v_fma_f32 v1, -v4, v32, v15
	v_fmac_f32_e32 v14, v4, v33
	v_fma_f32 v15, -v3, v33, v1
	global_store_dwordx2 v[12:13], v[14:15], off
	global_load_dwordx2 v[12:13], v[16:17], off
	v_add_u32_e32 v1, s7, v5
	v_lshlrev_b64 v[14:15], 3, v[1:2]
	v_add_co_u32_e32 v14, vcc, s8, v14
	v_addc_co_u32_e32 v15, vcc, v6, v15, vcc
	;; [unrolled: 11-line block ×5, first 2 shown]
	s_waitcnt vmcnt(0)
	v_fma_f32 v12, -v3, v26, v12
	v_fma_f32 v1, -v4, v26, v13
	v_fmac_f32_e32 v12, v4, v27
	v_fma_f32 v13, -v3, v27, v1
	global_store_dwordx2 v[14:15], v[12:13], off
	global_load_dwordx2 v[12:13], v[16:17], off
	v_add_u32_e32 v1, s15, v5
	v_lshlrev_b64 v[5:6], 3, v[1:2]
	v_mov_b32_e32 v14, s9
	v_add_co_u32_e32 v5, vcc, s8, v5
	v_addc_co_u32_e32 v6, vcc, v14, v6, vcc
	s_waitcnt vmcnt(0)
	v_fma_f32 v12, -v3, v38, v12
	v_fma_f32 v1, -v4, v38, v13
	v_fmac_f32_e32 v12, v4, v39
	v_fma_f32 v13, -v3, v39, v1
	global_store_dwordx2 v[16:17], v[12:13], off
	global_load_dwordx2 v[12:13], v[5:6], off
	v_subrev_u32_e32 v1, s22, v7
	v_add_u32_e32 v14, v1, v0
	v_ashrrev_i32_e32 v15, 31, v14
	v_lshlrev_b64 v[15:16], 3, v[14:15]
	v_mov_b32_e32 v17, s11
	v_add_co_u32_e32 v15, vcc, s10, v15
	v_add_u32_e32 v1, s4, v14
	v_addc_co_u32_e32 v16, vcc, v17, v16, vcc
	v_lshlrev_b64 v[17:18], 3, v[1:2]
	global_load_dwordx2 v[15:16], v[15:16], off
	v_add_co_u32_e32 v17, vcc, s8, v17
	v_addc_co_u32_e32 v18, vcc, v19, v18, vcc
	s_waitcnt vmcnt(1)
	v_fma_f32 v12, -v3, v40, v12
	v_fma_f32 v1, -v4, v40, v13
	v_fmac_f32_e32 v12, v4, v41
	v_fma_f32 v13, -v3, v41, v1
	global_store_dwordx2 v[5:6], v[12:13], off
	global_load_dwordx2 v[3:4], v[17:18], off
	v_add_u32_e32 v1, s5, v14
	v_lshlrev_b64 v[5:6], 3, v[1:2]
	v_mov_b32_e32 v12, s9
	v_add_co_u32_e32 v5, vcc, s8, v5
	v_addc_co_u32_e32 v6, vcc, v12, v6, vcc
	s_waitcnt vmcnt(0)
	v_fma_f32 v3, -v15, v10, v3
	v_fma_f32 v1, -v16, v10, v4
	v_fmac_f32_e32 v3, v16, v11
	v_fma_f32 v4, -v15, v11, v1
	global_store_dwordx2 v[17:18], v[3:4], off
	global_load_dwordx2 v[3:4], v[5:6], off
	v_add_u32_e32 v1, s6, v14
	v_lshlrev_b64 v[10:11], 3, v[1:2]
	v_add_co_u32_e32 v10, vcc, s8, v10
	v_addc_co_u32_e32 v11, vcc, v12, v11, vcc
	s_waitcnt vmcnt(0)
	v_fma_f32 v3, -v15, v32, v3
	v_fma_f32 v1, -v16, v32, v4
	v_fmac_f32_e32 v3, v16, v33
	v_fma_f32 v4, -v15, v33, v1
	global_store_dwordx2 v[5:6], v[3:4], off
	global_load_dwordx2 v[3:4], v[10:11], off
	v_add_u32_e32 v1, s7, v14
	v_lshlrev_b64 v[5:6], 3, v[1:2]
	;; [unrolled: 11-line block ×6, first 2 shown]
	v_add_co_u32_e32 v5, vcc, s8, v5
	v_addc_co_u32_e32 v6, vcc, v12, v6, vcc
	s_waitcnt vmcnt(0)
	v_fma_f32 v3, -v15, v38, v3
	v_fma_f32 v1, -v16, v38, v4
	v_fmac_f32_e32 v3, v16, v39
	v_fma_f32 v4, -v15, v39, v1
	global_store_dwordx2 v[10:11], v[3:4], off
	global_load_dwordx2 v[3:4], v[5:6], off
	s_waitcnt vmcnt(0)
	v_fma_f32 v3, -v15, v40, v3
	v_fma_f32 v1, -v16, v40, v4
	v_fmac_f32_e32 v3, v16, v41
	v_fma_f32 v4, -v15, v41, v1
	global_store_dwordx2 v[5:6], v[3:4], off
                                        ; implicit-def: $vgpr5
                                        ; implicit-def: $vgpr3_vgpr4
.LBB199_27:                             ;   in Loop: Header=BB199_25 Depth=1
	s_or_saveexec_b64 s[2:3], s[2:3]
	v_mov_b32_e32 v1, s18
	s_xor_b64 exec, exec, s[2:3]
	s_cbranch_execz .LBB199_24
; %bb.28:                               ;   in Loop: Header=BB199_25 Depth=1
	v_add_u32_e32 v6, v25, v7
	v_add_u32_e32 v1, s4, v6
	v_lshlrev_b64 v[10:11], 3, v[1:2]
	v_mov_b32_e32 v1, s9
	v_add_co_u32_e32 v10, vcc, s8, v10
	v_addc_co_u32_e32 v11, vcc, v1, v11, vcc
	v_add_u32_e32 v1, s4, v5
	v_lshlrev_b64 v[12:13], 3, v[1:2]
	v_mov_b32_e32 v1, s9
	v_add_co_u32_e32 v12, vcc, s8, v12
	v_addc_co_u32_e32 v13, vcc, v1, v13, vcc
	global_load_dwordx2 v[14:15], v[10:11], off
	global_load_dwordx2 v[16:17], v[12:13], off
	v_add_u32_e32 v1, s5, v6
	v_lshlrev_b64 v[10:11], 3, v[1:2]
	v_add_u32_e32 v1, s5, v5
	v_mov_b32_e32 v20, s9
	v_lshlrev_b64 v[18:19], 3, v[1:2]
	v_add_co_u32_e32 v10, vcc, s8, v10
	v_addc_co_u32_e32 v11, vcc, v20, v11, vcc
	v_mov_b32_e32 v21, s9
	v_add_co_u32_e32 v18, vcc, s8, v18
	v_addc_co_u32_e32 v19, vcc, v21, v19, vcc
	s_waitcnt vmcnt(0)
	v_fma_f32 v16, -v3, v14, v16
	v_fma_f32 v1, -v4, v14, v17
	v_fmac_f32_e32 v16, v4, v15
	v_fma_f32 v17, -v3, v15, v1
	global_store_dwordx2 v[12:13], v[16:17], off
	global_load_dwordx2 v[12:13], v[10:11], off
	s_nop 0
	global_load_dwordx2 v[14:15], v[18:19], off
	v_add_u32_e32 v1, s6, v6
	v_lshlrev_b64 v[10:11], 3, v[1:2]
	v_add_u32_e32 v1, s6, v5
	v_lshlrev_b64 v[16:17], 3, v[1:2]
	v_add_co_u32_e32 v10, vcc, s8, v10
	v_addc_co_u32_e32 v11, vcc, v20, v11, vcc
	v_add_co_u32_e32 v16, vcc, s8, v16
	v_addc_co_u32_e32 v17, vcc, v21, v17, vcc
	s_waitcnt vmcnt(0)
	v_fma_f32 v14, -v3, v12, v14
	v_fma_f32 v1, -v4, v12, v15
	v_fmac_f32_e32 v14, v4, v13
	v_fma_f32 v15, -v3, v13, v1
	global_store_dwordx2 v[18:19], v[14:15], off
	global_load_dwordx2 v[12:13], v[10:11], off
	s_nop 0
	global_load_dwordx2 v[14:15], v[16:17], off
	v_add_u32_e32 v1, s7, v6
	v_lshlrev_b64 v[10:11], 3, v[1:2]
	v_add_u32_e32 v1, s7, v5
	v_lshlrev_b64 v[18:19], 3, v[1:2]
	v_add_co_u32_e32 v10, vcc, s8, v10
	v_addc_co_u32_e32 v11, vcc, v20, v11, vcc
	;; [unrolled: 17-line block ×5, first 2 shown]
	v_add_co_u32_e32 v16, vcc, s8, v16
	v_addc_co_u32_e32 v17, vcc, v21, v17, vcc
	s_waitcnt vmcnt(0)
	v_fma_f32 v14, -v3, v12, v14
	v_fma_f32 v1, -v4, v12, v15
	v_fmac_f32_e32 v14, v4, v13
	v_fma_f32 v15, -v3, v13, v1
	global_store_dwordx2 v[18:19], v[14:15], off
	global_load_dwordx2 v[12:13], v[10:11], off
	s_nop 0
	global_load_dwordx2 v[14:15], v[16:17], off
	v_add_u32_e32 v1, s15, v6
	v_lshlrev_b64 v[10:11], 3, v[1:2]
	v_add_u32_e32 v1, s15, v5
	v_mov_b32_e32 v18, s9
	v_lshlrev_b64 v[5:6], 3, v[1:2]
	v_add_co_u32_e32 v10, vcc, s8, v10
	v_addc_co_u32_e32 v11, vcc, v18, v11, vcc
	v_mov_b32_e32 v19, s9
	v_add_co_u32_e32 v5, vcc, s8, v5
	v_addc_co_u32_e32 v6, vcc, v19, v6, vcc
	s_waitcnt vmcnt(0)
	v_fma_f32 v14, -v3, v12, v14
	v_fma_f32 v1, -v4, v12, v15
	v_fmac_f32_e32 v14, v4, v13
	v_fma_f32 v15, -v3, v13, v1
	global_store_dwordx2 v[16:17], v[14:15], off
	global_load_dwordx2 v[12:13], v[10:11], off
	s_nop 0
	global_load_dwordx2 v[14:15], v[5:6], off
	s_waitcnt vmcnt(0)
	v_fma_f32 v10, -v3, v12, v14
	v_fma_f32 v1, -v4, v12, v15
	v_fmac_f32_e32 v10, v4, v13
	v_fma_f32 v11, -v3, v13, v1
	v_mov_b32_e32 v1, s22
	global_store_dwordx2 v[5:6], v[10:11], off
	s_branch .LBB199_24
.LBB199_29:
	s_endpgm
	.section	.rodata,"a",@progbits
	.p2align	6, 0x0
	.amdhsa_kernel _ZN9rocsparseL19gtsv_LBM_rhs_kernelILj256ELj4ELj8E21rocsparse_complex_numIfEEEviiiPKT2_S5_S5_PS3_S5_PKi
		.amdhsa_group_segment_fixed_size 0
		.amdhsa_private_segment_fixed_size 0
		.amdhsa_kernarg_size 64
		.amdhsa_user_sgpr_count 6
		.amdhsa_user_sgpr_private_segment_buffer 1
		.amdhsa_user_sgpr_dispatch_ptr 0
		.amdhsa_user_sgpr_queue_ptr 0
		.amdhsa_user_sgpr_kernarg_segment_ptr 1
		.amdhsa_user_sgpr_dispatch_id 0
		.amdhsa_user_sgpr_flat_scratch_init 0
		.amdhsa_user_sgpr_private_segment_size 0
		.amdhsa_uses_dynamic_stack 0
		.amdhsa_system_sgpr_private_segment_wavefront_offset 0
		.amdhsa_system_sgpr_workgroup_id_x 1
		.amdhsa_system_sgpr_workgroup_id_y 1
		.amdhsa_system_sgpr_workgroup_id_z 0
		.amdhsa_system_sgpr_workgroup_info 0
		.amdhsa_system_vgpr_workitem_id 0
		.amdhsa_next_free_vgpr 95
		.amdhsa_next_free_sgpr 36
		.amdhsa_reserve_vcc 1
		.amdhsa_reserve_flat_scratch 0
		.amdhsa_float_round_mode_32 0
		.amdhsa_float_round_mode_16_64 0
		.amdhsa_float_denorm_mode_32 3
		.amdhsa_float_denorm_mode_16_64 3
		.amdhsa_dx10_clamp 1
		.amdhsa_ieee_mode 1
		.amdhsa_fp16_overflow 0
		.amdhsa_exception_fp_ieee_invalid_op 0
		.amdhsa_exception_fp_denorm_src 0
		.amdhsa_exception_fp_ieee_div_zero 0
		.amdhsa_exception_fp_ieee_overflow 0
		.amdhsa_exception_fp_ieee_underflow 0
		.amdhsa_exception_fp_ieee_inexact 0
		.amdhsa_exception_int_div_zero 0
	.end_amdhsa_kernel
	.section	.text._ZN9rocsparseL19gtsv_LBM_rhs_kernelILj256ELj4ELj8E21rocsparse_complex_numIfEEEviiiPKT2_S5_S5_PS3_S5_PKi,"axG",@progbits,_ZN9rocsparseL19gtsv_LBM_rhs_kernelILj256ELj4ELj8E21rocsparse_complex_numIfEEEviiiPKT2_S5_S5_PS3_S5_PKi,comdat
.Lfunc_end199:
	.size	_ZN9rocsparseL19gtsv_LBM_rhs_kernelILj256ELj4ELj8E21rocsparse_complex_numIfEEEviiiPKT2_S5_S5_PS3_S5_PKi, .Lfunc_end199-_ZN9rocsparseL19gtsv_LBM_rhs_kernelILj256ELj4ELj8E21rocsparse_complex_numIfEEEviiiPKT2_S5_S5_PS3_S5_PKi
                                        ; -- End function
	.set _ZN9rocsparseL19gtsv_LBM_rhs_kernelILj256ELj4ELj8E21rocsparse_complex_numIfEEEviiiPKT2_S5_S5_PS3_S5_PKi.num_vgpr, 95
	.set _ZN9rocsparseL19gtsv_LBM_rhs_kernelILj256ELj4ELj8E21rocsparse_complex_numIfEEEviiiPKT2_S5_S5_PS3_S5_PKi.num_agpr, 0
	.set _ZN9rocsparseL19gtsv_LBM_rhs_kernelILj256ELj4ELj8E21rocsparse_complex_numIfEEEviiiPKT2_S5_S5_PS3_S5_PKi.numbered_sgpr, 36
	.set _ZN9rocsparseL19gtsv_LBM_rhs_kernelILj256ELj4ELj8E21rocsparse_complex_numIfEEEviiiPKT2_S5_S5_PS3_S5_PKi.num_named_barrier, 0
	.set _ZN9rocsparseL19gtsv_LBM_rhs_kernelILj256ELj4ELj8E21rocsparse_complex_numIfEEEviiiPKT2_S5_S5_PS3_S5_PKi.private_seg_size, 0
	.set _ZN9rocsparseL19gtsv_LBM_rhs_kernelILj256ELj4ELj8E21rocsparse_complex_numIfEEEviiiPKT2_S5_S5_PS3_S5_PKi.uses_vcc, 1
	.set _ZN9rocsparseL19gtsv_LBM_rhs_kernelILj256ELj4ELj8E21rocsparse_complex_numIfEEEviiiPKT2_S5_S5_PS3_S5_PKi.uses_flat_scratch, 0
	.set _ZN9rocsparseL19gtsv_LBM_rhs_kernelILj256ELj4ELj8E21rocsparse_complex_numIfEEEviiiPKT2_S5_S5_PS3_S5_PKi.has_dyn_sized_stack, 0
	.set _ZN9rocsparseL19gtsv_LBM_rhs_kernelILj256ELj4ELj8E21rocsparse_complex_numIfEEEviiiPKT2_S5_S5_PS3_S5_PKi.has_recursion, 0
	.set _ZN9rocsparseL19gtsv_LBM_rhs_kernelILj256ELj4ELj8E21rocsparse_complex_numIfEEEviiiPKT2_S5_S5_PS3_S5_PKi.has_indirect_call, 0
	.section	.AMDGPU.csdata,"",@progbits
; Kernel info:
; codeLenInByte = 7352
; TotalNumSgprs: 40
; NumVgprs: 95
; ScratchSize: 0
; MemoryBound: 0
; FloatMode: 240
; IeeeMode: 1
; LDSByteSize: 0 bytes/workgroup (compile time only)
; SGPRBlocks: 4
; VGPRBlocks: 23
; NumSGPRsForWavesPerEU: 40
; NumVGPRsForWavesPerEU: 95
; Occupancy: 2
; WaveLimiterHint : 0
; COMPUTE_PGM_RSRC2:SCRATCH_EN: 0
; COMPUTE_PGM_RSRC2:USER_SGPR: 6
; COMPUTE_PGM_RSRC2:TRAP_HANDLER: 0
; COMPUTE_PGM_RSRC2:TGID_X_EN: 1
; COMPUTE_PGM_RSRC2:TGID_Y_EN: 1
; COMPUTE_PGM_RSRC2:TGID_Z_EN: 0
; COMPUTE_PGM_RSRC2:TIDIG_COMP_CNT: 0
	.section	.text._ZN9rocsparseL19gtsv_LBM_rhs_kernelILj256ELj4ELj4E21rocsparse_complex_numIfEEEviiiPKT2_S5_S5_PS3_S5_PKi,"axG",@progbits,_ZN9rocsparseL19gtsv_LBM_rhs_kernelILj256ELj4ELj4E21rocsparse_complex_numIfEEEviiiPKT2_S5_S5_PS3_S5_PKi,comdat
	.globl	_ZN9rocsparseL19gtsv_LBM_rhs_kernelILj256ELj4ELj4E21rocsparse_complex_numIfEEEviiiPKT2_S5_S5_PS3_S5_PKi ; -- Begin function _ZN9rocsparseL19gtsv_LBM_rhs_kernelILj256ELj4ELj4E21rocsparse_complex_numIfEEEviiiPKT2_S5_S5_PS3_S5_PKi
	.p2align	8
	.type	_ZN9rocsparseL19gtsv_LBM_rhs_kernelILj256ELj4ELj4E21rocsparse_complex_numIfEEEviiiPKT2_S5_S5_PS3_S5_PKi,@function
_ZN9rocsparseL19gtsv_LBM_rhs_kernelILj256ELj4ELj4E21rocsparse_complex_numIfEEEviiiPKT2_S5_S5_PS3_S5_PKi: ; @_ZN9rocsparseL19gtsv_LBM_rhs_kernelILj256ELj4ELj4E21rocsparse_complex_numIfEEEviiiPKT2_S5_S5_PS3_S5_PKi
; %bb.0:
	s_load_dword s23, s[4:5], 0x0
	v_lshl_or_b32 v0, s6, 8, v0
	s_waitcnt lgkmcnt(0)
	s_lshr_b32 s22, s23, 2
	v_cmp_gt_i32_e32 vcc, s22, v0
	s_and_saveexec_b64 s[0:1], vcc
	s_cbranch_execz .LBB200_29
; %bb.1:
	s_load_dwordx4 s[8:11], s[4:5], 0x28
	s_load_dwordx2 s[16:17], s[4:5], 0x38
	s_cmp_lt_i32 s23, 1
	v_add_u32_e32 v19, s22, v0
	s_mul_i32 s24, s7, s23
	s_cbranch_scc1 .LBB200_21
; %bb.2:
	s_load_dwordx4 s[12:15], s[4:5], 0x10
	s_load_dwordx2 s[6:7], s[4:5], 0x20
	v_ashrrev_i32_e32 v1, 31, v0
	v_lshlrev_b64 v[1:2], 3, v[0:1]
	s_lshl_b32 s27, s24, 2
	s_waitcnt lgkmcnt(0)
	v_mov_b32_e32 v3, s15
	v_add_co_u32_e32 v1, vcc, s14, v1
	v_addc_co_u32_e32 v2, vcc, v3, v2, vcc
	global_load_dwordx2 v[5:6], v[1:2], off
	s_add_i32 s28, s27, s23
	s_add_i32 s29, s28, s23
	s_mul_i32 s25, s22, 3
	s_lshl_b32 s26, s22, 1
	v_add_u32_e32 v21, s22, v19
	s_add_i32 s30, s29, s23
	v_mov_b32_e32 v2, 0
	s_mov_b64 s[18:19], 0
	v_mov_b32_e32 v22, s7
	v_mov_b32_e32 v20, 0
	s_branch .LBB200_5
.LBB200_3:                              ;   in Loop: Header=BB200_5 Depth=1
	s_or_b64 exec, exec, s[4:5]
	v_fmac_f32_e32 v24, v3, v7
	v_fmac_f32_e32 v23, v4, v7
	v_mul_f32_e64 v1, v17, -v23
	v_mul_f32_e32 v3, v17, v24
	v_fmac_f32_e32 v1, v24, v8
	v_fmac_f32_e32 v3, v23, v8
	v_sub_f32_e32 v5, v9, v1
	v_sub_f32_e32 v6, v10, v3
	v_mov_b32_e32 v8, s22
.LBB200_4:                              ;   in Loop: Header=BB200_5 Depth=1
	s_or_b64 exec, exec, s[2:3]
	v_add_u32_e32 v20, v8, v20
	v_cmp_le_i32_e32 vcc, s23, v20
	s_or_b64 s[18:19], vcc, s[18:19]
	s_andn2_b64 exec, exec, s[18:19]
	s_cbranch_execz .LBB200_20
.LBB200_5:                              ; =>This Inner Loop Header: Depth=1
	v_add_u32_e32 v15, v20, v0
	v_ashrrev_i32_e32 v16, 31, v15
	v_lshlrev_b64 v[3:4], 3, v[15:16]
	v_cmp_gt_u32_e64 s[0:1], s25, v20
	v_add_co_u32_e32 v3, vcc, s6, v3
	v_addc_co_u32_e32 v4, vcc, v22, v4, vcc
	global_load_dwordx2 v[7:8], v[3:4], off
	v_mov_b32_e32 v3, 0
	v_mov_b32_e32 v4, 0
	s_and_saveexec_b64 s[2:3], s[0:1]
	s_cbranch_execz .LBB200_7
; %bb.6:                                ;   in Loop: Header=BB200_5 Depth=1
	v_add_u32_e32 v3, v19, v20
	v_ashrrev_i32_e32 v4, 31, v3
	v_lshlrev_b64 v[3:4], 3, v[3:4]
	v_mov_b32_e32 v1, s13
	v_add_co_u32_e32 v3, vcc, s12, v3
	v_addc_co_u32_e32 v4, vcc, v1, v4, vcc
	global_load_dwordx2 v[3:4], v[3:4], off
.LBB200_7:                              ;   in Loop: Header=BB200_5 Depth=1
	s_or_b64 exec, exec, s[2:3]
	v_mov_b32_e32 v11, 0
	v_mov_b32_e32 v9, 0
	;; [unrolled: 1-line block ×3, first 2 shown]
	s_and_saveexec_b64 s[2:3], s[0:1]
	s_cbranch_execz .LBB200_9
; %bb.8:                                ;   in Loop: Header=BB200_5 Depth=1
	v_add_u32_e32 v9, v19, v20
	v_ashrrev_i32_e32 v10, 31, v9
	v_lshlrev_b64 v[9:10], 3, v[9:10]
	v_mov_b32_e32 v1, s15
	v_add_co_u32_e32 v9, vcc, s14, v9
	v_addc_co_u32_e32 v10, vcc, v1, v10, vcc
	global_load_dwordx2 v[9:10], v[9:10], off
.LBB200_9:                              ;   in Loop: Header=BB200_5 Depth=1
	s_or_b64 exec, exec, s[2:3]
	v_mov_b32_e32 v12, 0
	s_and_saveexec_b64 s[2:3], s[0:1]
	s_cbranch_execz .LBB200_11
; %bb.10:                               ;   in Loop: Header=BB200_5 Depth=1
	v_add_u32_e32 v11, v19, v20
	v_ashrrev_i32_e32 v12, 31, v11
	v_lshlrev_b64 v[11:12], 3, v[11:12]
	v_mov_b32_e32 v1, s7
	v_add_co_u32_e32 v11, vcc, s6, v11
	v_addc_co_u32_e32 v12, vcc, v1, v12, vcc
	global_load_dwordx2 v[11:12], v[11:12], off
.LBB200_11:                             ;   in Loop: Header=BB200_5 Depth=1
	s_or_b64 exec, exec, s[2:3]
	v_cmp_gt_u32_e64 s[2:3], s26, v20
	v_mov_b32_e32 v13, 0
	v_mov_b32_e32 v14, 0
	s_and_saveexec_b64 s[4:5], s[2:3]
	s_cbranch_execz .LBB200_13
; %bb.12:                               ;   in Loop: Header=BB200_5 Depth=1
	v_add_u32_e32 v13, v21, v20
	v_ashrrev_i32_e32 v14, 31, v13
	v_lshlrev_b64 v[13:14], 3, v[13:14]
	v_mov_b32_e32 v1, s13
	v_add_co_u32_e32 v13, vcc, s12, v13
	v_addc_co_u32_e32 v14, vcc, v1, v14, vcc
	global_load_dwordx2 v[13:14], v[13:14], off
.LBB200_13:                             ;   in Loop: Header=BB200_5 Depth=1
	s_or_b64 exec, exec, s[4:5]
	v_lshlrev_b64 v[16:17], 2, v[15:16]
	v_mov_b32_e32 v1, s17
	v_add_co_u32_e32 v16, vcc, s16, v16
	v_addc_co_u32_e32 v17, vcc, v1, v17, vcc
	global_load_dword v18, v[16:17], off
	v_cmp_ne_u32_e32 vcc, s25, v20
	s_waitcnt vmcnt(1)
	v_mul_f32_e64 v24, v8, -v4
	v_mul_f32_e32 v23, v3, v8
	v_add_u32_e32 v1, s27, v15
	v_add_u32_e32 v17, s28, v15
	;; [unrolled: 1-line block ×4, first 2 shown]
	s_waitcnt vmcnt(0)
	v_cmp_ne_u32_e64 s[4:5], 1, v18
	s_and_b64 s[4:5], vcc, s[4:5]
	s_and_saveexec_b64 s[20:21], s[4:5]
	s_xor_b64 s[20:21], exec, s[20:21]
	s_cbranch_execz .LBB200_17
; %bb.14:                               ;   in Loop: Header=BB200_5 Depth=1
	v_lshlrev_b64 v[25:26], 3, v[1:2]
	v_mov_b32_e32 v18, v2
	v_mov_b32_e32 v1, s9
	v_add_co_u32_e32 v25, vcc, s8, v25
	v_lshlrev_b64 v[17:18], 3, v[17:18]
	v_addc_co_u32_e32 v26, vcc, v1, v26, vcc
	v_add_co_u32_e32 v36, vcc, s8, v17
	v_mov_b32_e32 v17, v2
	v_lshlrev_b64 v[16:17], 3, v[16:17]
	v_addc_co_u32_e32 v37, vcc, v1, v18, vcc
	v_add_co_u32_e32 v38, vcc, s8, v16
	v_add_u32_e32 v33, v19, v20
	v_addc_co_u32_e32 v39, vcc, v1, v17, vcc
	v_add_u32_e32 v1, s27, v33
	v_lshlrev_b64 v[16:17], 3, v[1:2]
	v_mov_b32_e32 v1, s9
	v_add_co_u32_e32 v40, vcc, s8, v16
	v_addc_co_u32_e32 v41, vcc, v1, v17, vcc
	v_add_u32_e32 v1, s28, v33
	v_lshlrev_b64 v[29:30], 3, v[1:2]
	v_mul_f32_e32 v35, v5, v10
	v_mul_f32_e64 v31, v10, -v6
	v_fmac_f32_e32 v35, v6, v9
	v_fmac_f32_e32 v23, v4, v7
	v_mov_b32_e32 v1, s9
	v_fmac_f32_e32 v31, v5, v9
	v_fmac_f32_e32 v24, v3, v7
	v_add_co_u32_e32 v42, vcc, s8, v29
	v_sub_f32_e32 v29, v35, v23
	v_sub_f32_e32 v60, v31, v24
	v_addc_co_u32_e32 v43, vcc, v1, v30, vcc
	v_mul_f32_e32 v30, v29, v29
	v_fmac_f32_e32 v30, v60, v60
	v_div_scale_f32 v35, s[4:5], v30, v30, 1.0
	v_div_scale_f32 v54, vcc, 1.0, v30, 1.0
	global_load_dwordx2 v[27:28], v[25:26], off
	global_load_dwordx2 v[17:18], v[40:41], off
	;; [unrolled: 1-line block ×4, first 2 shown]
	v_add_u32_e32 v1, s29, v33
	v_lshlrev_b64 v[23:24], 3, v[1:2]
	v_mov_b32_e32 v1, s9
	v_add_co_u32_e64 v46, s[4:5], s8, v23
	v_mov_b32_e32 v16, v2
	v_addc_co_u32_e64 v47, s[4:5], v1, v24, s[4:5]
	v_rcp_f32_e32 v23, v35
	v_lshlrev_b64 v[15:16], 3, v[15:16]
	global_load_dwordx2 v[48:49], v[38:39], off
	global_load_dwordx2 v[50:51], v[46:47], off
	v_mov_b32_e32 v34, s9
	v_fma_f32 v24, -v35, v23, 1.0
	v_fmac_f32_e32 v23, v24, v23
	v_mul_f32_e32 v24, v54, v23
	v_add_co_u32_e64 v52, s[4:5], s8, v15
	v_add_u32_e32 v1, s30, v33
	v_fma_f32 v33, -v35, v24, v54
	v_addc_co_u32_e64 v53, s[4:5], v34, v16, s[4:5]
	v_lshlrev_b64 v[15:16], 3, v[1:2]
	v_fmac_f32_e32 v24, v33, v23
	v_fma_f32 v33, -v35, v24, v54
	v_mov_b32_e32 v1, s9
	v_div_fmas_f32 v23, v33, v23, v24
	global_load_dwordx2 v[54:55], v[52:53], off
	v_add_co_u32_e32 v56, vcc, s8, v15
	v_addc_co_u32_e32 v57, vcc, v1, v16, vcc
	global_load_dwordx2 v[58:59], v[56:57], off
	v_fma_f32 v16, v60, 0, -v29
	v_fma_f32 v15, 0, v29, v60
	v_div_fixup_f32 v1, v23, v30, 1.0
	v_mul_f32_e32 v16, v16, v1
	v_mul_f32_e32 v15, v15, v1
	s_waitcnt vmcnt(7)
	v_mul_f32_e64 v23, v16, -v28
	v_fmac_f32_e32 v23, v27, v15
	v_mul_f32_e32 v27, v16, v27
	v_fmac_f32_e32 v27, v28, v15
	s_waitcnt vmcnt(6)
	v_mul_f32_e32 v28, v16, v17
	v_mul_f32_e64 v24, v16, -v18
	v_fmac_f32_e32 v28, v18, v15
	v_fmac_f32_e32 v24, v17, v15
	v_mul_f32_e64 v1, v27, -v10
	v_mul_f32_e32 v18, v9, v27
	v_mul_f32_e64 v17, v28, -v8
	v_mul_f32_e32 v29, v28, v7
	v_fmac_f32_e32 v1, v9, v23
	v_fmac_f32_e32 v18, v10, v23
	;; [unrolled: 1-line block ×4, first 2 shown]
	s_waitcnt vmcnt(4)
	v_mul_f32_e32 v33, v16, v31
	v_mul_f32_e32 v35, v16, v44
	v_sub_f32_e32 v17, v1, v17
	v_sub_f32_e32 v18, v18, v29
	v_mul_f32_e64 v30, v16, -v32
	v_fmac_f32_e32 v33, v32, v15
	v_mul_f32_e64 v32, v16, -v45
	v_fmac_f32_e32 v35, v45, v15
	global_store_dwordx2 v[25:26], v[17:18], off
	v_fmac_f32_e32 v30, v31, v15
	v_fmac_f32_e32 v32, v44, v15
	v_mul_f32_e64 v1, v33, -v10
	v_mul_f32_e32 v18, v9, v33
	v_mul_f32_e64 v17, v35, -v8
	v_mul_f32_e32 v25, v35, v7
	v_fmac_f32_e32 v1, v9, v30
	v_fmac_f32_e32 v18, v10, v30
	;; [unrolled: 1-line block ×4, first 2 shown]
	v_sub_f32_e32 v17, v1, v17
	v_sub_f32_e32 v18, v18, v25
	s_waitcnt vmcnt(4)
	v_mul_f32_e32 v25, v16, v48
	s_waitcnt vmcnt(3)
	v_mul_f32_e32 v26, v16, v50
	global_store_dwordx2 v[36:37], v[17:18], off
	v_mul_f32_e64 v17, v16, -v49
	v_fmac_f32_e32 v25, v49, v15
	v_mul_f32_e64 v18, v16, -v51
	v_fmac_f32_e32 v26, v51, v15
	v_fmac_f32_e32 v17, v48, v15
	;; [unrolled: 1-line block ×3, first 2 shown]
	v_mul_f32_e32 v29, v9, v25
	v_mul_f32_e32 v34, v26, v7
	v_mul_f32_e64 v1, v25, -v10
	v_fmac_f32_e32 v29, v10, v17
	v_mul_f32_e64 v31, v26, -v8
	v_fmac_f32_e32 v34, v8, v18
	v_fmac_f32_e32 v1, v9, v17
	;; [unrolled: 1-line block ×3, first 2 shown]
	v_sub_f32_e32 v37, v29, v34
	s_waitcnt vmcnt(3)
	v_mul_f32_e32 v34, v16, v54
	v_sub_f32_e32 v36, v1, v31
	v_mul_f32_e64 v29, v16, -v55
	v_fmac_f32_e32 v34, v55, v15
	global_store_dwordx2 v[38:39], v[36:37], off
	v_fmac_f32_e32 v29, v54, v15
	s_waitcnt vmcnt(3)
	v_mul_f32_e32 v36, v16, v58
	v_mul_f32_e64 v1, v34, -v10
	v_mul_f32_e64 v31, v16, -v59
	v_fmac_f32_e32 v36, v59, v15
	v_fmac_f32_e32 v1, v9, v29
	v_mul_f32_e32 v9, v9, v34
	v_fmac_f32_e32 v31, v58, v15
	v_fmac_f32_e32 v9, v10, v29
	v_mul_f32_e64 v10, v36, -v8
	v_mul_f32_e32 v37, v36, v7
	v_fmac_f32_e32 v10, v7, v31
	v_fmac_f32_e32 v37, v8, v31
	v_sub_f32_e32 v7, v1, v10
	v_sub_f32_e32 v8, v9, v37
	global_store_dwordx2 v[52:53], v[7:8], off
	v_mul_f32_e64 v7, v27, -v3
	v_mul_f32_e32 v1, v4, v27
	v_fma_f32 v8, -v4, v23, v7
	v_mul_f32_e64 v7, v28, -v6
	v_mul_f32_e32 v9, v5, v28
	v_fma_f32 v1, -v3, v23, v1
	v_fmac_f32_e32 v7, v5, v24
	v_fmac_f32_e32 v9, v6, v24
	v_add_f32_e32 v7, v1, v7
	v_add_f32_e32 v8, v8, v9
	global_store_dwordx2 v[40:41], v[7:8], off
	v_mul_f32_e64 v7, v33, -v3
	v_mul_f32_e32 v1, v4, v33
	v_fma_f32 v8, -v4, v30, v7
	v_mul_f32_e64 v7, v35, -v6
	v_mul_f32_e32 v9, v5, v35
	v_fma_f32 v1, -v3, v30, v1
	v_fmac_f32_e32 v7, v5, v32
	v_fmac_f32_e32 v9, v6, v32
	v_add_f32_e32 v7, v1, v7
	v_add_f32_e32 v8, v8, v9
	;; [unrolled: 11-line block ×3, first 2 shown]
	global_store_dwordx2 v[46:47], v[7:8], off
	v_mul_f32_e32 v1, v4, v34
	v_mul_f32_e64 v7, v34, -v3
	v_mul_f32_e64 v8, v36, -v6
	v_mul_f32_e32 v9, v5, v36
	v_fma_f32 v1, -v3, v29, v1
	v_fma_f32 v7, -v4, v29, v7
	v_fmac_f32_e32 v8, v5, v31
	v_fmac_f32_e32 v9, v6, v31
	v_add_f32_e32 v8, v1, v8
	v_add_f32_e32 v9, v7, v9
	v_mov_b32_e32 v7, 0
	v_mov_b32_e32 v1, 0
	global_store_dwordx2 v[56:57], v[8:9], off
	s_and_saveexec_b64 s[4:5], s[2:3]
	s_cbranch_execz .LBB200_16
; %bb.15:                               ;   in Loop: Header=BB200_5 Depth=1
	v_add_u32_e32 v7, v21, v20
	v_add_u32_e32 v1, s27, v7
	v_lshlrev_b64 v[8:9], 3, v[1:2]
	v_mov_b32_e32 v1, s9
	v_add_co_u32_e32 v37, vcc, s8, v8
	v_addc_co_u32_e32 v38, vcc, v1, v9, vcc
	v_add_u32_e32 v1, s28, v7
	v_lshlrev_b64 v[39:40], 3, v[1:2]
	global_load_dwordx2 v[9:10], v[37:38], off
	v_mov_b32_e32 v1, s9
	v_add_co_u32_e32 v39, vcc, s8, v39
	v_addc_co_u32_e32 v40, vcc, v1, v40, vcc
	global_load_dwordx2 v[41:42], v[39:40], off
	v_mul_f32_e32 v1, v4, v14
	v_mul_f32_e64 v8, v14, -v3
	v_mul_f32_e64 v43, v14, -v6
	v_mul_f32_e32 v44, v5, v14
	v_fma_f32 v48, -v3, v13, v1
	v_fma_f32 v49, -v4, v13, v8
	v_fmac_f32_e32 v43, v5, v13
	v_fmac_f32_e32 v44, v6, v13
	v_ashrrev_i32_e32 v8, 31, v7
	v_mul_f32_e32 v1, v49, v27
	v_mul_f32_e64 v27, v27, -v48
	v_mul_f32_e64 v50, v28, -v44
	v_mul_f32_e32 v28, v43, v28
	v_mul_f32_e32 v51, v49, v33
	v_mul_f32_e64 v52, v35, -v44
	v_lshlrev_b64 v[3:4], 3, v[7:8]
	v_mul_f32_e32 v35, v43, v35
	v_fma_f32 v8, -v48, v23, v1
	v_fma_f32 v23, -v49, v23, v27
	v_fmac_f32_e32 v50, v43, v24
	v_fmac_f32_e32 v28, v44, v24
	v_fma_f32 v24, -v48, v30, v51
	v_fmac_f32_e32 v52, v43, v32
	v_add_u32_e32 v1, s29, v7
	v_mov_b32_e32 v47, s15
	v_mul_f32_e64 v33, v33, -v48
	v_fmac_f32_e32 v35, v44, v32
	v_sub_f32_e32 v28, v23, v28
	v_sub_f32_e32 v32, v24, v52
	v_lshlrev_b64 v[23:24], 3, v[1:2]
	v_add_co_u32_e32 v3, vcc, s14, v3
	v_fma_f32 v27, -v49, v30, v33
	v_sub_f32_e32 v30, v8, v50
	v_add_u32_e32 v1, s30, v7
	v_addc_co_u32_e32 v4, vcc, v47, v4, vcc
	v_mov_b32_e32 v45, s9
	v_lshlrev_b64 v[7:8], 3, v[1:2]
	v_add_co_u32_e32 v23, vcc, s8, v23
	v_sub_f32_e32 v33, v27, v35
	v_addc_co_u32_e32 v24, vcc, v45, v24, vcc
	v_mov_b32_e32 v46, s9
	v_add_co_u32_e32 v7, vcc, s8, v7
	v_addc_co_u32_e32 v8, vcc, v46, v8, vcc
	global_load_dwordx2 v[3:4], v[3:4], off
	v_mul_f32_e64 v1, v6, -v14
	v_mul_f32_e32 v6, v6, v13
	v_fmac_f32_e32 v1, v13, v5
	v_fmac_f32_e32 v6, v14, v5
	v_mul_f32_e32 v5, v49, v25
	v_mul_f32_e64 v13, v25, -v48
	v_mul_f32_e64 v14, v26, -v44
	v_mul_f32_e32 v25, v43, v26
	v_mul_f32_e32 v26, v49, v34
	v_fma_f32 v5, -v48, v17, v5
	v_fma_f32 v13, -v49, v17, v13
	v_fmac_f32_e32 v14, v43, v18
	v_fmac_f32_e32 v25, v44, v18
	v_fma_f32 v17, -v48, v29, v26
	v_sub_f32_e32 v5, v5, v14
	s_waitcnt vmcnt(2)
	v_add_f32_e32 v9, v30, v9
	v_add_f32_e32 v10, v28, v10
	global_store_dwordx2 v[37:38], v[9:10], off
	global_load_dwordx2 v[27:28], v[23:24], off
	v_mul_f32_e64 v30, v34, -v48
	v_mul_f32_e64 v34, v12, -v6
	s_waitcnt vmcnt(3)
	v_add_f32_e32 v9, v32, v41
	v_add_f32_e32 v10, v33, v42
	global_store_dwordx2 v[39:40], v[9:10], off
	global_load_dwordx2 v[9:10], v[7:8], off
	v_mul_f32_e64 v32, v36, -v44
	v_mul_f32_e32 v33, v43, v36
	v_mul_f32_e32 v12, v12, v1
	v_fma_f32 v18, -v49, v29, v30
	v_fmac_f32_e32 v32, v43, v31
	v_fmac_f32_e32 v33, v44, v31
	v_fmac_f32_e32 v34, v1, v11
	v_fmac_f32_e32 v12, v6, v11
	v_sub_f32_e32 v6, v13, v25
	v_sub_f32_e32 v11, v17, v32
	;; [unrolled: 1-line block ×3, first 2 shown]
	v_mul_f32_e64 v1, v16, -v12
	v_mul_f32_e32 v14, v16, v34
	v_fmac_f32_e32 v1, v34, v15
	v_fmac_f32_e32 v14, v12, v15
	s_waitcnt vmcnt(4)
	v_sub_f32_e32 v1, v3, v1
	s_waitcnt vmcnt(2)
	v_add_f32_e32 v5, v5, v27
	v_add_f32_e32 v6, v6, v28
	global_store_dwordx2 v[23:24], v[5:6], off
	s_waitcnt vmcnt(1)
	v_add_f32_e32 v5, v11, v9
	v_add_f32_e32 v6, v13, v10
	global_store_dwordx2 v[7:8], v[5:6], off
	v_sub_f32_e32 v7, v4, v14
.LBB200_16:                             ;   in Loop: Header=BB200_5 Depth=1
	s_or_b64 exec, exec, s[4:5]
	v_mov_b32_e32 v6, v7
	v_mov_b32_e32 v5, v1
                                        ; implicit-def: $vgpr7_vgpr8
                                        ; implicit-def: $vgpr3
                                        ; implicit-def: $vgpr9
                                        ; implicit-def: $vgpr24
                                        ; implicit-def: $vgpr23
                                        ; implicit-def: $vgpr17
                                        ; implicit-def: $vgpr16
                                        ; implicit-def: $vgpr15
.LBB200_17:                             ;   in Loop: Header=BB200_5 Depth=1
	s_or_saveexec_b64 s[2:3], s[20:21]
	v_mov_b32_e32 v8, s26
	s_xor_b64 exec, exec, s[2:3]
	s_cbranch_execz .LBB200_4
; %bb.18:                               ;   in Loop: Header=BB200_5 Depth=1
	v_lshlrev_b64 v[11:12], 3, v[1:2]
	v_mov_b32_e32 v18, v2
	v_mov_b32_e32 v1, s9
	v_lshlrev_b64 v[13:14], 3, v[17:18]
	v_add_co_u32_e32 v25, vcc, s8, v11
	v_addc_co_u32_e32 v26, vcc, v1, v12, vcc
	v_mov_b32_e32 v8, s9
	v_add_co_u32_e32 v27, vcc, s8, v13
	v_mov_b32_e32 v17, v2
	v_addc_co_u32_e32 v28, vcc, v8, v14, vcc
	v_lshlrev_b64 v[13:14], 3, v[16:17]
	v_mov_b32_e32 v16, v2
	v_add_co_u32_e32 v29, vcc, s8, v13
	v_addc_co_u32_e32 v30, vcc, v1, v14, vcc
	v_lshlrev_b64 v[13:14], 3, v[15:16]
	global_load_dwordx2 v[11:12], v[25:26], off
	v_add_co_u32_e32 v35, vcc, s8, v13
	v_addc_co_u32_e32 v36, vcc, v1, v14, vcc
	global_load_dwordx2 v[31:32], v[27:28], off
	global_load_dwordx2 v[33:34], v[29:30], off
	;; [unrolled: 1-line block ×3, first 2 shown]
	v_mul_f32_e32 v1, v6, v6
	v_fmac_f32_e32 v1, v5, v5
	v_div_scale_f32 v8, s[4:5], v1, v1, 1.0
	v_div_scale_f32 v13, vcc, 1.0, v1, 1.0
	v_rcp_f32_e32 v14, v8
	v_fma_f32 v15, -v8, v14, 1.0
	v_fmac_f32_e32 v14, v15, v14
	v_mul_f32_e32 v15, v13, v14
	v_fma_f32 v16, -v8, v15, v13
	v_fmac_f32_e32 v15, v16, v14
	v_fma_f32 v8, -v8, v15, v13
	v_div_fmas_f32 v8, v8, v14, v15
	v_fma_f32 v13, 0, v6, v5
	v_fma_f32 v5, v5, 0, -v6
	v_div_fixup_f32 v1, v8, v1, 1.0
	v_mul_f32_e32 v17, v5, v1
	v_mul_f32_e32 v8, v13, v1
	s_waitcnt vmcnt(3)
	v_mul_f32_e64 v15, v17, -v12
	v_mul_f32_e32 v16, v17, v11
	v_fmac_f32_e32 v15, v11, v8
	v_fmac_f32_e32 v16, v12, v8
	s_waitcnt vmcnt(2)
	v_mul_f32_e64 v13, v17, -v32
	v_mul_f32_e32 v14, v17, v31
	s_waitcnt vmcnt(1)
	v_mul_f32_e64 v11, v17, -v34
	v_mul_f32_e32 v12, v17, v33
	;; [unrolled: 3-line block ×3, first 2 shown]
	v_fmac_f32_e32 v13, v31, v8
	v_fmac_f32_e32 v14, v32, v8
	;; [unrolled: 1-line block ×6, first 2 shown]
	global_store_dwordx2 v[25:26], v[15:16], off
	global_store_dwordx2 v[27:28], v[13:14], off
	;; [unrolled: 1-line block ×4, first 2 shown]
	s_and_saveexec_b64 s[4:5], s[0:1]
	s_cbranch_execz .LBB200_3
; %bb.19:                               ;   in Loop: Header=BB200_5 Depth=1
	v_add_u32_e32 v18, v19, v20
	v_add_u32_e32 v1, s27, v18
	v_lshlrev_b64 v[25:26], 3, v[1:2]
	v_mov_b32_e32 v1, s9
	v_add_co_u32_e32 v25, vcc, s8, v25
	v_addc_co_u32_e32 v26, vcc, v1, v26, vcc
	global_load_dwordx2 v[27:28], v[25:26], off
	s_waitcnt vmcnt(0)
	v_fma_f32 v1, -v4, v15, v28
	v_fma_f32 v27, -v3, v15, v27
	v_fma_f32 v28, -v3, v16, v1
	v_add_u32_e32 v1, s28, v18
	v_fmac_f32_e32 v27, v4, v16
	v_lshlrev_b64 v[15:16], 3, v[1:2]
	v_mov_b32_e32 v1, s9
	v_add_co_u32_e32 v15, vcc, s8, v15
	v_addc_co_u32_e32 v16, vcc, v1, v16, vcc
	global_store_dwordx2 v[25:26], v[27:28], off
	global_load_dwordx2 v[25:26], v[15:16], off
	s_waitcnt vmcnt(0)
	v_fma_f32 v1, -v4, v13, v26
	v_fma_f32 v25, -v3, v13, v25
	v_fma_f32 v26, -v3, v14, v1
	v_add_u32_e32 v1, s29, v18
	v_fmac_f32_e32 v25, v4, v14
	v_lshlrev_b64 v[13:14], 3, v[1:2]
	v_mov_b32_e32 v1, s9
	v_add_co_u32_e32 v13, vcc, s8, v13
	v_addc_co_u32_e32 v14, vcc, v1, v14, vcc
	global_store_dwordx2 v[15:16], v[25:26], off
	;; [unrolled: 12-line block ×3, first 2 shown]
	global_load_dwordx2 v[13:14], v[11:12], off
	s_waitcnt vmcnt(0)
	v_fma_f32 v13, -v3, v5, v13
	v_fma_f32 v1, -v4, v5, v14
	v_fmac_f32_e32 v13, v4, v6
	v_fma_f32 v14, -v3, v6, v1
	global_store_dwordx2 v[11:12], v[13:14], off
	s_branch .LBB200_3
.LBB200_20:
	s_or_b64 exec, exec, s[18:19]
	s_branch .LBB200_22
.LBB200_21:
	v_mov_b32_e32 v20, 0
.LBB200_22:
	v_subrev_u32_e32 v3, s22, v20
	v_add_u32_e32 v1, v3, v0
	v_ashrrev_i32_e32 v2, 31, v1
	v_lshlrev_b64 v[1:2], 2, v[1:2]
	s_waitcnt lgkmcnt(0)
	v_mov_b32_e32 v4, s17
	v_add_co_u32_e32 v1, vcc, s16, v1
	v_addc_co_u32_e32 v2, vcc, v4, v2, vcc
	s_waitcnt vmcnt(0)
	buffer_wbinvl1_vol
	global_load_dword v1, v[1:2], off
	s_waitcnt vmcnt(0)
	v_mul_lo_u32 v1, v1, s22
	v_sub_u32_e32 v7, v3, v1
	v_cmp_lt_i32_e32 vcc, -1, v7
	s_and_b64 exec, exec, vcc
	s_cbranch_execz .LBB200_29
; %bb.23:
	s_lshl_b32 s4, s24, 2
	s_add_i32 s5, s4, s23
	s_add_i32 s6, s5, s23
	;; [unrolled: 1-line block ×3, first 2 shown]
	s_lshl_b32 s12, s22, 1
	s_mov_b64 s[0:1], 0
	v_mov_b32_e32 v8, s17
	v_mov_b32_e32 v9, s11
	;; [unrolled: 1-line block ×3, first 2 shown]
	s_branch .LBB200_25
.LBB200_24:                             ;   in Loop: Header=BB200_25 Depth=1
	s_or_b64 exec, exec, s[2:3]
	v_sub_u32_e32 v7, v7, v1
	v_cmp_gt_i32_e32 vcc, 0, v7
	s_or_b64 s[0:1], vcc, s[0:1]
	s_andn2_b64 exec, exec, s[0:1]
	s_cbranch_execz .LBB200_29
.LBB200_25:                             ; =>This Inner Loop Header: Depth=1
	v_add_u32_e32 v5, v7, v0
	v_ashrrev_i32_e32 v6, 31, v5
	s_waitcnt vmcnt(0)
	v_lshlrev_b64 v[3:4], 2, v[5:6]
	v_add_co_u32_e32 v3, vcc, s16, v3
	v_addc_co_u32_e32 v4, vcc, v8, v4, vcc
	global_load_dword v1, v[3:4], off
	v_lshlrev_b64 v[3:4], 3, v[5:6]
	v_add_co_u32_e32 v3, vcc, s10, v3
	v_addc_co_u32_e32 v4, vcc, v9, v4, vcc
	global_load_dwordx2 v[3:4], v[3:4], off
	s_waitcnt vmcnt(1)
	v_cmp_ne_u32_e32 vcc, 1, v1
	s_and_saveexec_b64 s[2:3], vcc
	s_xor_b64 s[2:3], exec, s[2:3]
	s_cbranch_execz .LBB200_27
; %bb.26:                               ;   in Loop: Header=BB200_25 Depth=1
	v_add_u32_e32 v6, v19, v7
	v_add_u32_e32 v1, s4, v6
	v_lshlrev_b64 v[10:11], 3, v[1:2]
	v_mov_b32_e32 v1, s9
	v_add_co_u32_e32 v10, vcc, s8, v10
	v_addc_co_u32_e32 v11, vcc, v1, v11, vcc
	v_add_u32_e32 v1, s5, v6
	v_lshlrev_b64 v[12:13], 3, v[1:2]
	v_add_u32_e32 v1, s6, v6
	v_lshlrev_b64 v[14:15], 3, v[1:2]
	;; [unrolled: 2-line block ×4, first 2 shown]
	v_mov_b32_e32 v1, s9
	v_add_co_u32_e32 v20, vcc, s8, v20
	v_addc_co_u32_e32 v21, vcc, v1, v21, vcc
	global_load_dwordx2 v[10:11], v[10:11], off
	v_add_co_u32_e32 v12, vcc, s8, v12
	global_load_dwordx2 v[22:23], v[20:21], off
	v_addc_co_u32_e32 v13, vcc, v1, v13, vcc
	v_mov_b32_e32 v6, s9
	v_add_co_u32_e32 v14, vcc, s8, v14
	v_addc_co_u32_e32 v15, vcc, v6, v15, vcc
	v_add_u32_e32 v1, s5, v5
	v_mov_b32_e32 v18, s9
	v_add_co_u32_e32 v16, vcc, s8, v16
	v_lshlrev_b64 v[24:25], 3, v[1:2]
	v_addc_co_u32_e32 v17, vcc, v18, v17, vcc
	global_load_dwordx2 v[26:27], v[12:13], off
	global_load_dwordx2 v[28:29], v[14:15], off
	global_load_dwordx2 v[30:31], v[16:17], off
	v_mov_b32_e32 v32, s9
	v_add_co_u32_e32 v12, vcc, s8, v24
	v_addc_co_u32_e32 v13, vcc, v32, v25, vcc
	s_waitcnt vmcnt(3)
	v_fma_f32 v14, -v3, v10, v22
	v_fma_f32 v1, -v4, v10, v23
	v_fmac_f32_e32 v14, v4, v11
	v_fma_f32 v15, -v3, v11, v1
	global_store_dwordx2 v[20:21], v[14:15], off
	global_load_dwordx2 v[14:15], v[12:13], off
	v_add_u32_e32 v1, s6, v5
	v_lshlrev_b64 v[16:17], 3, v[1:2]
	v_mov_b32_e32 v20, s9
	v_add_co_u32_e32 v16, vcc, s8, v16
	v_addc_co_u32_e32 v17, vcc, v6, v17, vcc
	s_waitcnt vmcnt(0)
	v_fma_f32 v14, -v3, v26, v14
	v_fma_f32 v1, -v4, v26, v15
	v_fmac_f32_e32 v14, v4, v27
	v_fma_f32 v15, -v3, v27, v1
	global_store_dwordx2 v[12:13], v[14:15], off
	global_load_dwordx2 v[12:13], v[16:17], off
	v_add_u32_e32 v1, s7, v5
	v_lshlrev_b64 v[5:6], 3, v[1:2]
	v_mov_b32_e32 v14, s9
	v_add_co_u32_e32 v5, vcc, s8, v5
	v_addc_co_u32_e32 v6, vcc, v14, v6, vcc
	s_waitcnt vmcnt(0)
	v_fma_f32 v12, -v3, v28, v12
	v_fma_f32 v1, -v4, v28, v13
	v_fmac_f32_e32 v12, v4, v29
	v_fma_f32 v13, -v3, v29, v1
	global_store_dwordx2 v[16:17], v[12:13], off
	global_load_dwordx2 v[12:13], v[5:6], off
	v_subrev_u32_e32 v1, s22, v7
	v_add_u32_e32 v14, v1, v0
	v_ashrrev_i32_e32 v15, 31, v14
	v_lshlrev_b64 v[15:16], 3, v[14:15]
	v_mov_b32_e32 v17, s11
	v_add_co_u32_e32 v15, vcc, s10, v15
	v_add_u32_e32 v1, s4, v14
	v_addc_co_u32_e32 v16, vcc, v17, v16, vcc
	v_lshlrev_b64 v[17:18], 3, v[1:2]
	global_load_dwordx2 v[15:16], v[15:16], off
	v_add_co_u32_e32 v17, vcc, s8, v17
	v_addc_co_u32_e32 v18, vcc, v20, v18, vcc
	s_waitcnt vmcnt(1)
	v_fma_f32 v12, -v3, v30, v12
	v_fma_f32 v1, -v4, v30, v13
	v_fmac_f32_e32 v12, v4, v31
	v_fma_f32 v13, -v3, v31, v1
	global_store_dwordx2 v[5:6], v[12:13], off
	global_load_dwordx2 v[3:4], v[17:18], off
	v_add_u32_e32 v1, s5, v14
	v_lshlrev_b64 v[5:6], 3, v[1:2]
	v_mov_b32_e32 v12, s9
	v_add_co_u32_e32 v5, vcc, s8, v5
	v_addc_co_u32_e32 v6, vcc, v12, v6, vcc
	s_waitcnt vmcnt(0)
	v_fma_f32 v3, -v15, v10, v3
	v_fma_f32 v1, -v16, v10, v4
	v_fmac_f32_e32 v3, v16, v11
	v_fma_f32 v4, -v15, v11, v1
	global_store_dwordx2 v[17:18], v[3:4], off
	global_load_dwordx2 v[3:4], v[5:6], off
	v_add_u32_e32 v1, s6, v14
	v_lshlrev_b64 v[10:11], 3, v[1:2]
	v_add_co_u32_e32 v10, vcc, s8, v10
	v_addc_co_u32_e32 v11, vcc, v12, v11, vcc
	s_waitcnt vmcnt(0)
	v_fma_f32 v3, -v15, v26, v3
	v_fma_f32 v1, -v16, v26, v4
	v_fmac_f32_e32 v3, v16, v27
	v_fma_f32 v4, -v15, v27, v1
	global_store_dwordx2 v[5:6], v[3:4], off
	global_load_dwordx2 v[3:4], v[10:11], off
	v_add_u32_e32 v1, s7, v14
	v_lshlrev_b64 v[5:6], 3, v[1:2]
	v_add_co_u32_e32 v5, vcc, s8, v5
	v_addc_co_u32_e32 v6, vcc, v12, v6, vcc
	s_waitcnt vmcnt(0)
	v_fma_f32 v3, -v15, v28, v3
	v_fma_f32 v1, -v16, v28, v4
	v_fmac_f32_e32 v3, v16, v29
	v_fma_f32 v4, -v15, v29, v1
	global_store_dwordx2 v[10:11], v[3:4], off
	global_load_dwordx2 v[3:4], v[5:6], off
	s_waitcnt vmcnt(0)
	v_fma_f32 v3, -v15, v30, v3
	v_fma_f32 v1, -v16, v30, v4
	v_fmac_f32_e32 v3, v16, v31
	v_fma_f32 v4, -v15, v31, v1
	global_store_dwordx2 v[5:6], v[3:4], off
                                        ; implicit-def: $vgpr5
                                        ; implicit-def: $vgpr3_vgpr4
.LBB200_27:                             ;   in Loop: Header=BB200_25 Depth=1
	s_or_saveexec_b64 s[2:3], s[2:3]
	v_mov_b32_e32 v1, s12
	s_xor_b64 exec, exec, s[2:3]
	s_cbranch_execz .LBB200_24
; %bb.28:                               ;   in Loop: Header=BB200_25 Depth=1
	v_add_u32_e32 v6, v19, v7
	v_add_u32_e32 v1, s4, v6
	v_lshlrev_b64 v[10:11], 3, v[1:2]
	v_mov_b32_e32 v1, s9
	v_add_co_u32_e32 v10, vcc, s8, v10
	v_addc_co_u32_e32 v11, vcc, v1, v11, vcc
	v_add_u32_e32 v1, s4, v5
	v_lshlrev_b64 v[12:13], 3, v[1:2]
	v_mov_b32_e32 v1, s9
	v_add_co_u32_e32 v12, vcc, s8, v12
	v_addc_co_u32_e32 v13, vcc, v1, v13, vcc
	global_load_dwordx2 v[14:15], v[10:11], off
	global_load_dwordx2 v[16:17], v[12:13], off
	v_add_u32_e32 v1, s5, v6
	v_lshlrev_b64 v[10:11], 3, v[1:2]
	v_add_u32_e32 v1, s5, v5
	v_mov_b32_e32 v18, s9
	v_lshlrev_b64 v[20:21], 3, v[1:2]
	v_add_co_u32_e32 v10, vcc, s8, v10
	v_addc_co_u32_e32 v11, vcc, v18, v11, vcc
	v_mov_b32_e32 v22, s9
	v_add_co_u32_e32 v20, vcc, s8, v20
	v_addc_co_u32_e32 v21, vcc, v22, v21, vcc
	s_waitcnt vmcnt(0)
	v_fma_f32 v16, -v3, v14, v16
	v_fma_f32 v1, -v4, v14, v17
	v_fmac_f32_e32 v16, v4, v15
	v_fma_f32 v17, -v3, v15, v1
	global_store_dwordx2 v[12:13], v[16:17], off
	global_load_dwordx2 v[12:13], v[10:11], off
	s_nop 0
	global_load_dwordx2 v[14:15], v[20:21], off
	v_add_u32_e32 v1, s6, v6
	v_lshlrev_b64 v[10:11], 3, v[1:2]
	v_add_u32_e32 v1, s6, v5
	v_lshlrev_b64 v[16:17], 3, v[1:2]
	v_add_co_u32_e32 v10, vcc, s8, v10
	v_addc_co_u32_e32 v11, vcc, v18, v11, vcc
	v_add_co_u32_e32 v16, vcc, s8, v16
	v_addc_co_u32_e32 v17, vcc, v22, v17, vcc
	s_waitcnt vmcnt(0)
	v_fma_f32 v14, -v3, v12, v14
	v_fma_f32 v1, -v4, v12, v15
	v_fmac_f32_e32 v14, v4, v13
	v_fma_f32 v15, -v3, v13, v1
	global_store_dwordx2 v[20:21], v[14:15], off
	global_load_dwordx2 v[12:13], v[10:11], off
	s_nop 0
	global_load_dwordx2 v[14:15], v[16:17], off
	v_add_u32_e32 v1, s7, v6
	v_lshlrev_b64 v[10:11], 3, v[1:2]
	v_add_u32_e32 v1, s7, v5
	v_lshlrev_b64 v[5:6], 3, v[1:2]
	v_add_co_u32_e32 v10, vcc, s8, v10
	v_addc_co_u32_e32 v11, vcc, v18, v11, vcc
	v_mov_b32_e32 v20, s9
	v_add_co_u32_e32 v5, vcc, s8, v5
	v_addc_co_u32_e32 v6, vcc, v20, v6, vcc
	s_waitcnt vmcnt(0)
	v_fma_f32 v14, -v3, v12, v14
	v_fma_f32 v1, -v4, v12, v15
	v_fmac_f32_e32 v14, v4, v13
	v_fma_f32 v15, -v3, v13, v1
	global_store_dwordx2 v[16:17], v[14:15], off
	global_load_dwordx2 v[12:13], v[10:11], off
	s_nop 0
	global_load_dwordx2 v[14:15], v[5:6], off
	s_waitcnt vmcnt(0)
	v_fma_f32 v10, -v3, v12, v14
	v_fma_f32 v1, -v4, v12, v15
	v_fmac_f32_e32 v10, v4, v13
	v_fma_f32 v11, -v3, v13, v1
	v_mov_b32_e32 v1, s22
	global_store_dwordx2 v[5:6], v[10:11], off
	s_branch .LBB200_24
.LBB200_29:
	s_endpgm
	.section	.rodata,"a",@progbits
	.p2align	6, 0x0
	.amdhsa_kernel _ZN9rocsparseL19gtsv_LBM_rhs_kernelILj256ELj4ELj4E21rocsparse_complex_numIfEEEviiiPKT2_S5_S5_PS3_S5_PKi
		.amdhsa_group_segment_fixed_size 0
		.amdhsa_private_segment_fixed_size 0
		.amdhsa_kernarg_size 64
		.amdhsa_user_sgpr_count 6
		.amdhsa_user_sgpr_private_segment_buffer 1
		.amdhsa_user_sgpr_dispatch_ptr 0
		.amdhsa_user_sgpr_queue_ptr 0
		.amdhsa_user_sgpr_kernarg_segment_ptr 1
		.amdhsa_user_sgpr_dispatch_id 0
		.amdhsa_user_sgpr_flat_scratch_init 0
		.amdhsa_user_sgpr_private_segment_size 0
		.amdhsa_uses_dynamic_stack 0
		.amdhsa_system_sgpr_private_segment_wavefront_offset 0
		.amdhsa_system_sgpr_workgroup_id_x 1
		.amdhsa_system_sgpr_workgroup_id_y 1
		.amdhsa_system_sgpr_workgroup_id_z 0
		.amdhsa_system_sgpr_workgroup_info 0
		.amdhsa_system_vgpr_workitem_id 0
		.amdhsa_next_free_vgpr 61
		.amdhsa_next_free_sgpr 31
		.amdhsa_reserve_vcc 1
		.amdhsa_reserve_flat_scratch 0
		.amdhsa_float_round_mode_32 0
		.amdhsa_float_round_mode_16_64 0
		.amdhsa_float_denorm_mode_32 3
		.amdhsa_float_denorm_mode_16_64 3
		.amdhsa_dx10_clamp 1
		.amdhsa_ieee_mode 1
		.amdhsa_fp16_overflow 0
		.amdhsa_exception_fp_ieee_invalid_op 0
		.amdhsa_exception_fp_denorm_src 0
		.amdhsa_exception_fp_ieee_div_zero 0
		.amdhsa_exception_fp_ieee_overflow 0
		.amdhsa_exception_fp_ieee_underflow 0
		.amdhsa_exception_fp_ieee_inexact 0
		.amdhsa_exception_int_div_zero 0
	.end_amdhsa_kernel
	.section	.text._ZN9rocsparseL19gtsv_LBM_rhs_kernelILj256ELj4ELj4E21rocsparse_complex_numIfEEEviiiPKT2_S5_S5_PS3_S5_PKi,"axG",@progbits,_ZN9rocsparseL19gtsv_LBM_rhs_kernelILj256ELj4ELj4E21rocsparse_complex_numIfEEEviiiPKT2_S5_S5_PS3_S5_PKi,comdat
.Lfunc_end200:
	.size	_ZN9rocsparseL19gtsv_LBM_rhs_kernelILj256ELj4ELj4E21rocsparse_complex_numIfEEEviiiPKT2_S5_S5_PS3_S5_PKi, .Lfunc_end200-_ZN9rocsparseL19gtsv_LBM_rhs_kernelILj256ELj4ELj4E21rocsparse_complex_numIfEEEviiiPKT2_S5_S5_PS3_S5_PKi
                                        ; -- End function
	.set _ZN9rocsparseL19gtsv_LBM_rhs_kernelILj256ELj4ELj4E21rocsparse_complex_numIfEEEviiiPKT2_S5_S5_PS3_S5_PKi.num_vgpr, 61
	.set _ZN9rocsparseL19gtsv_LBM_rhs_kernelILj256ELj4ELj4E21rocsparse_complex_numIfEEEviiiPKT2_S5_S5_PS3_S5_PKi.num_agpr, 0
	.set _ZN9rocsparseL19gtsv_LBM_rhs_kernelILj256ELj4ELj4E21rocsparse_complex_numIfEEEviiiPKT2_S5_S5_PS3_S5_PKi.numbered_sgpr, 31
	.set _ZN9rocsparseL19gtsv_LBM_rhs_kernelILj256ELj4ELj4E21rocsparse_complex_numIfEEEviiiPKT2_S5_S5_PS3_S5_PKi.num_named_barrier, 0
	.set _ZN9rocsparseL19gtsv_LBM_rhs_kernelILj256ELj4ELj4E21rocsparse_complex_numIfEEEviiiPKT2_S5_S5_PS3_S5_PKi.private_seg_size, 0
	.set _ZN9rocsparseL19gtsv_LBM_rhs_kernelILj256ELj4ELj4E21rocsparse_complex_numIfEEEviiiPKT2_S5_S5_PS3_S5_PKi.uses_vcc, 1
	.set _ZN9rocsparseL19gtsv_LBM_rhs_kernelILj256ELj4ELj4E21rocsparse_complex_numIfEEEviiiPKT2_S5_S5_PS3_S5_PKi.uses_flat_scratch, 0
	.set _ZN9rocsparseL19gtsv_LBM_rhs_kernelILj256ELj4ELj4E21rocsparse_complex_numIfEEEviiiPKT2_S5_S5_PS3_S5_PKi.has_dyn_sized_stack, 0
	.set _ZN9rocsparseL19gtsv_LBM_rhs_kernelILj256ELj4ELj4E21rocsparse_complex_numIfEEEviiiPKT2_S5_S5_PS3_S5_PKi.has_recursion, 0
	.set _ZN9rocsparseL19gtsv_LBM_rhs_kernelILj256ELj4ELj4E21rocsparse_complex_numIfEEEviiiPKT2_S5_S5_PS3_S5_PKi.has_indirect_call, 0
	.section	.AMDGPU.csdata,"",@progbits
; Kernel info:
; codeLenInByte = 4376
; TotalNumSgprs: 35
; NumVgprs: 61
; ScratchSize: 0
; MemoryBound: 0
; FloatMode: 240
; IeeeMode: 1
; LDSByteSize: 0 bytes/workgroup (compile time only)
; SGPRBlocks: 4
; VGPRBlocks: 15
; NumSGPRsForWavesPerEU: 35
; NumVGPRsForWavesPerEU: 61
; Occupancy: 4
; WaveLimiterHint : 0
; COMPUTE_PGM_RSRC2:SCRATCH_EN: 0
; COMPUTE_PGM_RSRC2:USER_SGPR: 6
; COMPUTE_PGM_RSRC2:TRAP_HANDLER: 0
; COMPUTE_PGM_RSRC2:TGID_X_EN: 1
; COMPUTE_PGM_RSRC2:TGID_Y_EN: 1
; COMPUTE_PGM_RSRC2:TGID_Z_EN: 0
; COMPUTE_PGM_RSRC2:TIDIG_COMP_CNT: 0
	.section	.text._ZN9rocsparseL19gtsv_LBM_rhs_kernelILj256ELj4ELj2E21rocsparse_complex_numIfEEEviiiPKT2_S5_S5_PS3_S5_PKi,"axG",@progbits,_ZN9rocsparseL19gtsv_LBM_rhs_kernelILj256ELj4ELj2E21rocsparse_complex_numIfEEEviiiPKT2_S5_S5_PS3_S5_PKi,comdat
	.globl	_ZN9rocsparseL19gtsv_LBM_rhs_kernelILj256ELj4ELj2E21rocsparse_complex_numIfEEEviiiPKT2_S5_S5_PS3_S5_PKi ; -- Begin function _ZN9rocsparseL19gtsv_LBM_rhs_kernelILj256ELj4ELj2E21rocsparse_complex_numIfEEEviiiPKT2_S5_S5_PS3_S5_PKi
	.p2align	8
	.type	_ZN9rocsparseL19gtsv_LBM_rhs_kernelILj256ELj4ELj2E21rocsparse_complex_numIfEEEviiiPKT2_S5_S5_PS3_S5_PKi,@function
_ZN9rocsparseL19gtsv_LBM_rhs_kernelILj256ELj4ELj2E21rocsparse_complex_numIfEEEviiiPKT2_S5_S5_PS3_S5_PKi: ; @_ZN9rocsparseL19gtsv_LBM_rhs_kernelILj256ELj4ELj2E21rocsparse_complex_numIfEEEviiiPKT2_S5_S5_PS3_S5_PKi
; %bb.0:
	s_load_dword s23, s[4:5], 0x0
	v_lshl_or_b32 v0, s6, 8, v0
	s_waitcnt lgkmcnt(0)
	s_lshr_b32 s22, s23, 2
	v_cmp_gt_i32_e32 vcc, s22, v0
	s_and_saveexec_b64 s[0:1], vcc
	s_cbranch_execz .LBB201_29
; %bb.1:
	s_load_dwordx4 s[8:11], s[4:5], 0x28
	s_load_dwordx2 s[16:17], s[4:5], 0x38
	s_cmp_lt_i32 s23, 1
	v_add_u32_e32 v17, s22, v0
	s_mul_i32 s24, s7, s23
	s_cbranch_scc1 .LBB201_21
; %bb.2:
	s_load_dwordx4 s[12:15], s[4:5], 0x10
	s_load_dwordx2 s[6:7], s[4:5], 0x20
	v_ashrrev_i32_e32 v1, 31, v0
	v_lshlrev_b64 v[1:2], 3, v[0:1]
	s_lshl_b32 s27, s24, 1
	s_waitcnt lgkmcnt(0)
	v_mov_b32_e32 v3, s15
	v_add_co_u32_e32 v1, vcc, s14, v1
	v_addc_co_u32_e32 v2, vcc, v3, v2, vcc
	global_load_dwordx2 v[5:6], v[1:2], off
	s_mul_i32 s25, s22, 3
	s_lshl_b32 s26, s22, 1
	v_add_u32_e32 v19, s22, v17
	s_add_i32 s28, s27, s23
	v_mov_b32_e32 v2, 0
	s_mov_b64 s[18:19], 0
	v_mov_b32_e32 v20, s7
	v_mov_b32_e32 v18, 0
	s_branch .LBB201_5
.LBB201_3:                              ;   in Loop: Header=BB201_5 Depth=1
	s_or_b64 exec, exec, s[4:5]
	v_fmac_f32_e32 v22, v3, v7
	v_fmac_f32_e32 v21, v4, v7
	v_mul_f32_e64 v1, v13, -v21
	v_mul_f32_e32 v3, v13, v22
	v_fmac_f32_e32 v1, v22, v10
	v_fmac_f32_e32 v3, v21, v10
	v_sub_f32_e32 v5, v11, v1
	v_sub_f32_e32 v6, v12, v3
	v_mov_b32_e32 v8, s22
.LBB201_4:                              ;   in Loop: Header=BB201_5 Depth=1
	s_or_b64 exec, exec, s[2:3]
	v_add_u32_e32 v18, v8, v18
	v_cmp_le_i32_e32 vcc, s23, v18
	s_or_b64 s[18:19], vcc, s[18:19]
	s_andn2_b64 exec, exec, s[18:19]
	s_cbranch_execz .LBB201_20
.LBB201_5:                              ; =>This Inner Loop Header: Depth=1
	v_add_u32_e32 v15, v18, v0
	v_ashrrev_i32_e32 v16, 31, v15
	v_lshlrev_b64 v[3:4], 3, v[15:16]
	v_cmp_gt_u32_e64 s[0:1], s25, v18
	v_add_co_u32_e32 v3, vcc, s6, v3
	v_addc_co_u32_e32 v4, vcc, v20, v4, vcc
	global_load_dwordx2 v[7:8], v[3:4], off
	v_mov_b32_e32 v3, 0
	v_mov_b32_e32 v4, 0
	s_and_saveexec_b64 s[2:3], s[0:1]
	s_cbranch_execz .LBB201_7
; %bb.6:                                ;   in Loop: Header=BB201_5 Depth=1
	v_add_u32_e32 v3, v17, v18
	v_ashrrev_i32_e32 v4, 31, v3
	v_lshlrev_b64 v[3:4], 3, v[3:4]
	v_mov_b32_e32 v1, s13
	v_add_co_u32_e32 v3, vcc, s12, v3
	v_addc_co_u32_e32 v4, vcc, v1, v4, vcc
	global_load_dwordx2 v[3:4], v[3:4], off
.LBB201_7:                              ;   in Loop: Header=BB201_5 Depth=1
	s_or_b64 exec, exec, s[2:3]
	v_mov_b32_e32 v9, 0
	v_mov_b32_e32 v11, 0
	;; [unrolled: 1-line block ×3, first 2 shown]
	s_and_saveexec_b64 s[2:3], s[0:1]
	s_cbranch_execz .LBB201_9
; %bb.8:                                ;   in Loop: Header=BB201_5 Depth=1
	v_add_u32_e32 v10, v17, v18
	v_ashrrev_i32_e32 v11, 31, v10
	v_lshlrev_b64 v[10:11], 3, v[10:11]
	v_mov_b32_e32 v1, s15
	v_add_co_u32_e32 v10, vcc, s14, v10
	v_addc_co_u32_e32 v11, vcc, v1, v11, vcc
	global_load_dwordx2 v[11:12], v[10:11], off
.LBB201_9:                              ;   in Loop: Header=BB201_5 Depth=1
	s_or_b64 exec, exec, s[2:3]
	v_mov_b32_e32 v10, 0
	s_and_saveexec_b64 s[2:3], s[0:1]
	s_cbranch_execz .LBB201_11
; %bb.10:                               ;   in Loop: Header=BB201_5 Depth=1
	v_add_u32_e32 v9, v17, v18
	v_ashrrev_i32_e32 v10, 31, v9
	v_lshlrev_b64 v[9:10], 3, v[9:10]
	v_mov_b32_e32 v1, s7
	v_add_co_u32_e32 v9, vcc, s6, v9
	v_addc_co_u32_e32 v10, vcc, v1, v10, vcc
	global_load_dwordx2 v[9:10], v[9:10], off
.LBB201_11:                             ;   in Loop: Header=BB201_5 Depth=1
	s_or_b64 exec, exec, s[2:3]
	v_cmp_gt_u32_e64 s[2:3], s26, v18
	v_mov_b32_e32 v13, 0
	v_mov_b32_e32 v14, 0
	s_and_saveexec_b64 s[4:5], s[2:3]
	s_cbranch_execz .LBB201_13
; %bb.12:                               ;   in Loop: Header=BB201_5 Depth=1
	v_add_u32_e32 v13, v19, v18
	v_ashrrev_i32_e32 v14, 31, v13
	v_lshlrev_b64 v[13:14], 3, v[13:14]
	v_mov_b32_e32 v1, s13
	v_add_co_u32_e32 v13, vcc, s12, v13
	v_addc_co_u32_e32 v14, vcc, v1, v14, vcc
	global_load_dwordx2 v[13:14], v[13:14], off
.LBB201_13:                             ;   in Loop: Header=BB201_5 Depth=1
	s_or_b64 exec, exec, s[4:5]
	v_lshlrev_b64 v[21:22], 2, v[15:16]
	v_mov_b32_e32 v1, s17
	v_add_co_u32_e32 v21, vcc, s16, v21
	v_addc_co_u32_e32 v22, vcc, v1, v22, vcc
	global_load_dword v16, v[21:22], off
	v_cmp_ne_u32_e32 vcc, s25, v18
	s_waitcnt vmcnt(1)
	v_mul_f32_e64 v22, v8, -v4
	v_mul_f32_e32 v21, v3, v8
	v_add_u32_e32 v1, s27, v15
	v_add_u32_e32 v15, s28, v15
	s_waitcnt vmcnt(0)
	v_cmp_ne_u32_e64 s[4:5], 1, v16
	s_and_b64 s[4:5], vcc, s[4:5]
	s_and_saveexec_b64 s[20:21], s[4:5]
	s_xor_b64 s[20:21], exec, s[20:21]
	s_cbranch_execz .LBB201_17
; %bb.14:                               ;   in Loop: Header=BB201_5 Depth=1
	v_lshlrev_b64 v[23:24], 3, v[1:2]
	v_mov_b32_e32 v16, v2
	v_mov_b32_e32 v1, s9
	v_add_co_u32_e32 v25, vcc, s8, v23
	v_lshlrev_b64 v[15:16], 3, v[15:16]
	v_addc_co_u32_e32 v26, vcc, v1, v24, vcc
	v_mul_f32_e32 v23, v5, v12
	v_add_co_u32_e32 v29, vcc, s8, v15
	v_mul_f32_e64 v15, v12, -v6
	v_fmac_f32_e32 v23, v6, v11
	v_fmac_f32_e32 v21, v4, v7
	;; [unrolled: 1-line block ×4, first 2 shown]
	v_sub_f32_e32 v21, v23, v21
	v_sub_f32_e32 v22, v15, v22
	v_mul_f32_e32 v23, v21, v21
	v_fmac_f32_e32 v23, v22, v22
	v_div_scale_f32 v24, s[4:5], v23, v23, 1.0
	v_addc_co_u32_e32 v30, vcc, v1, v16, vcc
	v_div_scale_f32 v35, vcc, 1.0, v23, 1.0
	v_add_u32_e32 v27, v17, v18
	v_add_u32_e32 v1, s27, v27
	v_lshlrev_b64 v[15:16], 3, v[1:2]
	v_mov_b32_e32 v1, s9
	v_add_co_u32_e64 v31, s[4:5], s8, v15
	v_addc_co_u32_e64 v32, s[4:5], v1, v16, s[4:5]
	v_add_u32_e32 v1, s28, v27
	v_lshlrev_b64 v[15:16], 3, v[1:2]
	v_rcp_f32_e32 v36, v24
	v_mov_b32_e32 v1, s9
	v_add_co_u32_e64 v33, s[4:5], s8, v15
	v_addc_co_u32_e64 v34, s[4:5], v1, v16, s[4:5]
	v_fma_f32 v1, -v24, v36, 1.0
	v_fmac_f32_e32 v36, v1, v36
	v_mul_f32_e32 v1, v35, v36
	v_fma_f32 v15, -v24, v1, v35
	v_fmac_f32_e32 v1, v15, v36
	v_fma_f32 v15, -v24, v1, v35
	global_load_dwordx2 v[27:28], v[25:26], off
	v_div_fmas_f32 v1, v15, v36, v1
	global_load_dwordx2 v[35:36], v[31:32], off
	v_fma_f32 v16, v22, 0, -v21
	v_fma_f32 v15, 0, v21, v22
	v_div_fixup_f32 v1, v1, v23, 1.0
	v_mul_f32_e32 v16, v16, v1
	v_mul_f32_e32 v15, v15, v1
	s_waitcnt vmcnt(1)
	v_mul_f32_e32 v23, v16, v27
	v_mul_f32_e64 v22, v16, -v28
	s_waitcnt vmcnt(0)
	v_mul_f32_e32 v24, v16, v35
	v_fmac_f32_e32 v23, v28, v15
	v_mul_f32_e64 v21, v16, -v36
	v_fmac_f32_e32 v24, v36, v15
	v_fmac_f32_e32 v22, v27, v15
	v_fmac_f32_e32 v21, v35, v15
	v_mul_f32_e32 v28, v11, v23
	v_mul_f32_e32 v35, v24, v7
	v_fmac_f32_e32 v28, v12, v22
	v_fmac_f32_e32 v35, v8, v21
	v_sub_f32_e32 v28, v28, v35
	global_load_dwordx2 v[35:36], v[29:30], off
	global_load_dwordx2 v[37:38], v[33:34], off
	v_mul_f32_e64 v1, v23, -v12
	v_mul_f32_e64 v27, v24, -v8
	v_fmac_f32_e32 v1, v11, v22
	v_fmac_f32_e32 v27, v7, v21
	v_sub_f32_e32 v27, v1, v27
	global_store_dwordx2 v[25:26], v[27:28], off
	s_waitcnt vmcnt(2)
	v_mul_f32_e32 v27, v16, v35
	v_mul_f32_e64 v25, v16, -v36
	v_fmac_f32_e32 v27, v36, v15
	v_fmac_f32_e32 v25, v35, v15
	s_waitcnt vmcnt(1)
	v_mul_f32_e32 v28, v16, v37
	v_mul_f32_e64 v1, v27, -v12
	v_mul_f32_e64 v26, v16, -v38
	v_fmac_f32_e32 v28, v38, v15
	v_fmac_f32_e32 v1, v11, v25
	v_mul_f32_e32 v11, v11, v27
	v_fmac_f32_e32 v26, v37, v15
	v_fmac_f32_e32 v11, v12, v25
	v_mul_f32_e64 v12, v28, -v8
	v_mul_f32_e32 v35, v28, v7
	v_fmac_f32_e32 v12, v7, v26
	v_fmac_f32_e32 v35, v8, v26
	v_sub_f32_e32 v7, v1, v12
	v_sub_f32_e32 v8, v11, v35
	global_store_dwordx2 v[29:30], v[7:8], off
	v_mul_f32_e64 v7, v23, -v3
	v_mul_f32_e32 v1, v4, v23
	v_fma_f32 v8, -v4, v22, v7
	v_mul_f32_e64 v7, v24, -v6
	v_mul_f32_e32 v11, v5, v24
	v_fma_f32 v1, -v3, v22, v1
	v_fmac_f32_e32 v7, v5, v21
	v_fmac_f32_e32 v11, v6, v21
	v_add_f32_e32 v7, v1, v7
	v_add_f32_e32 v8, v8, v11
	global_store_dwordx2 v[31:32], v[7:8], off
	v_mul_f32_e32 v1, v4, v27
	v_mul_f32_e64 v7, v27, -v3
	v_mul_f32_e64 v8, v28, -v6
	v_mul_f32_e32 v12, v5, v28
	v_fma_f32 v1, -v3, v25, v1
	v_fma_f32 v7, -v4, v25, v7
	v_fmac_f32_e32 v8, v5, v26
	v_fmac_f32_e32 v12, v6, v26
	v_add_f32_e32 v11, v1, v8
	v_add_f32_e32 v12, v7, v12
	v_mov_b32_e32 v7, 0
	v_mov_b32_e32 v1, 0
	global_store_dwordx2 v[33:34], v[11:12], off
	s_and_saveexec_b64 s[4:5], s[2:3]
	s_cbranch_execz .LBB201_16
; %bb.15:                               ;   in Loop: Header=BB201_5 Depth=1
	v_add_u32_e32 v7, v19, v18
	v_add_u32_e32 v1, s27, v7
	v_lshlrev_b64 v[11:12], 3, v[1:2]
	v_mov_b32_e32 v1, s9
	v_add_co_u32_e32 v11, vcc, s8, v11
	v_ashrrev_i32_e32 v8, 31, v7
	v_addc_co_u32_e32 v12, vcc, v1, v12, vcc
	v_add_u32_e32 v1, s28, v7
	v_lshlrev_b64 v[7:8], 3, v[7:8]
	v_mov_b32_e32 v29, s15
	v_add_co_u32_e32 v7, vcc, s14, v7
	v_addc_co_u32_e32 v8, vcc, v29, v8, vcc
	v_lshlrev_b64 v[29:30], 3, v[1:2]
	v_mov_b32_e32 v1, s9
	global_load_dwordx2 v[31:32], v[11:12], off
	global_load_dwordx2 v[33:34], v[7:8], off
	v_add_co_u32_e32 v7, vcc, s8, v29
	v_addc_co_u32_e32 v8, vcc, v1, v30, vcc
	global_load_dwordx2 v[29:30], v[7:8], off
	v_mul_f32_e32 v1, v4, v14
	v_mul_f32_e64 v35, v14, -v3
	v_mul_f32_e64 v36, v14, -v6
	v_mul_f32_e32 v37, v5, v14
	v_fma_f32 v1, -v3, v13, v1
	v_fma_f32 v3, -v4, v13, v35
	v_mul_f32_e64 v4, v6, -v14
	v_mul_f32_e32 v35, v6, v13
	v_fmac_f32_e32 v36, v5, v13
	v_fmac_f32_e32 v37, v6, v13
	;; [unrolled: 1-line block ×4, first 2 shown]
	v_mul_f32_e32 v5, v3, v23
	v_mul_f32_e64 v6, v23, -v1
	v_mul_f32_e64 v23, v24, -v37
	v_mul_f32_e32 v24, v36, v24
	v_mul_f32_e32 v13, v3, v27
	v_mul_f32_e64 v14, v27, -v1
	v_mul_f32_e64 v27, v28, -v37
	v_mul_f32_e32 v28, v36, v28
	v_fma_f32 v5, -v1, v22, v5
	v_fma_f32 v6, -v3, v22, v6
	v_mul_f32_e64 v22, v10, -v35
	v_mul_f32_e32 v10, v10, v4
	v_fmac_f32_e32 v23, v36, v21
	v_fmac_f32_e32 v24, v37, v21
	v_fma_f32 v1, -v1, v25, v13
	v_fma_f32 v3, -v3, v25, v14
	v_fmac_f32_e32 v27, v36, v26
	v_fmac_f32_e32 v28, v37, v26
	;; [unrolled: 1-line block ×4, first 2 shown]
	v_sub_f32_e32 v4, v5, v23
	v_sub_f32_e32 v5, v6, v24
	;; [unrolled: 1-line block ×4, first 2 shown]
	v_mul_f32_e64 v1, v16, -v10
	v_mul_f32_e32 v13, v16, v22
	v_fmac_f32_e32 v1, v22, v15
	v_fmac_f32_e32 v13, v10, v15
	s_waitcnt vmcnt(2)
	v_add_f32_e32 v3, v4, v31
	v_add_f32_e32 v4, v5, v32
	global_store_dwordx2 v[11:12], v[3:4], off
	s_waitcnt vmcnt(2)
	v_sub_f32_e32 v1, v33, v1
	s_waitcnt vmcnt(1)
	v_add_f32_e32 v3, v6, v29
	v_add_f32_e32 v4, v9, v30
	global_store_dwordx2 v[7:8], v[3:4], off
	v_sub_f32_e32 v7, v34, v13
.LBB201_16:                             ;   in Loop: Header=BB201_5 Depth=1
	s_or_b64 exec, exec, s[4:5]
	v_mov_b32_e32 v6, v7
	v_mov_b32_e32 v5, v1
                                        ; implicit-def: $vgpr7_vgpr8
                                        ; implicit-def: $vgpr3
                                        ; implicit-def: $vgpr11
                                        ; implicit-def: $vgpr22
                                        ; implicit-def: $vgpr21
                                        ; implicit-def: $vgpr15
.LBB201_17:                             ;   in Loop: Header=BB201_5 Depth=1
	s_or_saveexec_b64 s[2:3], s[20:21]
	v_mov_b32_e32 v8, s26
	s_xor_b64 exec, exec, s[2:3]
	s_cbranch_execz .LBB201_4
; %bb.18:                               ;   in Loop: Header=BB201_5 Depth=1
	v_mul_f32_e32 v8, v6, v6
	v_fmac_f32_e32 v8, v5, v5
	v_div_scale_f32 v9, s[4:5], v8, v8, 1.0
	v_rcp_f32_e32 v10, v9
	v_fma_f32 v13, -v9, v10, 1.0
	v_fmac_f32_e32 v10, v13, v10
	v_div_scale_f32 v13, vcc, 1.0, v8, 1.0
	v_mul_f32_e32 v14, v13, v10
	v_fma_f32 v16, -v9, v14, v13
	v_fmac_f32_e32 v14, v16, v10
	v_fma_f32 v9, -v9, v14, v13
	v_div_fmas_f32 v9, v9, v10, v14
	v_mov_b32_e32 v16, v2
	v_div_fixup_f32 v8, v9, v8, 1.0
	v_fma_f32 v9, 0, v6, v5
	v_fma_f32 v5, v5, 0, -v6
	v_mul_f32_e32 v13, v5, v8
	v_lshlrev_b64 v[5:6], 3, v[1:2]
	v_mov_b32_e32 v1, s9
	v_add_co_u32_e32 v23, vcc, s8, v5
	v_addc_co_u32_e32 v24, vcc, v1, v6, vcc
	v_mul_f32_e32 v10, v9, v8
	global_load_dwordx2 v[8:9], v[23:24], off
	s_waitcnt vmcnt(0)
	v_mul_f32_e64 v5, v13, -v9
	v_mul_f32_e32 v6, v13, v8
	v_fmac_f32_e32 v5, v8, v10
	v_fmac_f32_e32 v6, v9, v10
	v_lshlrev_b64 v[8:9], 3, v[15:16]
	v_add_co_u32_e32 v14, vcc, s8, v8
	v_addc_co_u32_e32 v15, vcc, v1, v9, vcc
	global_load_dwordx2 v[25:26], v[14:15], off
	s_waitcnt vmcnt(0)
	v_mul_f32_e64 v8, v13, -v26
	v_mul_f32_e32 v9, v13, v25
	v_fmac_f32_e32 v8, v25, v10
	v_fmac_f32_e32 v9, v26, v10
	global_store_dwordx2 v[23:24], v[5:6], off
	global_store_dwordx2 v[14:15], v[8:9], off
	s_and_saveexec_b64 s[4:5], s[0:1]
	s_cbranch_execz .LBB201_3
; %bb.19:                               ;   in Loop: Header=BB201_5 Depth=1
	v_add_u32_e32 v16, v17, v18
	v_add_u32_e32 v1, s27, v16
	v_lshlrev_b64 v[14:15], 3, v[1:2]
	v_mov_b32_e32 v1, s9
	v_add_co_u32_e32 v14, vcc, s8, v14
	v_addc_co_u32_e32 v15, vcc, v1, v15, vcc
	v_add_u32_e32 v1, s28, v16
	v_lshlrev_b64 v[25:26], 3, v[1:2]
	v_mov_b32_e32 v1, s9
	v_add_co_u32_e32 v25, vcc, s8, v25
	global_load_dwordx2 v[23:24], v[14:15], off
	v_addc_co_u32_e32 v26, vcc, v1, v26, vcc
	global_load_dwordx2 v[27:28], v[25:26], off
	s_waitcnt vmcnt(1)
	v_fma_f32 v1, -v4, v5, v24
	v_fma_f32 v23, -v3, v5, v23
	;; [unrolled: 1-line block ×3, first 2 shown]
	s_waitcnt vmcnt(0)
	v_fma_f32 v5, -v3, v8, v27
	v_fma_f32 v1, -v4, v8, v28
	v_fmac_f32_e32 v23, v4, v6
	v_fmac_f32_e32 v5, v4, v9
	v_fma_f32 v6, -v3, v9, v1
	global_store_dwordx2 v[14:15], v[23:24], off
	global_store_dwordx2 v[25:26], v[5:6], off
	s_branch .LBB201_3
.LBB201_20:
	s_or_b64 exec, exec, s[18:19]
	s_branch .LBB201_22
.LBB201_21:
	v_mov_b32_e32 v18, 0
.LBB201_22:
	v_subrev_u32_e32 v3, s22, v18
	v_add_u32_e32 v1, v3, v0
	v_ashrrev_i32_e32 v2, 31, v1
	v_lshlrev_b64 v[1:2], 2, v[1:2]
	s_waitcnt lgkmcnt(0)
	v_mov_b32_e32 v4, s17
	v_add_co_u32_e32 v1, vcc, s16, v1
	v_addc_co_u32_e32 v2, vcc, v4, v2, vcc
	s_waitcnt vmcnt(0)
	buffer_wbinvl1_vol
	global_load_dword v1, v[1:2], off
	s_waitcnt vmcnt(0)
	v_mul_lo_u32 v1, v1, s22
	v_sub_u32_e32 v7, v3, v1
	v_cmp_lt_i32_e32 vcc, -1, v7
	s_and_b64 exec, exec, vcc
	s_cbranch_execz .LBB201_29
; %bb.23:
	s_lshl_b32 s4, s24, 1
	s_add_i32 s5, s4, s23
	s_lshl_b32 s6, s22, 1
	s_mov_b64 s[0:1], 0
	v_mov_b32_e32 v8, s17
	v_mov_b32_e32 v9, s11
	;; [unrolled: 1-line block ×3, first 2 shown]
	s_branch .LBB201_25
.LBB201_24:                             ;   in Loop: Header=BB201_25 Depth=1
	s_or_b64 exec, exec, s[2:3]
	v_sub_u32_e32 v7, v7, v1
	v_cmp_gt_i32_e32 vcc, 0, v7
	s_or_b64 s[0:1], vcc, s[0:1]
	s_andn2_b64 exec, exec, s[0:1]
	s_cbranch_execz .LBB201_29
.LBB201_25:                             ; =>This Inner Loop Header: Depth=1
	v_add_u32_e32 v5, v7, v0
	v_ashrrev_i32_e32 v6, 31, v5
	s_waitcnt vmcnt(0)
	v_lshlrev_b64 v[3:4], 2, v[5:6]
	v_add_co_u32_e32 v3, vcc, s16, v3
	v_addc_co_u32_e32 v4, vcc, v8, v4, vcc
	global_load_dword v1, v[3:4], off
	v_lshlrev_b64 v[3:4], 3, v[5:6]
	v_add_co_u32_e32 v3, vcc, s10, v3
	v_addc_co_u32_e32 v4, vcc, v9, v4, vcc
	global_load_dwordx2 v[3:4], v[3:4], off
	s_waitcnt vmcnt(1)
	v_cmp_ne_u32_e32 vcc, 1, v1
	s_and_saveexec_b64 s[2:3], vcc
	s_xor_b64 s[2:3], exec, s[2:3]
	s_cbranch_execz .LBB201_27
; %bb.26:                               ;   in Loop: Header=BB201_25 Depth=1
	v_add_u32_e32 v6, v17, v7
	v_add_u32_e32 v1, s4, v6
	v_lshlrev_b64 v[10:11], 3, v[1:2]
	v_mov_b32_e32 v1, s9
	v_add_co_u32_e32 v10, vcc, s8, v10
	v_addc_co_u32_e32 v11, vcc, v1, v11, vcc
	v_add_u32_e32 v1, s5, v6
	v_lshlrev_b64 v[12:13], 3, v[1:2]
	v_add_u32_e32 v1, s4, v5
	v_lshlrev_b64 v[14:15], 3, v[1:2]
	v_mov_b32_e32 v1, s9
	v_add_co_u32_e32 v14, vcc, s8, v14
	v_addc_co_u32_e32 v15, vcc, v1, v15, vcc
	global_load_dwordx2 v[18:19], v[10:11], off
	global_load_dwordx2 v[20:21], v[14:15], off
	v_add_co_u32_e32 v10, vcc, s8, v12
	v_addc_co_u32_e32 v11, vcc, v1, v13, vcc
	v_add_u32_e32 v1, s5, v5
	v_lshlrev_b64 v[5:6], 3, v[1:2]
	v_mov_b32_e32 v12, s9
	v_add_co_u32_e32 v5, vcc, s8, v5
	v_addc_co_u32_e32 v6, vcc, v12, v6, vcc
	global_load_dwordx2 v[10:11], v[10:11], off
	v_mov_b32_e32 v22, s9
	s_waitcnt vmcnt(1)
	v_fma_f32 v12, -v3, v18, v20
	v_fma_f32 v1, -v4, v18, v21
	v_fmac_f32_e32 v12, v4, v19
	v_fma_f32 v13, -v3, v19, v1
	global_store_dwordx2 v[14:15], v[12:13], off
	global_load_dwordx2 v[12:13], v[5:6], off
	v_subrev_u32_e32 v1, s22, v7
	v_add_u32_e32 v14, v1, v0
	v_ashrrev_i32_e32 v15, 31, v14
	v_lshlrev_b64 v[15:16], 3, v[14:15]
	v_mov_b32_e32 v20, s11
	v_add_co_u32_e32 v15, vcc, s10, v15
	v_add_u32_e32 v1, s4, v14
	v_addc_co_u32_e32 v16, vcc, v20, v16, vcc
	v_lshlrev_b64 v[20:21], 3, v[1:2]
	global_load_dwordx2 v[15:16], v[15:16], off
	v_add_co_u32_e32 v20, vcc, s8, v20
	v_addc_co_u32_e32 v21, vcc, v22, v21, vcc
	s_waitcnt vmcnt(1)
	v_fma_f32 v12, -v3, v10, v12
	v_fma_f32 v1, -v4, v10, v13
	v_fmac_f32_e32 v12, v4, v11
	v_fma_f32 v13, -v3, v11, v1
	global_store_dwordx2 v[5:6], v[12:13], off
	global_load_dwordx2 v[3:4], v[20:21], off
	v_add_u32_e32 v1, s5, v14
	v_lshlrev_b64 v[5:6], 3, v[1:2]
	v_mov_b32_e32 v12, s9
	v_add_co_u32_e32 v5, vcc, s8, v5
	v_addc_co_u32_e32 v6, vcc, v12, v6, vcc
	s_waitcnt vmcnt(0)
	v_fma_f32 v3, -v15, v18, v3
	v_fma_f32 v1, -v16, v18, v4
	v_fmac_f32_e32 v3, v16, v19
	v_fma_f32 v4, -v15, v19, v1
	global_store_dwordx2 v[20:21], v[3:4], off
	global_load_dwordx2 v[3:4], v[5:6], off
	s_waitcnt vmcnt(0)
	v_fma_f32 v3, -v15, v10, v3
	v_fma_f32 v1, -v16, v10, v4
	v_fmac_f32_e32 v3, v16, v11
	v_fma_f32 v4, -v15, v11, v1
	global_store_dwordx2 v[5:6], v[3:4], off
                                        ; implicit-def: $vgpr5
                                        ; implicit-def: $vgpr3_vgpr4
.LBB201_27:                             ;   in Loop: Header=BB201_25 Depth=1
	s_or_saveexec_b64 s[2:3], s[2:3]
	v_mov_b32_e32 v1, s6
	s_xor_b64 exec, exec, s[2:3]
	s_cbranch_execz .LBB201_24
; %bb.28:                               ;   in Loop: Header=BB201_25 Depth=1
	v_add_u32_e32 v6, v17, v7
	v_add_u32_e32 v1, s4, v6
	v_lshlrev_b64 v[10:11], 3, v[1:2]
	v_mov_b32_e32 v1, s9
	v_add_co_u32_e32 v10, vcc, s8, v10
	v_addc_co_u32_e32 v11, vcc, v1, v11, vcc
	v_add_u32_e32 v1, s4, v5
	v_lshlrev_b64 v[12:13], 3, v[1:2]
	v_mov_b32_e32 v1, s9
	v_add_co_u32_e32 v12, vcc, s8, v12
	v_addc_co_u32_e32 v13, vcc, v1, v13, vcc
	global_load_dwordx2 v[14:15], v[10:11], off
	global_load_dwordx2 v[18:19], v[12:13], off
	v_add_u32_e32 v1, s5, v6
	v_lshlrev_b64 v[10:11], 3, v[1:2]
	v_add_u32_e32 v1, s5, v5
	v_mov_b32_e32 v16, s9
	v_lshlrev_b64 v[5:6], 3, v[1:2]
	v_add_co_u32_e32 v10, vcc, s8, v10
	v_addc_co_u32_e32 v11, vcc, v16, v11, vcc
	v_mov_b32_e32 v20, s9
	v_add_co_u32_e32 v5, vcc, s8, v5
	v_addc_co_u32_e32 v6, vcc, v20, v6, vcc
	s_waitcnt vmcnt(0)
	v_fma_f32 v18, -v3, v14, v18
	v_fma_f32 v1, -v4, v14, v19
	v_fmac_f32_e32 v18, v4, v15
	v_fma_f32 v19, -v3, v15, v1
	global_store_dwordx2 v[12:13], v[18:19], off
	global_load_dwordx2 v[12:13], v[10:11], off
	s_nop 0
	global_load_dwordx2 v[14:15], v[5:6], off
	s_waitcnt vmcnt(0)
	v_fma_f32 v10, -v3, v12, v14
	v_fma_f32 v1, -v4, v12, v15
	v_fmac_f32_e32 v10, v4, v13
	v_fma_f32 v11, -v3, v13, v1
	v_mov_b32_e32 v1, s22
	global_store_dwordx2 v[5:6], v[10:11], off
	s_branch .LBB201_24
.LBB201_29:
	s_endpgm
	.section	.rodata,"a",@progbits
	.p2align	6, 0x0
	.amdhsa_kernel _ZN9rocsparseL19gtsv_LBM_rhs_kernelILj256ELj4ELj2E21rocsparse_complex_numIfEEEviiiPKT2_S5_S5_PS3_S5_PKi
		.amdhsa_group_segment_fixed_size 0
		.amdhsa_private_segment_fixed_size 0
		.amdhsa_kernarg_size 64
		.amdhsa_user_sgpr_count 6
		.amdhsa_user_sgpr_private_segment_buffer 1
		.amdhsa_user_sgpr_dispatch_ptr 0
		.amdhsa_user_sgpr_queue_ptr 0
		.amdhsa_user_sgpr_kernarg_segment_ptr 1
		.amdhsa_user_sgpr_dispatch_id 0
		.amdhsa_user_sgpr_flat_scratch_init 0
		.amdhsa_user_sgpr_private_segment_size 0
		.amdhsa_uses_dynamic_stack 0
		.amdhsa_system_sgpr_private_segment_wavefront_offset 0
		.amdhsa_system_sgpr_workgroup_id_x 1
		.amdhsa_system_sgpr_workgroup_id_y 1
		.amdhsa_system_sgpr_workgroup_id_z 0
		.amdhsa_system_sgpr_workgroup_info 0
		.amdhsa_system_vgpr_workitem_id 0
		.amdhsa_next_free_vgpr 39
		.amdhsa_next_free_sgpr 29
		.amdhsa_reserve_vcc 1
		.amdhsa_reserve_flat_scratch 0
		.amdhsa_float_round_mode_32 0
		.amdhsa_float_round_mode_16_64 0
		.amdhsa_float_denorm_mode_32 3
		.amdhsa_float_denorm_mode_16_64 3
		.amdhsa_dx10_clamp 1
		.amdhsa_ieee_mode 1
		.amdhsa_fp16_overflow 0
		.amdhsa_exception_fp_ieee_invalid_op 0
		.amdhsa_exception_fp_denorm_src 0
		.amdhsa_exception_fp_ieee_div_zero 0
		.amdhsa_exception_fp_ieee_overflow 0
		.amdhsa_exception_fp_ieee_underflow 0
		.amdhsa_exception_fp_ieee_inexact 0
		.amdhsa_exception_int_div_zero 0
	.end_amdhsa_kernel
	.section	.text._ZN9rocsparseL19gtsv_LBM_rhs_kernelILj256ELj4ELj2E21rocsparse_complex_numIfEEEviiiPKT2_S5_S5_PS3_S5_PKi,"axG",@progbits,_ZN9rocsparseL19gtsv_LBM_rhs_kernelILj256ELj4ELj2E21rocsparse_complex_numIfEEEviiiPKT2_S5_S5_PS3_S5_PKi,comdat
.Lfunc_end201:
	.size	_ZN9rocsparseL19gtsv_LBM_rhs_kernelILj256ELj4ELj2E21rocsparse_complex_numIfEEEviiiPKT2_S5_S5_PS3_S5_PKi, .Lfunc_end201-_ZN9rocsparseL19gtsv_LBM_rhs_kernelILj256ELj4ELj2E21rocsparse_complex_numIfEEEviiiPKT2_S5_S5_PS3_S5_PKi
                                        ; -- End function
	.set _ZN9rocsparseL19gtsv_LBM_rhs_kernelILj256ELj4ELj2E21rocsparse_complex_numIfEEEviiiPKT2_S5_S5_PS3_S5_PKi.num_vgpr, 39
	.set _ZN9rocsparseL19gtsv_LBM_rhs_kernelILj256ELj4ELj2E21rocsparse_complex_numIfEEEviiiPKT2_S5_S5_PS3_S5_PKi.num_agpr, 0
	.set _ZN9rocsparseL19gtsv_LBM_rhs_kernelILj256ELj4ELj2E21rocsparse_complex_numIfEEEviiiPKT2_S5_S5_PS3_S5_PKi.numbered_sgpr, 29
	.set _ZN9rocsparseL19gtsv_LBM_rhs_kernelILj256ELj4ELj2E21rocsparse_complex_numIfEEEviiiPKT2_S5_S5_PS3_S5_PKi.num_named_barrier, 0
	.set _ZN9rocsparseL19gtsv_LBM_rhs_kernelILj256ELj4ELj2E21rocsparse_complex_numIfEEEviiiPKT2_S5_S5_PS3_S5_PKi.private_seg_size, 0
	.set _ZN9rocsparseL19gtsv_LBM_rhs_kernelILj256ELj4ELj2E21rocsparse_complex_numIfEEEviiiPKT2_S5_S5_PS3_S5_PKi.uses_vcc, 1
	.set _ZN9rocsparseL19gtsv_LBM_rhs_kernelILj256ELj4ELj2E21rocsparse_complex_numIfEEEviiiPKT2_S5_S5_PS3_S5_PKi.uses_flat_scratch, 0
	.set _ZN9rocsparseL19gtsv_LBM_rhs_kernelILj256ELj4ELj2E21rocsparse_complex_numIfEEEviiiPKT2_S5_S5_PS3_S5_PKi.has_dyn_sized_stack, 0
	.set _ZN9rocsparseL19gtsv_LBM_rhs_kernelILj256ELj4ELj2E21rocsparse_complex_numIfEEEviiiPKT2_S5_S5_PS3_S5_PKi.has_recursion, 0
	.set _ZN9rocsparseL19gtsv_LBM_rhs_kernelILj256ELj4ELj2E21rocsparse_complex_numIfEEEviiiPKT2_S5_S5_PS3_S5_PKi.has_indirect_call, 0
	.section	.AMDGPU.csdata,"",@progbits
; Kernel info:
; codeLenInByte = 2868
; TotalNumSgprs: 33
; NumVgprs: 39
; ScratchSize: 0
; MemoryBound: 0
; FloatMode: 240
; IeeeMode: 1
; LDSByteSize: 0 bytes/workgroup (compile time only)
; SGPRBlocks: 4
; VGPRBlocks: 9
; NumSGPRsForWavesPerEU: 33
; NumVGPRsForWavesPerEU: 39
; Occupancy: 6
; WaveLimiterHint : 0
; COMPUTE_PGM_RSRC2:SCRATCH_EN: 0
; COMPUTE_PGM_RSRC2:USER_SGPR: 6
; COMPUTE_PGM_RSRC2:TRAP_HANDLER: 0
; COMPUTE_PGM_RSRC2:TGID_X_EN: 1
; COMPUTE_PGM_RSRC2:TGID_Y_EN: 1
; COMPUTE_PGM_RSRC2:TGID_Z_EN: 0
; COMPUTE_PGM_RSRC2:TIDIG_COMP_CNT: 0
	.section	.text._ZN9rocsparseL19gtsv_LBM_rhs_kernelILj256ELj4ELj1E21rocsparse_complex_numIfEEEviiiPKT2_S5_S5_PS3_S5_PKi,"axG",@progbits,_ZN9rocsparseL19gtsv_LBM_rhs_kernelILj256ELj4ELj1E21rocsparse_complex_numIfEEEviiiPKT2_S5_S5_PS3_S5_PKi,comdat
	.globl	_ZN9rocsparseL19gtsv_LBM_rhs_kernelILj256ELj4ELj1E21rocsparse_complex_numIfEEEviiiPKT2_S5_S5_PS3_S5_PKi ; -- Begin function _ZN9rocsparseL19gtsv_LBM_rhs_kernelILj256ELj4ELj1E21rocsparse_complex_numIfEEEviiiPKT2_S5_S5_PS3_S5_PKi
	.p2align	8
	.type	_ZN9rocsparseL19gtsv_LBM_rhs_kernelILj256ELj4ELj1E21rocsparse_complex_numIfEEEviiiPKT2_S5_S5_PS3_S5_PKi,@function
_ZN9rocsparseL19gtsv_LBM_rhs_kernelILj256ELj4ELj1E21rocsparse_complex_numIfEEEviiiPKT2_S5_S5_PS3_S5_PKi: ; @_ZN9rocsparseL19gtsv_LBM_rhs_kernelILj256ELj4ELj1E21rocsparse_complex_numIfEEEviiiPKT2_S5_S5_PS3_S5_PKi
; %bb.0:
	s_load_dword s24, s[4:5], 0x0
	v_lshl_or_b32 v0, s6, 8, v0
	s_waitcnt lgkmcnt(0)
	s_lshr_b32 s22, s24, 2
	v_cmp_gt_i32_e32 vcc, s22, v0
	s_and_saveexec_b64 s[0:1], vcc
	s_cbranch_execz .LBB202_29
; %bb.1:
	s_load_dwordx4 s[8:11], s[4:5], 0x28
	s_load_dwordx2 s[16:17], s[4:5], 0x38
	s_cmp_lt_i32 s24, 1
	s_mul_i32 s23, s24, s7
	s_cbranch_scc1 .LBB202_21
; %bb.2:
	s_load_dwordx4 s[12:15], s[4:5], 0x10
	s_load_dwordx2 s[6:7], s[4:5], 0x20
	v_ashrrev_i32_e32 v1, 31, v0
	v_lshlrev_b64 v[1:2], 3, v[0:1]
	v_add_u32_e32 v18, s22, v0
	s_waitcnt lgkmcnt(0)
	v_mov_b32_e32 v3, s15
	v_add_co_u32_e32 v1, vcc, s14, v1
	v_addc_co_u32_e32 v2, vcc, v3, v2, vcc
	global_load_dwordx2 v[5:6], v[1:2], off
	s_mul_i32 s25, s22, 3
	s_lshl_b32 s26, s22, 1
	v_add_u32_e32 v19, s22, v18
	v_add_u32_e32 v20, s23, v18
	v_mov_b32_e32 v2, 0
	s_mov_b64 s[18:19], 0
	v_mov_b32_e32 v21, s7
	v_mov_b32_e32 v17, 0
	s_branch .LBB202_5
.LBB202_3:                              ;   in Loop: Header=BB202_5 Depth=1
	s_or_b64 exec, exec, s[4:5]
	v_fmac_f32_e32 v22, v3, v9
	v_fmac_f32_e32 v16, v4, v9
	v_mul_f32_e64 v1, v8, -v16
	v_mul_f32_e32 v3, v8, v22
	v_fmac_f32_e32 v1, v22, v7
	v_fmac_f32_e32 v3, v16, v7
	v_sub_f32_e32 v5, v11, v1
	v_sub_f32_e32 v6, v12, v3
	v_mov_b32_e32 v7, s22
.LBB202_4:                              ;   in Loop: Header=BB202_5 Depth=1
	s_or_b64 exec, exec, s[2:3]
	v_add_u32_e32 v17, v7, v17
	v_cmp_le_i32_e32 vcc, s24, v17
	s_or_b64 s[18:19], vcc, s[18:19]
	s_andn2_b64 exec, exec, s[18:19]
	s_cbranch_execz .LBB202_20
.LBB202_5:                              ; =>This Inner Loop Header: Depth=1
	v_add_u32_e32 v15, v17, v0
	v_ashrrev_i32_e32 v16, 31, v15
	v_lshlrev_b64 v[3:4], 3, v[15:16]
	v_cmp_gt_u32_e64 s[0:1], s25, v17
	v_add_co_u32_e32 v3, vcc, s6, v3
	v_addc_co_u32_e32 v4, vcc, v21, v4, vcc
	global_load_dwordx2 v[9:10], v[3:4], off
	v_add_u32_e32 v13, v18, v17
	v_mov_b32_e32 v3, 0
	v_mov_b32_e32 v4, 0
	s_and_saveexec_b64 s[2:3], s[0:1]
	s_cbranch_execz .LBB202_7
; %bb.6:                                ;   in Loop: Header=BB202_5 Depth=1
	v_ashrrev_i32_e32 v14, 31, v13
	v_lshlrev_b64 v[3:4], 3, v[13:14]
	v_mov_b32_e32 v1, s13
	v_add_co_u32_e32 v3, vcc, s12, v3
	v_addc_co_u32_e32 v4, vcc, v1, v4, vcc
	global_load_dwordx2 v[3:4], v[3:4], off
.LBB202_7:                              ;   in Loop: Header=BB202_5 Depth=1
	s_or_b64 exec, exec, s[2:3]
	v_mov_b32_e32 v7, 0
	v_mov_b32_e32 v11, 0
	;; [unrolled: 1-line block ×3, first 2 shown]
	s_and_saveexec_b64 s[2:3], s[0:1]
	s_cbranch_execz .LBB202_9
; %bb.8:                                ;   in Loop: Header=BB202_5 Depth=1
	v_ashrrev_i32_e32 v14, 31, v13
	v_lshlrev_b64 v[11:12], 3, v[13:14]
	v_mov_b32_e32 v1, s15
	v_add_co_u32_e32 v11, vcc, s14, v11
	v_addc_co_u32_e32 v12, vcc, v1, v12, vcc
	global_load_dwordx2 v[11:12], v[11:12], off
.LBB202_9:                              ;   in Loop: Header=BB202_5 Depth=1
	s_or_b64 exec, exec, s[2:3]
	v_mov_b32_e32 v8, 0
	s_and_saveexec_b64 s[2:3], s[0:1]
	s_cbranch_execz .LBB202_11
; %bb.10:                               ;   in Loop: Header=BB202_5 Depth=1
	v_ashrrev_i32_e32 v14, 31, v13
	v_lshlrev_b64 v[7:8], 3, v[13:14]
	v_mov_b32_e32 v1, s7
	v_add_co_u32_e32 v7, vcc, s6, v7
	v_addc_co_u32_e32 v8, vcc, v1, v8, vcc
	global_load_dwordx2 v[7:8], v[7:8], off
.LBB202_11:                             ;   in Loop: Header=BB202_5 Depth=1
	s_or_b64 exec, exec, s[2:3]
	v_cmp_gt_u32_e64 s[2:3], s26, v17
	v_mov_b32_e32 v13, 0
	v_mov_b32_e32 v14, 0
	s_and_saveexec_b64 s[4:5], s[2:3]
	s_cbranch_execz .LBB202_13
; %bb.12:                               ;   in Loop: Header=BB202_5 Depth=1
	v_add_u32_e32 v13, v19, v17
	v_ashrrev_i32_e32 v14, 31, v13
	v_lshlrev_b64 v[13:14], 3, v[13:14]
	v_mov_b32_e32 v1, s13
	v_add_co_u32_e32 v13, vcc, s12, v13
	v_addc_co_u32_e32 v14, vcc, v1, v14, vcc
	global_load_dwordx2 v[13:14], v[13:14], off
.LBB202_13:                             ;   in Loop: Header=BB202_5 Depth=1
	s_or_b64 exec, exec, s[4:5]
	v_lshlrev_b64 v[22:23], 2, v[15:16]
	v_mov_b32_e32 v1, s17
	v_add_co_u32_e32 v22, vcc, s16, v22
	v_addc_co_u32_e32 v23, vcc, v1, v23, vcc
	global_load_dword v1, v[22:23], off
	v_cmp_ne_u32_e32 vcc, s25, v17
	s_waitcnt vmcnt(1)
	v_mul_f32_e64 v22, v10, -v4
	v_mul_f32_e32 v16, v3, v10
	s_waitcnt vmcnt(0)
	v_cmp_ne_u32_e64 s[4:5], 1, v1
	s_and_b64 s[4:5], vcc, s[4:5]
	v_add_u32_e32 v1, s23, v15
	s_and_saveexec_b64 s[20:21], s[4:5]
	s_xor_b64 s[4:5], exec, s[20:21]
	s_cbranch_execz .LBB202_17
; %bb.14:                               ;   in Loop: Header=BB202_5 Depth=1
	v_lshlrev_b64 v[23:24], 3, v[1:2]
	v_mov_b32_e32 v1, s9
	v_add_co_u32_e32 v26, vcc, s8, v23
	v_addc_co_u32_e32 v27, vcc, v1, v24, vcc
	v_add_u32_e32 v1, v20, v17
	v_lshlrev_b64 v[23:24], 3, v[1:2]
	v_mov_b32_e32 v15, s9
	v_add_co_u32_e32 v28, vcc, s8, v23
	v_addc_co_u32_e32 v29, vcc, v15, v24, vcc
	v_mul_f32_e32 v15, v5, v12
	v_mul_f32_e64 v1, v12, -v6
	v_fmac_f32_e32 v15, v6, v11
	v_fmac_f32_e32 v16, v4, v9
	;; [unrolled: 1-line block ×4, first 2 shown]
	v_sub_f32_e32 v15, v15, v16
	v_sub_f32_e32 v1, v1, v22
	v_mul_f32_e32 v16, v15, v15
	v_fmac_f32_e32 v16, v1, v1
	v_div_scale_f32 v22, s[20:21], v16, v16, 1.0
	v_rcp_f32_e32 v23, v22
	v_fma_f32 v24, -v22, v23, 1.0
	v_fmac_f32_e32 v23, v24, v23
	v_div_scale_f32 v24, vcc, 1.0, v16, 1.0
	v_mul_f32_e32 v25, v24, v23
	v_fma_f32 v30, -v22, v25, v24
	v_fmac_f32_e32 v25, v30, v23
	v_fma_f32 v22, -v22, v25, v24
	v_div_fmas_f32 v22, v22, v23, v25
	v_fma_f32 v23, 0, v15, v1
	v_fma_f32 v1, v1, 0, -v15
	global_load_dwordx2 v[30:31], v[28:29], off
	v_div_fixup_f32 v16, v22, v16, 1.0
	v_mul_f32_e32 v15, v23, v16
	global_load_dwordx2 v[23:24], v[26:27], off
	v_mul_f32_e32 v16, v1, v16
	s_waitcnt vmcnt(1)
	v_mul_f32_e32 v25, v16, v30
	v_fmac_f32_e32 v25, v31, v15
	s_waitcnt vmcnt(0)
	v_mul_f32_e64 v22, v16, -v24
	v_fmac_f32_e32 v22, v23, v15
	v_mul_f32_e32 v23, v16, v23
	v_fmac_f32_e32 v23, v24, v15
	v_mul_f32_e64 v1, v23, -v12
	v_mul_f32_e64 v24, v16, -v31
	v_fmac_f32_e32 v1, v11, v22
	v_mul_f32_e32 v11, v11, v23
	v_fmac_f32_e32 v24, v30, v15
	v_fmac_f32_e32 v11, v12, v22
	v_mul_f32_e64 v12, v25, -v10
	v_mul_f32_e32 v30, v25, v9
	v_fmac_f32_e32 v12, v9, v24
	v_fmac_f32_e32 v30, v10, v24
	v_sub_f32_e32 v9, v1, v12
	v_sub_f32_e32 v10, v11, v30
	global_store_dwordx2 v[26:27], v[9:10], off
	v_mul_f32_e64 v9, v23, -v3
	v_mul_f32_e32 v1, v4, v23
	v_fma_f32 v10, -v4, v22, v9
	v_mul_f32_e64 v9, v25, -v6
	v_mul_f32_e32 v11, v5, v25
	v_fma_f32 v1, -v3, v22, v1
	v_fmac_f32_e32 v9, v5, v24
	v_fmac_f32_e32 v11, v6, v24
	v_add_f32_e32 v9, v1, v9
	v_add_f32_e32 v10, v10, v11
	global_store_dwordx2 v[28:29], v[9:10], off
	v_mov_b32_e32 v1, 0
	v_mov_b32_e32 v9, 0
	s_and_saveexec_b64 s[20:21], s[2:3]
	s_cbranch_execz .LBB202_16
; %bb.15:                               ;   in Loop: Header=BB202_5 Depth=1
	v_add_u32_e32 v9, v19, v17
	v_add_u32_e32 v1, s23, v9
	v_lshlrev_b64 v[10:11], 3, v[1:2]
	v_mov_b32_e32 v1, s9
	v_add_co_u32_e32 v26, vcc, s8, v10
	v_ashrrev_i32_e32 v10, 31, v9
	v_lshlrev_b64 v[9:10], 3, v[9:10]
	v_addc_co_u32_e32 v27, vcc, v1, v11, vcc
	v_mov_b32_e32 v1, s15
	v_add_co_u32_e32 v9, vcc, s14, v9
	v_addc_co_u32_e32 v10, vcc, v1, v10, vcc
	global_load_dwordx2 v[11:12], v[26:27], off
	v_mul_f32_e32 v1, v4, v14
	global_load_dwordx2 v[9:10], v[9:10], off
	v_mul_f32_e64 v28, v14, -v3
	v_fma_f32 v1, -v3, v13, v1
	v_fma_f32 v3, -v4, v13, v28
	v_mul_f32_e64 v4, v6, -v14
	v_mul_f32_e32 v28, v6, v13
	v_mul_f32_e64 v29, v14, -v6
	v_mul_f32_e32 v30, v5, v14
	v_fmac_f32_e32 v4, v13, v5
	v_fmac_f32_e32 v28, v14, v5
	;; [unrolled: 1-line block ×4, first 2 shown]
	v_mul_f32_e32 v5, v3, v23
	v_mul_f32_e64 v6, v23, -v1
	v_mul_f32_e64 v23, v8, -v28
	v_mul_f32_e32 v8, v8, v4
	v_mul_f32_e64 v13, v25, -v30
	v_mul_f32_e32 v14, v29, v25
	v_fmac_f32_e32 v23, v4, v7
	v_fmac_f32_e32 v8, v28, v7
	v_fma_f32 v1, -v1, v22, v5
	v_fma_f32 v3, -v3, v22, v6
	v_fmac_f32_e32 v13, v29, v24
	v_fmac_f32_e32 v14, v30, v24
	v_mul_f32_e64 v5, v16, -v8
	v_mul_f32_e32 v6, v16, v23
	v_sub_f32_e32 v1, v1, v13
	v_sub_f32_e32 v4, v3, v14
	v_fmac_f32_e32 v5, v23, v15
	v_fmac_f32_e32 v6, v8, v15
	s_waitcnt vmcnt(1)
	v_add_f32_e32 v3, v1, v11
	v_add_f32_e32 v4, v4, v12
	s_waitcnt vmcnt(0)
	v_sub_f32_e32 v9, v9, v5
	v_sub_f32_e32 v1, v10, v6
	global_store_dwordx2 v[26:27], v[3:4], off
.LBB202_16:                             ;   in Loop: Header=BB202_5 Depth=1
	s_or_b64 exec, exec, s[20:21]
	v_mov_b32_e32 v6, v1
	v_mov_b32_e32 v5, v9
                                        ; implicit-def: $vgpr9_vgpr10
                                        ; implicit-def: $vgpr3
                                        ; implicit-def: $vgpr11
                                        ; implicit-def: $vgpr22
                                        ; implicit-def: $vgpr16
.LBB202_17:                             ;   in Loop: Header=BB202_5 Depth=1
	s_or_saveexec_b64 s[2:3], s[4:5]
	v_mov_b32_e32 v7, s26
	s_xor_b64 exec, exec, s[2:3]
	s_cbranch_execz .LBB202_4
; %bb.18:                               ;   in Loop: Header=BB202_5 Depth=1
	v_mul_f32_e32 v7, v6, v6
	v_fmac_f32_e32 v7, v5, v5
	v_div_scale_f32 v8, s[4:5], v7, v7, 1.0
	v_rcp_f32_e32 v10, v8
	v_fma_f32 v13, -v8, v10, 1.0
	v_fmac_f32_e32 v10, v13, v10
	v_div_scale_f32 v13, vcc, 1.0, v7, 1.0
	v_mul_f32_e32 v14, v13, v10
	v_fma_f32 v15, -v8, v14, v13
	v_fmac_f32_e32 v14, v15, v10
	v_fma_f32 v8, -v8, v14, v13
	v_div_fmas_f32 v8, v8, v10, v14
	v_div_fixup_f32 v8, v8, v7, 1.0
	v_fma_f32 v7, 0, v6, v5
	v_fma_f32 v5, v5, 0, -v6
	v_mul_f32_e32 v7, v7, v8
	v_mul_f32_e32 v8, v5, v8
	v_lshlrev_b64 v[5:6], 3, v[1:2]
	v_mov_b32_e32 v1, s9
	v_add_co_u32_e32 v13, vcc, s8, v5
	v_addc_co_u32_e32 v14, vcc, v1, v6, vcc
	global_load_dwordx2 v[23:24], v[13:14], off
	s_waitcnt vmcnt(0)
	v_mul_f32_e64 v5, v8, -v24
	v_mul_f32_e32 v6, v8, v23
	v_fmac_f32_e32 v5, v23, v7
	v_fmac_f32_e32 v6, v24, v7
	global_store_dwordx2 v[13:14], v[5:6], off
	s_and_saveexec_b64 s[4:5], s[0:1]
	s_cbranch_execz .LBB202_3
; %bb.19:                               ;   in Loop: Header=BB202_5 Depth=1
	v_add_u32_e32 v1, v20, v17
	v_lshlrev_b64 v[13:14], 3, v[1:2]
	v_mov_b32_e32 v1, s9
	v_add_co_u32_e32 v13, vcc, s8, v13
	v_addc_co_u32_e32 v14, vcc, v1, v14, vcc
	global_load_dwordx2 v[23:24], v[13:14], off
	s_waitcnt vmcnt(0)
	v_fma_f32 v23, -v3, v5, v23
	v_fma_f32 v1, -v4, v5, v24
	v_fmac_f32_e32 v23, v4, v6
	v_fma_f32 v24, -v3, v6, v1
	global_store_dwordx2 v[13:14], v[23:24], off
	s_branch .LBB202_3
.LBB202_20:
	s_or_b64 exec, exec, s[18:19]
	s_branch .LBB202_22
.LBB202_21:
	v_mov_b32_e32 v17, 0
.LBB202_22:
	v_subrev_u32_e32 v3, s22, v17
	v_add_u32_e32 v1, v3, v0
	v_ashrrev_i32_e32 v2, 31, v1
	v_lshlrev_b64 v[1:2], 2, v[1:2]
	s_waitcnt lgkmcnt(0)
	v_mov_b32_e32 v4, s17
	v_add_co_u32_e32 v1, vcc, s16, v1
	v_addc_co_u32_e32 v2, vcc, v4, v2, vcc
	s_waitcnt vmcnt(0)
	buffer_wbinvl1_vol
	global_load_dword v1, v[1:2], off
	s_waitcnt vmcnt(0)
	v_mul_lo_u32 v1, v1, s22
	v_sub_u32_e32 v7, v3, v1
	v_cmp_lt_i32_e32 vcc, -1, v7
	s_and_b64 exec, exec, vcc
	s_cbranch_execz .LBB202_29
; %bb.23:
	s_add_i32 s0, s23, s22
	v_add_u32_e32 v8, s0, v0
	s_lshl_b32 s4, s22, 1
	s_mov_b64 s[0:1], 0
	v_mov_b32_e32 v9, s17
	v_mov_b32_e32 v10, s11
	;; [unrolled: 1-line block ×3, first 2 shown]
	s_branch .LBB202_25
.LBB202_24:                             ;   in Loop: Header=BB202_25 Depth=1
	s_or_b64 exec, exec, s[2:3]
	v_sub_u32_e32 v7, v7, v1
	v_cmp_gt_i32_e32 vcc, 0, v7
	s_or_b64 s[0:1], vcc, s[0:1]
	s_andn2_b64 exec, exec, s[0:1]
	s_cbranch_execz .LBB202_29
.LBB202_25:                             ; =>This Inner Loop Header: Depth=1
	v_add_u32_e32 v5, v7, v0
	v_ashrrev_i32_e32 v6, 31, v5
	s_waitcnt vmcnt(0)
	v_lshlrev_b64 v[3:4], 2, v[5:6]
	v_add_co_u32_e32 v3, vcc, s16, v3
	v_addc_co_u32_e32 v4, vcc, v9, v4, vcc
	global_load_dword v1, v[3:4], off
	v_lshlrev_b64 v[3:4], 3, v[5:6]
	v_add_co_u32_e32 v3, vcc, s10, v3
	v_addc_co_u32_e32 v4, vcc, v10, v4, vcc
	global_load_dwordx2 v[3:4], v[3:4], off
	s_waitcnt vmcnt(1)
	v_cmp_ne_u32_e32 vcc, 1, v1
	s_and_saveexec_b64 s[2:3], vcc
	s_xor_b64 s[2:3], exec, s[2:3]
	s_cbranch_execz .LBB202_27
; %bb.26:                               ;   in Loop: Header=BB202_25 Depth=1
	v_add_u32_e32 v1, v8, v7
	v_lshlrev_b64 v[11:12], 3, v[1:2]
	v_mov_b32_e32 v1, s9
	v_add_co_u32_e32 v11, vcc, s8, v11
	v_addc_co_u32_e32 v12, vcc, v1, v12, vcc
	v_add_u32_e32 v1, s23, v5
	v_lshlrev_b64 v[5:6], 3, v[1:2]
	v_mov_b32_e32 v1, s9
	v_add_co_u32_e32 v5, vcc, s8, v5
	v_addc_co_u32_e32 v6, vcc, v1, v6, vcc
	global_load_dwordx2 v[13:14], v[11:12], off
	global_load_dwordx2 v[15:16], v[5:6], off
	v_subrev_u32_e32 v1, s22, v7
	v_add_u32_e32 v11, v1, v0
	v_ashrrev_i32_e32 v12, 31, v11
	v_add_u32_e32 v1, s23, v11
	v_lshlrev_b64 v[11:12], 3, v[11:12]
	v_mov_b32_e32 v19, s11
	v_lshlrev_b64 v[17:18], 3, v[1:2]
	v_add_co_u32_e32 v11, vcc, s10, v11
	v_addc_co_u32_e32 v12, vcc, v19, v12, vcc
	v_mov_b32_e32 v20, s9
	v_add_co_u32_e32 v17, vcc, s8, v17
	v_addc_co_u32_e32 v18, vcc, v20, v18, vcc
	global_load_dwordx2 v[11:12], v[11:12], off
	s_waitcnt vmcnt(1)
	v_fma_f32 v15, -v3, v13, v15
	v_fma_f32 v1, -v4, v13, v16
	v_fmac_f32_e32 v15, v4, v14
	v_fma_f32 v16, -v3, v14, v1
	global_store_dwordx2 v[5:6], v[15:16], off
	global_load_dwordx2 v[3:4], v[17:18], off
                                        ; implicit-def: $vgpr5
	s_waitcnt vmcnt(0)
	v_fma_f32 v3, -v11, v13, v3
	v_fma_f32 v1, -v12, v13, v4
	v_fmac_f32_e32 v3, v12, v14
	v_fma_f32 v4, -v11, v14, v1
	global_store_dwordx2 v[17:18], v[3:4], off
                                        ; implicit-def: $vgpr3_vgpr4
.LBB202_27:                             ;   in Loop: Header=BB202_25 Depth=1
	s_or_saveexec_b64 s[2:3], s[2:3]
	v_mov_b32_e32 v1, s4
	s_xor_b64 exec, exec, s[2:3]
	s_cbranch_execz .LBB202_24
; %bb.28:                               ;   in Loop: Header=BB202_25 Depth=1
	v_add_u32_e32 v1, v8, v7
	v_lshlrev_b64 v[11:12], 3, v[1:2]
	v_mov_b32_e32 v1, s9
	v_add_co_u32_e32 v11, vcc, s8, v11
	v_addc_co_u32_e32 v12, vcc, v1, v12, vcc
	v_add_u32_e32 v1, s23, v5
	v_lshlrev_b64 v[5:6], 3, v[1:2]
	v_mov_b32_e32 v1, s9
	v_add_co_u32_e32 v5, vcc, s8, v5
	v_addc_co_u32_e32 v6, vcc, v1, v6, vcc
	global_load_dwordx2 v[13:14], v[11:12], off
	global_load_dwordx2 v[15:16], v[5:6], off
	s_waitcnt vmcnt(0)
	v_fma_f32 v11, -v3, v13, v15
	v_fma_f32 v1, -v4, v13, v16
	v_fmac_f32_e32 v11, v4, v14
	v_fma_f32 v12, -v3, v14, v1
	v_mov_b32_e32 v1, s22
	global_store_dwordx2 v[5:6], v[11:12], off
	s_branch .LBB202_24
.LBB202_29:
	s_endpgm
	.section	.rodata,"a",@progbits
	.p2align	6, 0x0
	.amdhsa_kernel _ZN9rocsparseL19gtsv_LBM_rhs_kernelILj256ELj4ELj1E21rocsparse_complex_numIfEEEviiiPKT2_S5_S5_PS3_S5_PKi
		.amdhsa_group_segment_fixed_size 0
		.amdhsa_private_segment_fixed_size 0
		.amdhsa_kernarg_size 64
		.amdhsa_user_sgpr_count 6
		.amdhsa_user_sgpr_private_segment_buffer 1
		.amdhsa_user_sgpr_dispatch_ptr 0
		.amdhsa_user_sgpr_queue_ptr 0
		.amdhsa_user_sgpr_kernarg_segment_ptr 1
		.amdhsa_user_sgpr_dispatch_id 0
		.amdhsa_user_sgpr_flat_scratch_init 0
		.amdhsa_user_sgpr_private_segment_size 0
		.amdhsa_uses_dynamic_stack 0
		.amdhsa_system_sgpr_private_segment_wavefront_offset 0
		.amdhsa_system_sgpr_workgroup_id_x 1
		.amdhsa_system_sgpr_workgroup_id_y 1
		.amdhsa_system_sgpr_workgroup_id_z 0
		.amdhsa_system_sgpr_workgroup_info 0
		.amdhsa_system_vgpr_workitem_id 0
		.amdhsa_next_free_vgpr 32
		.amdhsa_next_free_sgpr 27
		.amdhsa_reserve_vcc 1
		.amdhsa_reserve_flat_scratch 0
		.amdhsa_float_round_mode_32 0
		.amdhsa_float_round_mode_16_64 0
		.amdhsa_float_denorm_mode_32 3
		.amdhsa_float_denorm_mode_16_64 3
		.amdhsa_dx10_clamp 1
		.amdhsa_ieee_mode 1
		.amdhsa_fp16_overflow 0
		.amdhsa_exception_fp_ieee_invalid_op 0
		.amdhsa_exception_fp_denorm_src 0
		.amdhsa_exception_fp_ieee_div_zero 0
		.amdhsa_exception_fp_ieee_overflow 0
		.amdhsa_exception_fp_ieee_underflow 0
		.amdhsa_exception_fp_ieee_inexact 0
		.amdhsa_exception_int_div_zero 0
	.end_amdhsa_kernel
	.section	.text._ZN9rocsparseL19gtsv_LBM_rhs_kernelILj256ELj4ELj1E21rocsparse_complex_numIfEEEviiiPKT2_S5_S5_PS3_S5_PKi,"axG",@progbits,_ZN9rocsparseL19gtsv_LBM_rhs_kernelILj256ELj4ELj1E21rocsparse_complex_numIfEEEviiiPKT2_S5_S5_PS3_S5_PKi,comdat
.Lfunc_end202:
	.size	_ZN9rocsparseL19gtsv_LBM_rhs_kernelILj256ELj4ELj1E21rocsparse_complex_numIfEEEviiiPKT2_S5_S5_PS3_S5_PKi, .Lfunc_end202-_ZN9rocsparseL19gtsv_LBM_rhs_kernelILj256ELj4ELj1E21rocsparse_complex_numIfEEEviiiPKT2_S5_S5_PS3_S5_PKi
                                        ; -- End function
	.set _ZN9rocsparseL19gtsv_LBM_rhs_kernelILj256ELj4ELj1E21rocsparse_complex_numIfEEEviiiPKT2_S5_S5_PS3_S5_PKi.num_vgpr, 32
	.set _ZN9rocsparseL19gtsv_LBM_rhs_kernelILj256ELj4ELj1E21rocsparse_complex_numIfEEEviiiPKT2_S5_S5_PS3_S5_PKi.num_agpr, 0
	.set _ZN9rocsparseL19gtsv_LBM_rhs_kernelILj256ELj4ELj1E21rocsparse_complex_numIfEEEviiiPKT2_S5_S5_PS3_S5_PKi.numbered_sgpr, 27
	.set _ZN9rocsparseL19gtsv_LBM_rhs_kernelILj256ELj4ELj1E21rocsparse_complex_numIfEEEviiiPKT2_S5_S5_PS3_S5_PKi.num_named_barrier, 0
	.set _ZN9rocsparseL19gtsv_LBM_rhs_kernelILj256ELj4ELj1E21rocsparse_complex_numIfEEEviiiPKT2_S5_S5_PS3_S5_PKi.private_seg_size, 0
	.set _ZN9rocsparseL19gtsv_LBM_rhs_kernelILj256ELj4ELj1E21rocsparse_complex_numIfEEEviiiPKT2_S5_S5_PS3_S5_PKi.uses_vcc, 1
	.set _ZN9rocsparseL19gtsv_LBM_rhs_kernelILj256ELj4ELj1E21rocsparse_complex_numIfEEEviiiPKT2_S5_S5_PS3_S5_PKi.uses_flat_scratch, 0
	.set _ZN9rocsparseL19gtsv_LBM_rhs_kernelILj256ELj4ELj1E21rocsparse_complex_numIfEEEviiiPKT2_S5_S5_PS3_S5_PKi.has_dyn_sized_stack, 0
	.set _ZN9rocsparseL19gtsv_LBM_rhs_kernelILj256ELj4ELj1E21rocsparse_complex_numIfEEEviiiPKT2_S5_S5_PS3_S5_PKi.has_recursion, 0
	.set _ZN9rocsparseL19gtsv_LBM_rhs_kernelILj256ELj4ELj1E21rocsparse_complex_numIfEEEviiiPKT2_S5_S5_PS3_S5_PKi.has_indirect_call, 0
	.section	.AMDGPU.csdata,"",@progbits
; Kernel info:
; codeLenInByte = 2072
; TotalNumSgprs: 31
; NumVgprs: 32
; ScratchSize: 0
; MemoryBound: 0
; FloatMode: 240
; IeeeMode: 1
; LDSByteSize: 0 bytes/workgroup (compile time only)
; SGPRBlocks: 3
; VGPRBlocks: 7
; NumSGPRsForWavesPerEU: 31
; NumVGPRsForWavesPerEU: 32
; Occupancy: 8
; WaveLimiterHint : 0
; COMPUTE_PGM_RSRC2:SCRATCH_EN: 0
; COMPUTE_PGM_RSRC2:USER_SGPR: 6
; COMPUTE_PGM_RSRC2:TRAP_HANDLER: 0
; COMPUTE_PGM_RSRC2:TGID_X_EN: 1
; COMPUTE_PGM_RSRC2:TGID_Y_EN: 1
; COMPUTE_PGM_RSRC2:TGID_Z_EN: 0
; COMPUTE_PGM_RSRC2:TIDIG_COMP_CNT: 0
	.section	.text._ZN9rocsparseL29gtsv_spike_block_level_kernelILj256ELj4E21rocsparse_complex_numIfEEEviiiPT1_PKS3_S6_S4_S4_S4_S4_S4_,"axG",@progbits,_ZN9rocsparseL29gtsv_spike_block_level_kernelILj256ELj4E21rocsparse_complex_numIfEEEviiiPT1_PKS3_S6_S4_S4_S4_S4_S4_,comdat
	.globl	_ZN9rocsparseL29gtsv_spike_block_level_kernelILj256ELj4E21rocsparse_complex_numIfEEEviiiPT1_PKS3_S6_S4_S4_S4_S4_S4_ ; -- Begin function _ZN9rocsparseL29gtsv_spike_block_level_kernelILj256ELj4E21rocsparse_complex_numIfEEEviiiPT1_PKS3_S6_S4_S4_S4_S4_S4_
	.p2align	8
	.type	_ZN9rocsparseL29gtsv_spike_block_level_kernelILj256ELj4E21rocsparse_complex_numIfEEEviiiPT1_PKS3_S6_S4_S4_S4_S4_S4_,@function
_ZN9rocsparseL29gtsv_spike_block_level_kernelILj256ELj4E21rocsparse_complex_numIfEEEviiiPT1_PKS3_S6_S4_S4_S4_S4_S4_: ; @_ZN9rocsparseL29gtsv_spike_block_level_kernelILj256ELj4E21rocsparse_complex_numIfEEEviiiPT1_PKS3_S6_S4_S4_S4_S4_S4_
; %bb.0:
	s_load_dword s12, s[4:5], 0x0
	s_load_dwordx2 s[8:9], s[4:5], 0x18
	v_lshl_or_b32 v1, s6, 8, v0
	v_mov_b32_e32 v3, 0
	v_mov_b32_e32 v4, 0
	s_waitcnt lgkmcnt(0)
	s_lshr_b32 s20, s12, 2
	v_cmp_gt_i32_e64 s[0:1], s20, v1
	v_mov_b32_e32 v5, 0
	s_and_saveexec_b64 s[2:3], s[0:1]
	s_cbranch_execz .LBB203_2
; %bb.1:
	v_ashrrev_i32_e32 v2, 31, v1
	v_lshlrev_b64 v[4:5], 3, v[1:2]
	v_mov_b32_e32 v2, s9
	v_add_co_u32_e32 v4, vcc, s8, v4
	v_addc_co_u32_e32 v5, vcc, v2, v5, vcc
	global_load_dwordx2 v[4:5], v[4:5], off
.LBB203_2:
	s_or_b64 exec, exec, s[2:3]
	s_load_dwordx2 s[2:3], s[4:5], 0x20
	v_lshlrev_b32_e32 v8, 3, v0
	v_or_b32_e32 v9, 0x1000, v8
	s_waitcnt vmcnt(0)
	ds_write_b64 v8, v[4:5] offset:4096
	v_mov_b32_e32 v4, 0
	s_and_saveexec_b64 s[10:11], s[0:1]
	s_cbranch_execz .LBB203_4
; %bb.3:
	v_mad_u64_u32 v[2:3], s[14:15], s20, 3, v[1:2]
	v_mov_b32_e32 v3, 0
	v_mov_b32_e32 v4, s9
	v_lshlrev_b64 v[2:3], 3, v[2:3]
	v_add_co_u32_e32 v2, vcc, s8, v2
	v_addc_co_u32_e32 v3, vcc, v4, v3, vcc
	global_load_dwordx2 v[3:4], v[2:3], off
.LBB203_4:
	s_or_b64 exec, exec, s[10:11]
	s_waitcnt vmcnt(0)
	ds_write_b64 v9, v[3:4] offset:2048
	v_mov_b32_e32 v3, 0
	v_mov_b32_e32 v4, 0
	v_mov_b32_e32 v5, 0
	s_and_saveexec_b64 s[8:9], s[0:1]
	s_cbranch_execz .LBB203_6
; %bb.5:
	v_ashrrev_i32_e32 v2, 31, v1
	v_lshlrev_b64 v[4:5], 3, v[1:2]
	s_waitcnt lgkmcnt(0)
	v_mov_b32_e32 v2, s3
	v_add_co_u32_e32 v4, vcc, s2, v4
	v_addc_co_u32_e32 v5, vcc, v2, v5, vcc
	global_load_dwordx2 v[4:5], v[4:5], off
.LBB203_6:
	s_or_b64 exec, exec, s[8:9]
	s_load_dwordx2 s[16:17], s[4:5], 0x10
	s_waitcnt vmcnt(0)
	ds_write_b64 v8, v[4:5]
	v_mov_b32_e32 v4, 0
	s_and_saveexec_b64 s[8:9], s[0:1]
	s_cbranch_execz .LBB203_8
; %bb.7:
	v_mad_u64_u32 v[2:3], s[10:11], s20, 3, v[1:2]
	v_mov_b32_e32 v3, 0
	s_waitcnt lgkmcnt(0)
	v_mov_b32_e32 v4, s3
	v_lshlrev_b64 v[2:3], 3, v[2:3]
	v_add_co_u32_e32 v2, vcc, s2, v2
	v_addc_co_u32_e32 v3, vcc, v4, v3, vcc
	global_load_dwordx2 v[3:4], v[2:3], off
.LBB203_8:
	s_or_b64 exec, exec, s[8:9]
	s_mul_i32 s22, s12, s7
	s_waitcnt vmcnt(0)
	ds_write_b64 v8, v[3:4] offset:2048
	v_mov_b32_e32 v5, 0
	v_add_u32_e32 v3, s22, v1
	v_mov_b32_e32 v6, 0
	v_mov_b32_e32 v7, 0
	s_waitcnt lgkmcnt(0)
	s_and_saveexec_b64 s[2:3], s[0:1]
	s_cbranch_execz .LBB203_10
; %bb.9:
	v_ashrrev_i32_e32 v4, 31, v3
	v_lshlrev_b64 v[6:7], 3, v[3:4]
	v_mov_b32_e32 v2, s17
	v_add_co_u32_e32 v6, vcc, s16, v6
	v_addc_co_u32_e32 v7, vcc, v2, v7, vcc
	global_load_dwordx2 v[6:7], v[6:7], off
.LBB203_10:
	s_or_b64 exec, exec, s[2:3]
	s_load_dwordx2 s[2:3], s[4:5], 0x48
	s_load_dwordx8 s[8:15], s[4:5], 0x28
	v_or_b32_e32 v10, 0x2000, v8
	s_waitcnt vmcnt(0)
	ds_write_b64 v8, v[6:7] offset:8192
	s_mul_i32 s21, s20, 3
	v_mov_b32_e32 v6, 0
	s_and_saveexec_b64 s[18:19], s[0:1]
	s_cbranch_execz .LBB203_12
; %bb.11:
	s_mul_i32 s23, s20, 3
	s_add_i32 s23, s23, s22
	v_add_u32_e32 v4, s23, v1
	v_mov_b32_e32 v5, 0
	v_lshlrev_b64 v[4:5], 3, v[4:5]
	v_mov_b32_e32 v2, s17
	v_add_co_u32_e32 v4, vcc, s16, v4
	v_addc_co_u32_e32 v5, vcc, v2, v5, vcc
	global_load_dwordx2 v[5:6], v[4:5], off
.LBB203_12:
	s_or_b64 exec, exec, s[18:19]
	s_mov_b32 s22, 2
	s_waitcnt vmcnt(0)
	ds_write_b64 v10, v[5:6] offset:2048
	s_waitcnt lgkmcnt(0)
	s_barrier
	s_branch .LBB203_14
.LBB203_13:                             ;   in Loop: Header=BB203_14 Depth=1
	s_or_b64 exec, exec, s[18:19]
	s_lshl_b32 s18, s22, 1
	s_cmpk_lt_u32 s22, 0x81
	s_mov_b32 s22, s18
	s_waitcnt lgkmcnt(0)
	s_barrier
	s_cbranch_scc0 .LBB203_16
.LBB203_14:                             ; =>This Inner Loop Header: Depth=1
	s_ff1_i32_b32 s18, s22
	s_lshr_b32 s18, 0x100, s18
	v_cmp_gt_u32_e32 vcc, s18, v0
	s_and_saveexec_b64 s[18:19], vcc
	s_cbranch_execz .LBB203_13
; %bb.15:                               ;   in Loop: Header=BB203_14 Depth=1
	v_mul_lo_u32 v2, s22, v0
	s_lshr_b32 s23, s22, 1
	v_add_u32_e32 v15, s23, v2
	v_lshlrev_b32_e32 v23, 3, v15
	v_add_u32_e32 v24, 0x1000, v23
	ds_read2_b64 v[4:7], v23 offset1:255
	ds_read2_b64 v[11:14], v24 offset1:255
	v_add_u32_e32 v30, 0x2000, v23
	v_add_lshl_u32 v29, v15, s23, 3
	v_lshlrev_b32_e32 v2, 3, v2
	ds_read_b64 v[19:20], v2
	s_waitcnt lgkmcnt(1)
	v_mul_f32_e64 v16, v7, -v12
	v_mul_f32_e32 v21, v7, v11
	v_fmac_f32_e32 v16, v11, v6
	v_fmac_f32_e32 v21, v12, v6
	v_sub_f32_e32 v22, 1.0, v16
	v_mul_f32_e64 v25, -v21, -v21
	v_fmac_f32_e32 v25, v22, v22
	v_div_scale_f32 v26, s[24:25], v25, v25, 1.0
	v_div_scale_f32 v27, vcc, 1.0, v25, 1.0
	ds_read2_b64 v[15:18], v30 offset1:255
	v_sub_f32_e32 v21, 0, v21
	v_rcp_f32_e32 v28, v26
	v_fma_f32 v31, -v26, v28, 1.0
	v_fmac_f32_e32 v28, v31, v28
	v_mul_f32_e32 v31, v27, v28
	v_fma_f32 v32, -v26, v31, v27
	v_fmac_f32_e32 v31, v32, v28
	v_fma_f32 v26, -v26, v31, v27
	v_div_fmas_f32 v26, v26, v28, v31
	s_waitcnt lgkmcnt(0)
	v_mul_f32_e64 v27, v16, -v7
	v_mul_f32_e32 v32, v12, v17
	v_mul_f32_e32 v28, v16, v6
	v_mul_f32_e64 v31, v12, -v18
	v_fmac_f32_e32 v27, v6, v15
	v_fmac_f32_e32 v32, v18, v11
	;; [unrolled: 1-line block ×4, first 2 shown]
	v_sub_f32_e32 v27, v17, v27
	v_sub_f32_e32 v32, v16, v32
	v_fma_f32 v16, v22, 0, -v21
	v_sub_f32_e32 v28, v18, v28
	v_sub_f32_e32 v31, v15, v31
	v_fma_f32 v15, 0, v21, v22
	v_div_fixup_f32 v17, v26, v25, 1.0
	v_mul_f32_e32 v26, v16, v17
	v_mul_f32_e32 v25, v15, v17
	v_mul_f32_e64 v15, v26, -v28
	v_mul_f32_e32 v16, v26, v27
	v_mul_f32_e64 v17, v26, -v32
	v_mul_f32_e32 v18, v26, v31
	v_fmac_f32_e32 v15, v27, v25
	v_fmac_f32_e32 v16, v28, v25
	;; [unrolled: 1-line block ×4, first 2 shown]
	ds_write2_b64 v30, v[17:18], v[15:16] offset1:255
	v_mul_f32_e64 v27, v18, -v20
	v_mul_f32_e32 v28, v18, v19
	v_mul_f32_e32 v18, v5, v6
	v_fmac_f32_e32 v27, v19, v17
	v_fmac_f32_e32 v28, v20, v17
	v_mul_f32_e64 v17, v5, -v7
	v_fmac_f32_e32 v18, v7, v4
	v_fmac_f32_e32 v17, v6, v4
	v_mul_f32_e32 v6, v26, v18
	v_mul_f32_e64 v7, v18, -v25
	v_fma_f32 v6, -v25, v17, v6
	v_fma_f32 v7, -v26, v17, v7
	v_mul_f32_e64 v17, v5, -v26
	v_mul_f32_e32 v18, v25, v5
	v_mul_f32_e32 v5, v12, v13
	v_fmac_f32_e32 v17, v25, v4
	v_fmac_f32_e32 v18, v26, v4
	v_mul_f32_e64 v4, v12, -v14
	v_fmac_f32_e32 v5, v14, v11
	ds_read_b64 v[15:16], v2 offset:8192
	ds_read_b64 v[21:22], v29 offset:6136
	ds_write2_b64 v23, v[17:18], v[6:7] offset1:255
	v_fmac_f32_e32 v4, v13, v11
	v_mul_f32_e32 v6, v26, v5
	v_mul_f32_e64 v5, v5, -v25
	v_fma_f32 v11, -v25, v4, v6
	v_fma_f32 v12, -v26, v4, v5
	v_mul_f32_e64 v4, v14, -v26
	v_mul_f32_e32 v5, v25, v14
	v_fmac_f32_e32 v4, v25, v13
	v_fmac_f32_e32 v5, v26, v13
	ds_write2_b64 v24, v[11:12], v[4:5] offset1:255
	ds_read2st64_b64 v[4:7], v2 offset1:8
	s_waitcnt lgkmcnt(4)
	v_sub_f32_e32 v13, v15, v27
	v_sub_f32_e32 v14, v16, v28
	ds_write_b64 v2, v[13:14] offset:8192
	ds_read_b64 v[13:14], v23 offset:10232
	s_waitcnt lgkmcnt(2)
	v_mul_f32_e64 v15, v12, -v5
	v_mul_f32_e32 v12, v12, v4
	v_fmac_f32_e32 v15, v4, v11
	v_fmac_f32_e32 v12, v5, v11
	v_mul_f32_e32 v11, v18, v5
	v_fma_f32 v11, -v4, v17, v11
	v_mul_f32_e64 v4, v18, -v4
	v_sub_f32_e32 v6, v6, v15
	v_sub_f32_e32 v7, v7, v12
	v_fma_f32 v12, -v5, v17, v4
	ds_write2st64_b64 v2, v[11:12], v[6:7] offset1:8
	ds_read_b64 v[4:5], v23 offset:2040
	ds_read_b64 v[6:7], v29 offset:2040
	;; [unrolled: 1-line block ×5, first 2 shown]
	s_waitcnt lgkmcnt(6)
	v_mul_f32_e64 v2, v14, -v22
	v_fmac_f32_e32 v2, v21, v13
	v_mul_f32_e32 v14, v14, v21
	v_fmac_f32_e32 v14, v22, v13
	s_waitcnt lgkmcnt(1)
	v_sub_f32_e32 v13, v15, v2
	s_waitcnt lgkmcnt(0)
	v_mul_f32_e64 v2, v18, -v5
	v_sub_f32_e32 v14, v16, v14
	v_fmac_f32_e32 v2, v4, v17
	ds_write_b64 v29, v[13:14] offset:10232
	v_mul_f32_e32 v13, v18, v4
	v_sub_f32_e32 v4, v6, v2
	v_mul_f32_e32 v2, v18, v12
	v_fmac_f32_e32 v13, v5, v17
	v_fma_f32 v6, -v17, v11, v2
	v_mul_f32_e64 v2, v12, -v17
	v_sub_f32_e32 v5, v7, v13
	v_fma_f32 v7, -v18, v11, v2
	v_add_u32_e32 v2, 0x1f8, v29
	ds_write2st64_b64 v2, v[4:5], v[6:7] offset0:3 offset1:11
	s_branch .LBB203_13
.LBB203_16:
	s_and_saveexec_b64 s[18:19], s[0:1]
	s_cbranch_execnz .LBB203_19
; %bb.17:
	s_or_b64 exec, exec, s[18:19]
	v_cmp_eq_u32_e32 vcc, 0, v0
	s_and_saveexec_b64 s[0:1], vcc
	s_cbranch_execnz .LBB203_23
.LBB203_18:
	s_endpgm
.LBB203_19:
	s_cmp_eq_u32 s7, 0
	s_cbranch_scc1 .LBB203_27
; %bb.20:
	s_mul_i32 s20, s20, 3
	s_cbranch_execnz .LBB203_22
.LBB203_21:
	v_ashrrev_i32_e32 v2, 31, v1
	v_lshlrev_b64 v[11:12], 3, v[1:2]
	ds_read2st64_b64 v[4:7], v9 offset1:4
	v_mov_b32_e32 v2, s9
	v_add_co_u32_e32 v13, vcc, s8, v11
	v_addc_co_u32_e32 v14, vcc, v2, v12, vcc
	v_add_u32_e32 v1, s21, v1
	v_mov_b32_e32 v2, 0
	v_lshlrev_b64 v[1:2], 3, v[1:2]
	s_waitcnt lgkmcnt(0)
	global_store_dwordx2 v[13:14], v[4:5], off
	v_mov_b32_e32 v5, s9
	v_add_co_u32_e32 v4, vcc, s8, v1
	v_addc_co_u32_e32 v5, vcc, v5, v2, vcc
	global_store_dwordx2 v[4:5], v[6:7], off
	ds_read2st64_b64 v[4:7], v8 offset1:4
	v_mov_b32_e32 v9, s11
	v_add_co_u32_e32 v8, vcc, s10, v11
	v_addc_co_u32_e32 v9, vcc, v9, v12, vcc
	s_waitcnt lgkmcnt(0)
	global_store_dwordx2 v[8:9], v[4:5], off
	v_mov_b32_e32 v4, s11
	v_add_co_u32_e32 v1, vcc, s10, v1
	v_addc_co_u32_e32 v2, vcc, v4, v2, vcc
	s_mov_b32 s20, s21
	global_store_dwordx2 v[1:2], v[6:7], off
.LBB203_22:
	v_ashrrev_i32_e32 v4, 31, v3
	v_lshlrev_b64 v[1:2], 3, v[3:4]
	ds_read2st64_b64 v[4:7], v10 offset1:4
	v_mov_b32_e32 v8, s17
	v_add_co_u32_e32 v1, vcc, s16, v1
	v_addc_co_u32_e32 v2, vcc, v8, v2, vcc
	s_waitcnt lgkmcnt(0)
	global_store_dwordx2 v[1:2], v[4:5], off
	v_add_u32_e32 v1, s20, v3
	v_mov_b32_e32 v2, 0
	v_lshlrev_b64 v[1:2], 3, v[1:2]
	v_mov_b32_e32 v3, s17
	v_add_co_u32_e32 v1, vcc, s16, v1
	v_addc_co_u32_e32 v2, vcc, v3, v2, vcc
	global_store_dwordx2 v[1:2], v[6:7], off
	s_or_b64 exec, exec, s[18:19]
	v_cmp_eq_u32_e32 vcc, 0, v0
	s_and_saveexec_b64 s[0:1], vcc
	s_cbranch_execz .LBB203_18
.LBB203_23:
	s_cmp_eq_u32 s7, 0
	s_cbranch_scc1 .LBB203_28
; %bb.24:
	s_load_dword s8, s[4:5], 0x50
	s_cbranch_execnz .LBB203_26
.LBB203_25:
	v_mov_b32_e32 v0, 0xff8
	ds_read2_b64 v[0:3], v0 offset1:1
	s_mov_b32 s0, s7
	s_ashr_i32 s7, s6, 31
	s_waitcnt lgkmcnt(0)
	s_load_dword s8, s[4:5], 0x50
	s_lshl_b64 s[10:11], s[6:7], 3
	s_mov_b32 s7, s0
	s_add_u32 s0, s14, s10
	s_addc_u32 s1, s15, s11
	v_mov_b32_e32 v6, 0
	ds_read_b64 v[4:5], v6
	global_store_dwordx2 v6, v[2:3], s[0:1]
	ds_read_b64 v[2:3], v6 offset:8184
	s_waitcnt lgkmcnt(0)
	s_add_i32 s0, s8, s6
	s_mov_b32 s1, 0
	s_lshl_b64 s[0:1], s[0:1], 3
	s_add_u32 s4, s14, s0
	s_addc_u32 s5, s15, s1
	global_store_dwordx2 v6, v[2:3], s[4:5]
	s_add_u32 s4, s2, s10
	s_addc_u32 s5, s3, s11
	s_add_u32 s0, s2, s0
	s_addc_u32 s1, s3, s1
	global_store_dwordx2 v6, v[4:5], s[4:5]
	global_store_dwordx2 v6, v[0:1], s[0:1]
.LBB203_26:
	s_waitcnt lgkmcnt(0)
	s_mul_i32 s0, s8, s7
	s_lshl_b32 s0, s0, 1
	s_add_i32 s0, s0, s6
	s_mov_b32 s1, 0
	v_mov_b32_e32 v4, 0
	s_lshl_b64 s[2:3], s[0:1], 3
	ds_read_b64 v[0:1], v4 offset:8192
	ds_read_b64 v[2:3], v4 offset:12280
	s_add_u32 s2, s12, s2
	s_addc_u32 s3, s13, s3
	s_add_i32 s0, s0, s8
	s_lshl_b64 s[0:1], s[0:1], 3
	s_add_u32 s0, s12, s0
	s_addc_u32 s1, s13, s1
	s_waitcnt lgkmcnt(1)
	global_store_dwordx2 v4, v[0:1], s[2:3]
	s_waitcnt lgkmcnt(0)
	global_store_dwordx2 v4, v[2:3], s[0:1]
	s_endpgm
.LBB203_27:
                                        ; implicit-def: $sgpr20
	s_branch .LBB203_21
.LBB203_28:
                                        ; implicit-def: $sgpr8
	s_branch .LBB203_25
	.section	.rodata,"a",@progbits
	.p2align	6, 0x0
	.amdhsa_kernel _ZN9rocsparseL29gtsv_spike_block_level_kernelILj256ELj4E21rocsparse_complex_numIfEEEviiiPT1_PKS3_S6_S4_S4_S4_S4_S4_
		.amdhsa_group_segment_fixed_size 12288
		.amdhsa_private_segment_fixed_size 0
		.amdhsa_kernarg_size 336
		.amdhsa_user_sgpr_count 6
		.amdhsa_user_sgpr_private_segment_buffer 1
		.amdhsa_user_sgpr_dispatch_ptr 0
		.amdhsa_user_sgpr_queue_ptr 0
		.amdhsa_user_sgpr_kernarg_segment_ptr 1
		.amdhsa_user_sgpr_dispatch_id 0
		.amdhsa_user_sgpr_flat_scratch_init 0
		.amdhsa_user_sgpr_private_segment_size 0
		.amdhsa_uses_dynamic_stack 0
		.amdhsa_system_sgpr_private_segment_wavefront_offset 0
		.amdhsa_system_sgpr_workgroup_id_x 1
		.amdhsa_system_sgpr_workgroup_id_y 1
		.amdhsa_system_sgpr_workgroup_id_z 0
		.amdhsa_system_sgpr_workgroup_info 0
		.amdhsa_system_vgpr_workitem_id 0
		.amdhsa_next_free_vgpr 41
		.amdhsa_next_free_sgpr 98
		.amdhsa_reserve_vcc 1
		.amdhsa_reserve_flat_scratch 0
		.amdhsa_float_round_mode_32 0
		.amdhsa_float_round_mode_16_64 0
		.amdhsa_float_denorm_mode_32 3
		.amdhsa_float_denorm_mode_16_64 3
		.amdhsa_dx10_clamp 1
		.amdhsa_ieee_mode 1
		.amdhsa_fp16_overflow 0
		.amdhsa_exception_fp_ieee_invalid_op 0
		.amdhsa_exception_fp_denorm_src 0
		.amdhsa_exception_fp_ieee_div_zero 0
		.amdhsa_exception_fp_ieee_overflow 0
		.amdhsa_exception_fp_ieee_underflow 0
		.amdhsa_exception_fp_ieee_inexact 0
		.amdhsa_exception_int_div_zero 0
	.end_amdhsa_kernel
	.section	.text._ZN9rocsparseL29gtsv_spike_block_level_kernelILj256ELj4E21rocsparse_complex_numIfEEEviiiPT1_PKS3_S6_S4_S4_S4_S4_S4_,"axG",@progbits,_ZN9rocsparseL29gtsv_spike_block_level_kernelILj256ELj4E21rocsparse_complex_numIfEEEviiiPT1_PKS3_S6_S4_S4_S4_S4_S4_,comdat
.Lfunc_end203:
	.size	_ZN9rocsparseL29gtsv_spike_block_level_kernelILj256ELj4E21rocsparse_complex_numIfEEEviiiPT1_PKS3_S6_S4_S4_S4_S4_S4_, .Lfunc_end203-_ZN9rocsparseL29gtsv_spike_block_level_kernelILj256ELj4E21rocsparse_complex_numIfEEEviiiPT1_PKS3_S6_S4_S4_S4_S4_S4_
                                        ; -- End function
	.set _ZN9rocsparseL29gtsv_spike_block_level_kernelILj256ELj4E21rocsparse_complex_numIfEEEviiiPT1_PKS3_S6_S4_S4_S4_S4_S4_.num_vgpr, 33
	.set _ZN9rocsparseL29gtsv_spike_block_level_kernelILj256ELj4E21rocsparse_complex_numIfEEEviiiPT1_PKS3_S6_S4_S4_S4_S4_S4_.num_agpr, 0
	.set _ZN9rocsparseL29gtsv_spike_block_level_kernelILj256ELj4E21rocsparse_complex_numIfEEEviiiPT1_PKS3_S6_S4_S4_S4_S4_S4_.numbered_sgpr, 26
	.set _ZN9rocsparseL29gtsv_spike_block_level_kernelILj256ELj4E21rocsparse_complex_numIfEEEviiiPT1_PKS3_S6_S4_S4_S4_S4_S4_.num_named_barrier, 0
	.set _ZN9rocsparseL29gtsv_spike_block_level_kernelILj256ELj4E21rocsparse_complex_numIfEEEviiiPT1_PKS3_S6_S4_S4_S4_S4_S4_.private_seg_size, 0
	.set _ZN9rocsparseL29gtsv_spike_block_level_kernelILj256ELj4E21rocsparse_complex_numIfEEEviiiPT1_PKS3_S6_S4_S4_S4_S4_S4_.uses_vcc, 1
	.set _ZN9rocsparseL29gtsv_spike_block_level_kernelILj256ELj4E21rocsparse_complex_numIfEEEviiiPT1_PKS3_S6_S4_S4_S4_S4_S4_.uses_flat_scratch, 0
	.set _ZN9rocsparseL29gtsv_spike_block_level_kernelILj256ELj4E21rocsparse_complex_numIfEEEviiiPT1_PKS3_S6_S4_S4_S4_S4_S4_.has_dyn_sized_stack, 0
	.set _ZN9rocsparseL29gtsv_spike_block_level_kernelILj256ELj4E21rocsparse_complex_numIfEEEviiiPT1_PKS3_S6_S4_S4_S4_S4_S4_.has_recursion, 0
	.set _ZN9rocsparseL29gtsv_spike_block_level_kernelILj256ELj4E21rocsparse_complex_numIfEEEviiiPT1_PKS3_S6_S4_S4_S4_S4_S4_.has_indirect_call, 0
	.section	.AMDGPU.csdata,"",@progbits
; Kernel info:
; codeLenInByte = 1924
; TotalNumSgprs: 30
; NumVgprs: 33
; ScratchSize: 0
; MemoryBound: 0
; FloatMode: 240
; IeeeMode: 1
; LDSByteSize: 12288 bytes/workgroup (compile time only)
; SGPRBlocks: 12
; VGPRBlocks: 10
; NumSGPRsForWavesPerEU: 102
; NumVGPRsForWavesPerEU: 41
; Occupancy: 5
; WaveLimiterHint : 0
; COMPUTE_PGM_RSRC2:SCRATCH_EN: 0
; COMPUTE_PGM_RSRC2:USER_SGPR: 6
; COMPUTE_PGM_RSRC2:TRAP_HANDLER: 0
; COMPUTE_PGM_RSRC2:TGID_X_EN: 1
; COMPUTE_PGM_RSRC2:TGID_Y_EN: 1
; COMPUTE_PGM_RSRC2:TGID_Z_EN: 0
; COMPUTE_PGM_RSRC2:TIDIG_COMP_CNT: 0
	.section	.text._ZN9rocsparseL33gtsv_solve_spike_propagate_kernelILj256ELj4E21rocsparse_complex_numIfEEEviiiPT1_PKS3_S6_S6_,"axG",@progbits,_ZN9rocsparseL33gtsv_solve_spike_propagate_kernelILj256ELj4E21rocsparse_complex_numIfEEEviiiPT1_PKS3_S6_S6_,comdat
	.globl	_ZN9rocsparseL33gtsv_solve_spike_propagate_kernelILj256ELj4E21rocsparse_complex_numIfEEEviiiPT1_PKS3_S6_S6_ ; -- Begin function _ZN9rocsparseL33gtsv_solve_spike_propagate_kernelILj256ELj4E21rocsparse_complex_numIfEEEviiiPT1_PKS3_S6_S6_
	.p2align	8
	.type	_ZN9rocsparseL33gtsv_solve_spike_propagate_kernelILj256ELj4E21rocsparse_complex_numIfEEEviiiPT1_PKS3_S6_S6_,@function
_ZN9rocsparseL33gtsv_solve_spike_propagate_kernelILj256ELj4E21rocsparse_complex_numIfEEEviiiPT1_PKS3_S6_S6_: ; @_ZN9rocsparseL33gtsv_solve_spike_propagate_kernelILj256ELj4E21rocsparse_complex_numIfEEEviiiPT1_PKS3_S6_S6_
; %bb.0:
	s_load_dword s10, s[4:5], 0x0
	v_lshl_or_b32 v1, s6, 8, v0
	v_lshlrev_b32_e32 v6, 3, v0
	s_waitcnt lgkmcnt(0)
	s_lshr_b32 s14, s10, 2
	v_cmp_gt_i32_e32 vcc, s14, v1
	v_cmp_le_i32_e64 s[0:1], s14, v1
	s_and_saveexec_b64 s[2:3], s[0:1]
	s_xor_b64 s[2:3], exec, s[2:3]
; %bb.1:
	v_mov_b32_e32 v2, 0
	v_mov_b32_e32 v3, v2
	ds_write_b64 v6, v[2:3] offset:8208
; %bb.2:
	s_or_saveexec_b64 s[8:9], s[2:3]
	v_mov_b32_e32 v3, 0
	v_ashrrev_i32_e32 v2, 31, v1
	v_mov_b32_e32 v4, 0
	s_xor_b64 exec, exec, s[8:9]
	s_cbranch_execz .LBB204_4
; %bb.3:
	s_load_dwordx2 s[12:13], s[4:5], 0x18
	v_mad_u64_u32 v[7:8], s[2:3], s14, 3, v[1:2]
	v_lshlrev_b64 v[3:4], 3, v[1:2]
	v_mov_b32_e32 v8, 0
	s_waitcnt lgkmcnt(0)
	v_mov_b32_e32 v5, s13
	v_add_co_u32_e64 v9, s[2:3], s12, v3
	v_addc_co_u32_e64 v10, s[2:3], v5, v4, s[2:3]
	v_lshlrev_b64 v[3:4], 3, v[7:8]
	v_add_co_u32_e64 v7, s[2:3], s12, v3
	v_addc_co_u32_e64 v8, s[2:3], v5, v4, s[2:3]
	global_load_dwordx2 v[11:12], v[9:10], off
	global_load_dwordx2 v[3:4], v[7:8], off
	s_waitcnt vmcnt(1)
	ds_write_b64 v6, v[11:12] offset:8208
.LBB204_4:
	s_or_b64 exec, exec, s[8:9]
	s_load_dwordx2 s[2:3], s[4:5], 0x10
	s_waitcnt vmcnt(0)
	ds_write_b64 v6, v[3:4] offset:10256
	s_and_saveexec_b64 s[8:9], s[0:1]
	s_xor_b64 s[0:1], exec, s[8:9]
	s_cbranch_execz .LBB204_6
; %bb.5:
	s_mov_b32 s8, 0
	s_mov_b32 s9, s8
	v_mov_b32_e32 v2, s8
	v_mov_b32_e32 v3, s9
	v_add_u32_e32 v4, 16, v6
	ds_write2st64_b64 v4, v[2:3], v[2:3] offset0:8 offset1:12
.LBB204_6:
	s_or_saveexec_b64 s[8:9], s[0:1]
	v_mov_b32_e32 v3, 0
	s_mul_i32 s10, s10, s7
	v_mov_b32_e32 v5, 0
	v_mov_b32_e32 v4, 0
	s_xor_b64 exec, exec, s[8:9]
	s_cbranch_execz .LBB204_8
; %bb.7:
	s_load_dwordx2 s[12:13], s[4:5], 0x20
	v_mad_u64_u32 v[7:8], s[0:1], s14, 3, v[1:2]
	v_lshlrev_b64 v[4:5], 3, v[1:2]
	v_mov_b32_e32 v8, 0
	s_waitcnt lgkmcnt(0)
	v_mov_b32_e32 v2, s13
	v_add_co_u32_e64 v4, s[0:1], s12, v4
	v_lshlrev_b64 v[9:10], 3, v[7:8]
	v_addc_co_u32_e64 v5, s[0:1], v2, v5, s[0:1]
	v_add_co_u32_e64 v9, s[0:1], s12, v9
	v_add_u32_e32 v7, s10, v7
	v_addc_co_u32_e64 v10, s[0:1], v2, v10, s[0:1]
	global_load_dwordx2 v[11:12], v[4:5], off
	global_load_dwordx2 v[13:14], v[9:10], off
	v_lshlrev_b64 v[4:5], 3, v[7:8]
	v_mov_b32_e32 v2, s3
	v_add_co_u32_e64 v4, s[0:1], s2, v4
	v_addc_co_u32_e64 v5, s[0:1], v2, v5, s[0:1]
	global_load_dwordx2 v[4:5], v[4:5], off
	v_add_u32_e32 v2, 16, v6
	s_waitcnt vmcnt(1)
	ds_write2st64_b64 v2, v[11:12], v[13:14] offset0:8 offset1:12
.LBB204_8:
	s_or_b64 exec, exec, s[8:9]
	v_add_u32_e32 v1, s10, v1
	v_mov_b32_e32 v2, 0
	s_waitcnt vmcnt(0)
	ds_write_b64 v6, v[4:5] offset:8
	s_and_saveexec_b64 s[8:9], vcc
	s_cbranch_execz .LBB204_10
; %bb.9:
	v_ashrrev_i32_e32 v2, 31, v1
	v_lshlrev_b64 v[2:3], 3, v[1:2]
	s_waitcnt lgkmcnt(0)
	v_mov_b32_e32 v4, s3
	v_add_co_u32_e64 v2, s[0:1], s2, v2
	v_addc_co_u32_e64 v3, s[0:1], v4, v3, s[0:1]
	global_load_dwordx2 v[2:3], v[2:3], off
.LBB204_10:
	s_or_b64 exec, exec, s[8:9]
	s_mov_b32 s13, 0
	v_cmp_eq_u32_e64 s[0:1], 0, v0
	s_waitcnt vmcnt(0)
	ds_write_b64 v6, v[2:3] offset:2056
	s_waitcnt lgkmcnt(0)
	s_barrier
	s_and_saveexec_b64 s[8:9], s[0:1]
	s_cbranch_execz .LBB204_16
; %bb.11:
	s_load_dword s15, s[4:5], 0x30
	s_load_dwordx2 s[10:11], s[4:5], 0x28
	s_cmp_lt_i32 s6, 1
	s_mov_b32 s12, 0
	s_waitcnt lgkmcnt(0)
	s_mul_i32 s7, s7, s15
	s_cbranch_scc1 .LBB204_13
; %bb.12:
	s_lshl_b32 s4, s7, 1
	s_add_i32 s5, s6, s15
	s_add_i32 s4, s5, s4
	s_add_i32 s4, s4, -1
	s_mov_b32 s5, 0
	s_lshl_b64 s[4:5], s[4:5], 3
	s_add_u32 s4, s10, s4
	s_addc_u32 s5, s11, s5
	s_load_dwordx2 s[12:13], s[4:5], 0x0
.LBB204_13:
	s_add_i32 s4, s15, -1
	s_waitcnt lgkmcnt(0)
	v_mov_b32_e32 v3, s12
	v_mov_b32_e32 v4, s13
	;; [unrolled: 1-line block ×3, first 2 shown]
	s_mov_b32 s5, 0
	s_cmp_ge_u32 s6, s4
	s_mov_b32 s13, 0
	s_mov_b32 s12, 0
	ds_write_b64 v2, v[3:4]
	s_cbranch_scc1 .LBB204_15
; %bb.14:
	s_lshl_b32 s4, s7, 1
	s_add_i32 s4, s6, s4
	s_add_i32 s12, s4, 1
	s_lshl_b64 s[12:13], s[12:13], 3
	s_add_u32 s16, s10, s12
	s_addc_u32 s17, s11, s13
	s_load_dwordx2 s[12:13], s[16:17], 0x0
.LBB204_15:
	s_lshl_b32 s4, s7, 1
	s_add_i32 s4, s4, s6
	s_lshl_b64 s[6:7], s[4:5], 3
	s_add_u32 s6, s10, s6
	s_addc_u32 s7, s11, s7
	s_add_i32 s4, s4, s15
	s_lshl_b64 s[4:5], s[4:5], 3
	s_add_u32 s4, s10, s4
	s_addc_u32 s5, s11, s5
	s_load_dwordx2 s[10:11], s[4:5], 0x0
	s_load_dwordx2 s[16:17], s[6:7], 0x0
	s_waitcnt lgkmcnt(0)
	v_mov_b32_e32 v3, s12
	v_mov_b32_e32 v4, s13
	ds_write_b64 v2, v[3:4] offset:4104
	v_mov_b32_e32 v7, s10
	v_mov_b32_e32 v8, s11
	v_mov_b32_e32 v9, s16
	v_mov_b32_e32 v10, s17
	ds_write_b128 v2, v[7:10] offset:2048
.LBB204_16:
	s_or_b64 exec, exec, s[8:9]
	s_waitcnt lgkmcnt(0)
	s_barrier
	s_and_saveexec_b64 s[4:5], s[0:1]
	s_cbranch_execz .LBB204_18
; %bb.17:
	s_movk_i32 s0, 0x1410
	v_add_u32_e64 v7, s0, 0
	v_add_u32_e64 v2, 8, 0
	ds_read2st64_b64 v[2:5], v2 offset0:6 offset1:8
	ds_read2_b64 v[7:10], v7 offset1:255
	s_movk_i32 s0, 0x2410
	v_mov_b32_e32 v19, 0
	v_add_u32_e64 v15, s0, 0
	ds_read2st64_b64 v[11:14], v19 offset1:2
	ds_read2_b64 v[15:18], v15 offset1:255
	s_waitcnt lgkmcnt(2)
	v_mul_f32_e64 v20, v5, -v10
	v_fmac_f32_e32 v20, v9, v4
	v_mul_f32_e32 v9, v5, v9
	v_fmac_f32_e32 v9, v10, v4
	s_waitcnt lgkmcnt(1)
	v_sub_f32_e32 v10, v13, v20
	v_sub_f32_e32 v13, v14, v9
	s_waitcnt lgkmcnt(0)
	v_mul_f32_e64 v9, v12, -v18
	v_mul_f32_e32 v14, v12, v17
	v_fmac_f32_e32 v9, v17, v11
	v_fmac_f32_e32 v14, v18, v11
	v_sub_f32_e32 v9, v10, v9
	v_sub_f32_e32 v10, v13, v14
	ds_write_b64 v19, v[9:10] offset:1024
	v_mul_f32_e64 v9, v5, -v8
	v_mul_f32_e32 v5, v5, v7
	v_fmac_f32_e32 v5, v8, v4
	v_fmac_f32_e32 v9, v7, v4
	v_sub_f32_e32 v3, v3, v5
	v_mul_f32_e64 v4, v12, -v16
	v_mul_f32_e32 v5, v12, v15
	v_sub_f32_e32 v2, v2, v9
	v_fmac_f32_e32 v4, v15, v11
	v_fmac_f32_e32 v5, v16, v11
	v_sub_f32_e32 v2, v2, v4
	v_sub_f32_e32 v3, v3, v5
	ds_write_b64 v19, v[2:3] offset:3080
.LBB204_18:
	s_or_b64 exec, exec, s[4:5]
	v_cmp_gt_u32_e64 s[0:1], 2, v0
	s_waitcnt lgkmcnt(0)
	s_barrier
	s_and_saveexec_b64 s[4:5], s[0:1]
	s_cbranch_execz .LBB204_20
; %bb.19:
	v_lshlrev_b32_e32 v19, 10, v0
	v_add_u32_e32 v2, 0x1210, v19
	ds_read2_b64 v[2:5], v2 offset1:255
	v_add_u32_e32 v7, 8, v19
	ds_read2st64_b64 v[7:10], v7 offset0:5 offset1:6
	ds_read2st64_b64 v[11:14], v19 offset1:1
	v_add_u32_e32 v15, 0x2210, v19
	ds_read2_b64 v[15:18], v15 offset1:255
	s_waitcnt lgkmcnt(2)
	v_mul_f32_e64 v20, v10, -v5
	v_fmac_f32_e32 v20, v4, v9
	v_mul_f32_e32 v4, v10, v4
	v_fmac_f32_e32 v4, v5, v9
	s_waitcnt lgkmcnt(1)
	v_sub_f32_e32 v5, v13, v20
	v_sub_f32_e32 v13, v14, v4
	s_waitcnt lgkmcnt(0)
	v_mul_f32_e64 v4, v12, -v18
	v_mul_f32_e32 v14, v12, v17
	v_fmac_f32_e32 v4, v17, v11
	v_fmac_f32_e32 v14, v18, v11
	v_sub_f32_e32 v4, v5, v4
	v_sub_f32_e32 v5, v13, v14
	ds_write_b64 v19, v[4:5] offset:512
	v_mul_f32_e64 v4, v10, -v3
	v_fmac_f32_e32 v4, v2, v9
	v_mul_f32_e32 v2, v10, v2
	v_fmac_f32_e32 v2, v3, v9
	v_sub_f32_e32 v3, v7, v4
	v_sub_f32_e32 v4, v8, v2
	v_mul_f32_e64 v2, v12, -v16
	v_mul_f32_e32 v5, v12, v15
	v_fmac_f32_e32 v2, v15, v11
	v_fmac_f32_e32 v5, v16, v11
	v_sub_f32_e32 v2, v3, v2
	v_sub_f32_e32 v3, v4, v5
	ds_write_b64 v19, v[2:3] offset:2568
.LBB204_20:
	s_or_b64 exec, exec, s[4:5]
	v_cmp_gt_u32_e64 s[0:1], 4, v0
	s_waitcnt lgkmcnt(0)
	s_barrier
	s_and_saveexec_b64 s[4:5], s[0:1]
	s_cbranch_execz .LBB204_22
; %bb.21:
	v_lshlrev_b32_e32 v19, 9, v0
	v_add_u32_e32 v2, 0x1110, v19
	ds_read2_b64 v[2:5], v2 offset1:255
	v_add_u32_e32 v7, 0x800, v19
	ds_read2_b64 v[7:10], v7 offset0:33 offset1:65
	ds_read2_b64 v[11:14], v19 offset1:32
	v_add_u32_e32 v15, 0x2110, v19
	ds_read2_b64 v[15:18], v15 offset1:255
	s_waitcnt lgkmcnt(2)
	v_mul_f32_e64 v20, v10, -v5
	v_fmac_f32_e32 v20, v4, v9
	v_mul_f32_e32 v4, v10, v4
	v_fmac_f32_e32 v4, v5, v9
	s_waitcnt lgkmcnt(1)
	v_sub_f32_e32 v5, v13, v20
	v_sub_f32_e32 v13, v14, v4
	s_waitcnt lgkmcnt(0)
	v_mul_f32_e64 v4, v12, -v18
	v_mul_f32_e32 v14, v12, v17
	v_fmac_f32_e32 v4, v17, v11
	v_fmac_f32_e32 v14, v18, v11
	v_sub_f32_e32 v4, v5, v4
	v_sub_f32_e32 v5, v13, v14
	ds_write_b64 v19, v[4:5] offset:256
	v_mul_f32_e64 v4, v10, -v3
	v_fmac_f32_e32 v4, v2, v9
	v_mul_f32_e32 v2, v10, v2
	v_fmac_f32_e32 v2, v3, v9
	v_sub_f32_e32 v3, v7, v4
	v_sub_f32_e32 v4, v8, v2
	v_mul_f32_e64 v2, v12, -v16
	v_mul_f32_e32 v5, v12, v15
	v_fmac_f32_e32 v2, v15, v11
	v_fmac_f32_e32 v5, v16, v11
	v_sub_f32_e32 v2, v3, v2
	v_sub_f32_e32 v3, v4, v5
	ds_write_b64 v19, v[2:3] offset:2312
.LBB204_22:
	s_or_b64 exec, exec, s[4:5]
	v_cmp_gt_u32_e64 s[0:1], 8, v0
	s_waitcnt lgkmcnt(0)
	s_barrier
	s_and_saveexec_b64 s[4:5], s[0:1]
	s_cbranch_execz .LBB204_24
; %bb.23:
	v_lshlrev_b32_e32 v19, 8, v0
	v_add_u32_e32 v2, 0x1090, v19
	ds_read2_b64 v[2:5], v2 offset1:255
	v_add_u32_e32 v7, 0x800, v19
	ds_read2_b64 v[7:10], v7 offset0:17 offset1:33
	ds_read2_b64 v[11:14], v19 offset1:16
	v_add_u32_e32 v15, 0x2090, v19
	ds_read2_b64 v[15:18], v15 offset1:255
	s_waitcnt lgkmcnt(2)
	v_mul_f32_e64 v20, v10, -v5
	v_fmac_f32_e32 v20, v4, v9
	v_mul_f32_e32 v4, v10, v4
	v_fmac_f32_e32 v4, v5, v9
	s_waitcnt lgkmcnt(1)
	v_sub_f32_e32 v5, v13, v20
	v_sub_f32_e32 v13, v14, v4
	s_waitcnt lgkmcnt(0)
	v_mul_f32_e64 v4, v12, -v18
	v_mul_f32_e32 v14, v12, v17
	v_fmac_f32_e32 v4, v17, v11
	v_fmac_f32_e32 v14, v18, v11
	v_sub_f32_e32 v4, v5, v4
	v_sub_f32_e32 v5, v13, v14
	ds_write_b64 v19, v[4:5] offset:128
	v_mul_f32_e64 v4, v10, -v3
	v_fmac_f32_e32 v4, v2, v9
	v_mul_f32_e32 v2, v10, v2
	v_fmac_f32_e32 v2, v3, v9
	v_sub_f32_e32 v3, v7, v4
	v_sub_f32_e32 v4, v8, v2
	v_mul_f32_e64 v2, v12, -v16
	v_mul_f32_e32 v5, v12, v15
	v_fmac_f32_e32 v2, v15, v11
	v_fmac_f32_e32 v5, v16, v11
	v_sub_f32_e32 v2, v3, v2
	v_sub_f32_e32 v3, v4, v5
	ds_write_b64 v19, v[2:3] offset:2184
.LBB204_24:
	;; [unrolled: 45-line block ×5, first 2 shown]
	s_or_b64 exec, exec, s[4:5]
	s_movk_i32 s0, 0x80
	v_cmp_gt_u32_e64 s[0:1], s0, v0
	s_waitcnt lgkmcnt(0)
	s_barrier
	s_and_saveexec_b64 s[4:5], s[0:1]
	s_cbranch_execz .LBB204_32
; %bb.31:
	v_lshlrev_b32_e32 v0, 4, v0
	v_add_u32_e32 v2, 0x1018, v0
	ds_read2_b64 v[2:5], v2 offset1:255
	v_add_u32_e32 v7, 0x800, v0
	ds_read2_b64 v[7:10], v7 offset0:2 offset1:3
	ds_read2_b64 v[11:14], v0 offset1:1
	v_add_u32_e32 v15, 0x2018, v0
	ds_read2_b64 v[15:18], v15 offset1:255
	s_waitcnt lgkmcnt(2)
	v_mul_f32_e64 v19, v10, -v5
	v_fmac_f32_e32 v19, v4, v9
	v_mul_f32_e32 v4, v10, v4
	v_fmac_f32_e32 v4, v5, v9
	s_waitcnt lgkmcnt(1)
	v_sub_f32_e32 v5, v13, v19
	v_sub_f32_e32 v13, v14, v4
	s_waitcnt lgkmcnt(0)
	v_mul_f32_e64 v4, v12, -v18
	v_mul_f32_e32 v14, v12, v17
	v_fmac_f32_e32 v4, v17, v11
	v_fmac_f32_e32 v14, v18, v11
	v_sub_f32_e32 v4, v5, v4
	v_sub_f32_e32 v5, v13, v14
	ds_write_b64 v0, v[4:5] offset:8
	v_mul_f32_e64 v4, v10, -v3
	v_fmac_f32_e32 v4, v2, v9
	v_mul_f32_e32 v2, v10, v2
	v_fmac_f32_e32 v2, v3, v9
	v_sub_f32_e32 v3, v7, v4
	v_sub_f32_e32 v4, v8, v2
	v_mul_f32_e64 v2, v12, -v16
	v_mul_f32_e32 v5, v12, v15
	v_fmac_f32_e32 v2, v15, v11
	v_fmac_f32_e32 v5, v16, v11
	v_sub_f32_e32 v2, v3, v2
	v_sub_f32_e32 v3, v4, v5
	ds_write_b64 v0, v[2:3] offset:2064
.LBB204_32:
	s_or_b64 exec, exec, s[4:5]
	s_waitcnt lgkmcnt(0)
	s_barrier
	s_and_saveexec_b64 s[0:1], vcc
	s_cbranch_execz .LBB204_34
; %bb.33:
	v_ashrrev_i32_e32 v2, 31, v1
	v_add_u32_e32 v0, 8, v6
	v_lshlrev_b64 v[7:8], 3, v[1:2]
	ds_read2st64_b64 v[2:5], v0 offset1:4
	v_mov_b32_e32 v9, s3
	v_add_co_u32_e32 v6, vcc, s2, v7
	v_addc_co_u32_e32 v7, vcc, v9, v8, vcc
	s_waitcnt lgkmcnt(0)
	v_mad_u64_u32 v[0:1], s[0:1], s14, 3, v[1:2]
	v_mov_b32_e32 v1, 0
	global_store_dwordx2 v[6:7], v[4:5], off
	v_lshlrev_b64 v[0:1], 3, v[0:1]
	v_mov_b32_e32 v4, s3
	v_add_co_u32_e32 v0, vcc, s2, v0
	v_addc_co_u32_e32 v1, vcc, v4, v1, vcc
	global_store_dwordx2 v[0:1], v[2:3], off
.LBB204_34:
	s_endpgm
	.section	.rodata,"a",@progbits
	.p2align	6, 0x0
	.amdhsa_kernel _ZN9rocsparseL33gtsv_solve_spike_propagate_kernelILj256ELj4E21rocsparse_complex_numIfEEEviiiPT1_PKS3_S6_S6_
		.amdhsa_group_segment_fixed_size 12304
		.amdhsa_private_segment_fixed_size 0
		.amdhsa_kernarg_size 304
		.amdhsa_user_sgpr_count 6
		.amdhsa_user_sgpr_private_segment_buffer 1
		.amdhsa_user_sgpr_dispatch_ptr 0
		.amdhsa_user_sgpr_queue_ptr 0
		.amdhsa_user_sgpr_kernarg_segment_ptr 1
		.amdhsa_user_sgpr_dispatch_id 0
		.amdhsa_user_sgpr_flat_scratch_init 0
		.amdhsa_user_sgpr_private_segment_size 0
		.amdhsa_uses_dynamic_stack 0
		.amdhsa_system_sgpr_private_segment_wavefront_offset 0
		.amdhsa_system_sgpr_workgroup_id_x 1
		.amdhsa_system_sgpr_workgroup_id_y 1
		.amdhsa_system_sgpr_workgroup_id_z 0
		.amdhsa_system_sgpr_workgroup_info 0
		.amdhsa_system_vgpr_workitem_id 0
		.amdhsa_next_free_vgpr 41
		.amdhsa_next_free_sgpr 98
		.amdhsa_reserve_vcc 1
		.amdhsa_reserve_flat_scratch 0
		.amdhsa_float_round_mode_32 0
		.amdhsa_float_round_mode_16_64 0
		.amdhsa_float_denorm_mode_32 3
		.amdhsa_float_denorm_mode_16_64 3
		.amdhsa_dx10_clamp 1
		.amdhsa_ieee_mode 1
		.amdhsa_fp16_overflow 0
		.amdhsa_exception_fp_ieee_invalid_op 0
		.amdhsa_exception_fp_denorm_src 0
		.amdhsa_exception_fp_ieee_div_zero 0
		.amdhsa_exception_fp_ieee_overflow 0
		.amdhsa_exception_fp_ieee_underflow 0
		.amdhsa_exception_fp_ieee_inexact 0
		.amdhsa_exception_int_div_zero 0
	.end_amdhsa_kernel
	.section	.text._ZN9rocsparseL33gtsv_solve_spike_propagate_kernelILj256ELj4E21rocsparse_complex_numIfEEEviiiPT1_PKS3_S6_S6_,"axG",@progbits,_ZN9rocsparseL33gtsv_solve_spike_propagate_kernelILj256ELj4E21rocsparse_complex_numIfEEEviiiPT1_PKS3_S6_S6_,comdat
.Lfunc_end204:
	.size	_ZN9rocsparseL33gtsv_solve_spike_propagate_kernelILj256ELj4E21rocsparse_complex_numIfEEEviiiPT1_PKS3_S6_S6_, .Lfunc_end204-_ZN9rocsparseL33gtsv_solve_spike_propagate_kernelILj256ELj4E21rocsparse_complex_numIfEEEviiiPT1_PKS3_S6_S6_
                                        ; -- End function
	.set _ZN9rocsparseL33gtsv_solve_spike_propagate_kernelILj256ELj4E21rocsparse_complex_numIfEEEviiiPT1_PKS3_S6_S6_.num_vgpr, 21
	.set _ZN9rocsparseL33gtsv_solve_spike_propagate_kernelILj256ELj4E21rocsparse_complex_numIfEEEviiiPT1_PKS3_S6_S6_.num_agpr, 0
	.set _ZN9rocsparseL33gtsv_solve_spike_propagate_kernelILj256ELj4E21rocsparse_complex_numIfEEEviiiPT1_PKS3_S6_S6_.numbered_sgpr, 18
	.set _ZN9rocsparseL33gtsv_solve_spike_propagate_kernelILj256ELj4E21rocsparse_complex_numIfEEEviiiPT1_PKS3_S6_S6_.num_named_barrier, 0
	.set _ZN9rocsparseL33gtsv_solve_spike_propagate_kernelILj256ELj4E21rocsparse_complex_numIfEEEviiiPT1_PKS3_S6_S6_.private_seg_size, 0
	.set _ZN9rocsparseL33gtsv_solve_spike_propagate_kernelILj256ELj4E21rocsparse_complex_numIfEEEviiiPT1_PKS3_S6_S6_.uses_vcc, 1
	.set _ZN9rocsparseL33gtsv_solve_spike_propagate_kernelILj256ELj4E21rocsparse_complex_numIfEEEviiiPT1_PKS3_S6_S6_.uses_flat_scratch, 0
	.set _ZN9rocsparseL33gtsv_solve_spike_propagate_kernelILj256ELj4E21rocsparse_complex_numIfEEEviiiPT1_PKS3_S6_S6_.has_dyn_sized_stack, 0
	.set _ZN9rocsparseL33gtsv_solve_spike_propagate_kernelILj256ELj4E21rocsparse_complex_numIfEEEviiiPT1_PKS3_S6_S6_.has_recursion, 0
	.set _ZN9rocsparseL33gtsv_solve_spike_propagate_kernelILj256ELj4E21rocsparse_complex_numIfEEEviiiPT1_PKS3_S6_S6_.has_indirect_call, 0
	.section	.AMDGPU.csdata,"",@progbits
; Kernel info:
; codeLenInByte = 2740
; TotalNumSgprs: 22
; NumVgprs: 21
; ScratchSize: 0
; MemoryBound: 0
; FloatMode: 240
; IeeeMode: 1
; LDSByteSize: 12304 bytes/workgroup (compile time only)
; SGPRBlocks: 12
; VGPRBlocks: 10
; NumSGPRsForWavesPerEU: 102
; NumVGPRsForWavesPerEU: 41
; Occupancy: 5
; WaveLimiterHint : 0
; COMPUTE_PGM_RSRC2:SCRATCH_EN: 0
; COMPUTE_PGM_RSRC2:USER_SGPR: 6
; COMPUTE_PGM_RSRC2:TRAP_HANDLER: 0
; COMPUTE_PGM_RSRC2:TGID_X_EN: 1
; COMPUTE_PGM_RSRC2:TGID_Y_EN: 1
; COMPUTE_PGM_RSRC2:TGID_Z_EN: 0
; COMPUTE_PGM_RSRC2:TIDIG_COMP_CNT: 0
	.section	.text._ZN9rocsparseL39gtsv_spike_backward_substitution_kernelILj256ELj4E21rocsparse_complex_numIfEEEviiiPT1_PKS3_S6_,"axG",@progbits,_ZN9rocsparseL39gtsv_spike_backward_substitution_kernelILj256ELj4E21rocsparse_complex_numIfEEEviiiPT1_PKS3_S6_,comdat
	.globl	_ZN9rocsparseL39gtsv_spike_backward_substitution_kernelILj256ELj4E21rocsparse_complex_numIfEEEviiiPT1_PKS3_S6_ ; -- Begin function _ZN9rocsparseL39gtsv_spike_backward_substitution_kernelILj256ELj4E21rocsparse_complex_numIfEEEviiiPT1_PKS3_S6_
	.p2align	8
	.type	_ZN9rocsparseL39gtsv_spike_backward_substitution_kernelILj256ELj4E21rocsparse_complex_numIfEEEviiiPT1_PKS3_S6_,@function
_ZN9rocsparseL39gtsv_spike_backward_substitution_kernelILj256ELj4E21rocsparse_complex_numIfEEEviiiPT1_PKS3_S6_: ; @_ZN9rocsparseL39gtsv_spike_backward_substitution_kernelILj256ELj4E21rocsparse_complex_numIfEEEviiiPT1_PKS3_S6_
; %bb.0:
	s_load_dword s11, s[4:5], 0x0
	v_lshl_or_b32 v5, s6, 8, v0
	s_waitcnt lgkmcnt(0)
	s_lshr_b32 s6, s11, 2
	v_cmp_gt_i32_e32 vcc, s6, v5
	s_and_saveexec_b64 s[0:1], vcc
	s_cbranch_execz .LBB205_6
; %bb.1:
	s_load_dwordx2 s[8:9], s[4:5], 0x10
	v_cmp_lt_i32_e32 vcc, 0, v5
	v_mov_b32_e32 v0, 0
	s_mul_i32 s10, s11, s7
	v_mov_b32_e32 v1, 0
	s_and_saveexec_b64 s[0:1], vcc
	s_cbranch_execz .LBB205_3
; %bb.2:
	s_mul_i32 s2, s6, 3
	s_mul_i32 s3, s11, s7
	s_add_i32 s2, s2, s3
	v_add3_u32 v0, v5, s2, -1
	v_mov_b32_e32 v1, 0
	v_lshlrev_b64 v[0:1], 3, v[0:1]
	s_waitcnt lgkmcnt(0)
	v_mov_b32_e32 v2, s9
	v_add_co_u32_e32 v0, vcc, s8, v0
	v_addc_co_u32_e32 v1, vcc, v2, v1, vcc
	global_load_dwordx2 v[0:1], v[0:1], off
.LBB205_3:
	s_or_b64 exec, exec, s[0:1]
	s_load_dwordx4 s[0:3], s[4:5], 0x18
	v_add_u32_e32 v2, 4, v5
	v_cmp_le_u32_e32 vcc, s11, v2
	s_and_saveexec_b64 s[4:5], vcc
	s_xor_b64 s[4:5], exec, s[4:5]
	s_or_saveexec_b64 s[4:5], s[4:5]
	v_mov_b32_e32 v2, 0
	v_mov_b32_e32 v4, s10
	;; [unrolled: 1-line block ×3, first 2 shown]
	s_xor_b64 exec, exec, s[4:5]
	s_cbranch_execz .LBB205_5
; %bb.4:
	s_ashr_i32 s7, s10, 31
	v_ashrrev_i32_e32 v3, 31, v5
	v_mov_b32_e32 v4, s7
	v_add_co_u32_e32 v2, vcc, s10, v5
	v_addc_co_u32_e32 v3, vcc, v3, v4, vcc
	v_lshlrev_b64 v[2:3], 3, v[2:3]
	s_waitcnt lgkmcnt(0)
	v_mov_b32_e32 v4, s9
	v_add_co_u32_e32 v2, vcc, s8, v2
	v_addc_co_u32_e32 v3, vcc, v4, v3, vcc
	global_load_dwordx2 v[2:3], v[2:3], off offset:8
	v_mov_b32_e32 v4, s10
.LBB205_5:
	s_or_b64 exec, exec, s[4:5]
	v_add_u32_e32 v5, s6, v5
	v_add_u32_e32 v6, v5, v4
	v_ashrrev_i32_e32 v7, 31, v6
	v_lshlrev_b64 v[7:8], 3, v[6:7]
	v_ashrrev_i32_e32 v6, 31, v5
	v_lshlrev_b64 v[9:10], 3, v[5:6]
	s_waitcnt lgkmcnt(0)
	v_mov_b32_e32 v6, s1
	v_add_co_u32_e32 v11, vcc, s0, v9
	v_addc_co_u32_e32 v12, vcc, v6, v10, vcc
	v_mov_b32_e32 v13, s9
	global_load_dwordx2 v[11:12], v[11:12], off
	v_add_co_u32_e32 v6, vcc, s8, v7
	v_addc_co_u32_e32 v7, vcc, v13, v8, vcc
	global_load_dwordx2 v[13:14], v[6:7], off
	v_mov_b32_e32 v15, s3
	v_add_co_u32_e32 v8, vcc, s2, v9
	v_addc_co_u32_e32 v9, vcc, v15, v10, vcc
	global_load_dwordx2 v[8:9], v[8:9], off
	v_mov_b32_e32 v17, s3
	v_mov_b32_e32 v16, s9
	s_waitcnt vmcnt(2)
	v_mul_f32_e64 v10, v1, -v12
	v_mul_f32_e32 v15, v1, v11
	v_fmac_f32_e32 v10, v11, v0
	v_fmac_f32_e32 v15, v12, v0
	v_add_u32_e32 v12, s6, v5
	s_waitcnt vmcnt(1)
	v_sub_f32_e32 v10, v13, v10
	v_sub_f32_e32 v11, v14, v15
	global_store_dwordx2 v[6:7], v[10:11], off
	global_load_dwordx2 v[10:11], v[6:7], off
	v_ashrrev_i32_e32 v13, 31, v12
	v_add_u32_e32 v4, v12, v4
	v_lshlrev_b64 v[12:13], 3, v[12:13]
	v_mov_b32_e32 v15, s1
	v_add_co_u32_e32 v14, vcc, s0, v12
	v_ashrrev_i32_e32 v5, 31, v4
	v_addc_co_u32_e32 v15, vcc, v15, v13, vcc
	v_lshlrev_b64 v[4:5], 3, v[4:5]
	v_add_co_u32_e32 v12, vcc, s2, v12
	v_addc_co_u32_e32 v13, vcc, v17, v13, vcc
	v_add_co_u32_e32 v4, vcc, s8, v4
	v_addc_co_u32_e32 v5, vcc, v16, v5, vcc
	global_load_dwordx2 v[16:17], v[14:15], off
	global_load_dwordx2 v[18:19], v[12:13], off
	s_waitcnt vmcnt(4)
	v_mul_f32_e64 v12, v3, -v9
	v_mul_f32_e32 v13, v3, v8
	v_fmac_f32_e32 v12, v8, v2
	v_fmac_f32_e32 v13, v9, v2
	s_waitcnt vmcnt(2)
	v_sub_f32_e32 v8, v10, v12
	v_sub_f32_e32 v9, v11, v13
	global_store_dwordx2 v[6:7], v[8:9], off
	global_load_dwordx2 v[6:7], v[4:5], off
	s_waitcnt vmcnt(3)
	v_mul_f32_e64 v8, v1, -v17
	v_mul_f32_e32 v1, v1, v16
	s_waitcnt vmcnt(2)
	v_mul_f32_e64 v9, v3, -v19
	v_mul_f32_e32 v3, v3, v18
	v_fmac_f32_e32 v8, v16, v0
	v_fmac_f32_e32 v1, v17, v0
	v_fmac_f32_e32 v9, v18, v2
	v_fmac_f32_e32 v3, v19, v2
	s_waitcnt vmcnt(0)
	v_sub_f32_e32 v0, v6, v8
	v_sub_f32_e32 v1, v7, v1
	;; [unrolled: 1-line block ×4, first 2 shown]
	global_store_dwordx2 v[4:5], v[0:1], off
.LBB205_6:
	s_endpgm
	.section	.rodata,"a",@progbits
	.p2align	6, 0x0
	.amdhsa_kernel _ZN9rocsparseL39gtsv_spike_backward_substitution_kernelILj256ELj4E21rocsparse_complex_numIfEEEviiiPT1_PKS3_S6_
		.amdhsa_group_segment_fixed_size 0
		.amdhsa_private_segment_fixed_size 0
		.amdhsa_kernarg_size 40
		.amdhsa_user_sgpr_count 6
		.amdhsa_user_sgpr_private_segment_buffer 1
		.amdhsa_user_sgpr_dispatch_ptr 0
		.amdhsa_user_sgpr_queue_ptr 0
		.amdhsa_user_sgpr_kernarg_segment_ptr 1
		.amdhsa_user_sgpr_dispatch_id 0
		.amdhsa_user_sgpr_flat_scratch_init 0
		.amdhsa_user_sgpr_private_segment_size 0
		.amdhsa_uses_dynamic_stack 0
		.amdhsa_system_sgpr_private_segment_wavefront_offset 0
		.amdhsa_system_sgpr_workgroup_id_x 1
		.amdhsa_system_sgpr_workgroup_id_y 1
		.amdhsa_system_sgpr_workgroup_id_z 0
		.amdhsa_system_sgpr_workgroup_info 0
		.amdhsa_system_vgpr_workitem_id 0
		.amdhsa_next_free_vgpr 20
		.amdhsa_next_free_sgpr 12
		.amdhsa_reserve_vcc 1
		.amdhsa_reserve_flat_scratch 0
		.amdhsa_float_round_mode_32 0
		.amdhsa_float_round_mode_16_64 0
		.amdhsa_float_denorm_mode_32 3
		.amdhsa_float_denorm_mode_16_64 3
		.amdhsa_dx10_clamp 1
		.amdhsa_ieee_mode 1
		.amdhsa_fp16_overflow 0
		.amdhsa_exception_fp_ieee_invalid_op 0
		.amdhsa_exception_fp_denorm_src 0
		.amdhsa_exception_fp_ieee_div_zero 0
		.amdhsa_exception_fp_ieee_overflow 0
		.amdhsa_exception_fp_ieee_underflow 0
		.amdhsa_exception_fp_ieee_inexact 0
		.amdhsa_exception_int_div_zero 0
	.end_amdhsa_kernel
	.section	.text._ZN9rocsparseL39gtsv_spike_backward_substitution_kernelILj256ELj4E21rocsparse_complex_numIfEEEviiiPT1_PKS3_S6_,"axG",@progbits,_ZN9rocsparseL39gtsv_spike_backward_substitution_kernelILj256ELj4E21rocsparse_complex_numIfEEEviiiPT1_PKS3_S6_,comdat
.Lfunc_end205:
	.size	_ZN9rocsparseL39gtsv_spike_backward_substitution_kernelILj256ELj4E21rocsparse_complex_numIfEEEviiiPT1_PKS3_S6_, .Lfunc_end205-_ZN9rocsparseL39gtsv_spike_backward_substitution_kernelILj256ELj4E21rocsparse_complex_numIfEEEviiiPT1_PKS3_S6_
                                        ; -- End function
	.set _ZN9rocsparseL39gtsv_spike_backward_substitution_kernelILj256ELj4E21rocsparse_complex_numIfEEEviiiPT1_PKS3_S6_.num_vgpr, 20
	.set _ZN9rocsparseL39gtsv_spike_backward_substitution_kernelILj256ELj4E21rocsparse_complex_numIfEEEviiiPT1_PKS3_S6_.num_agpr, 0
	.set _ZN9rocsparseL39gtsv_spike_backward_substitution_kernelILj256ELj4E21rocsparse_complex_numIfEEEviiiPT1_PKS3_S6_.numbered_sgpr, 12
	.set _ZN9rocsparseL39gtsv_spike_backward_substitution_kernelILj256ELj4E21rocsparse_complex_numIfEEEviiiPT1_PKS3_S6_.num_named_barrier, 0
	.set _ZN9rocsparseL39gtsv_spike_backward_substitution_kernelILj256ELj4E21rocsparse_complex_numIfEEEviiiPT1_PKS3_S6_.private_seg_size, 0
	.set _ZN9rocsparseL39gtsv_spike_backward_substitution_kernelILj256ELj4E21rocsparse_complex_numIfEEEviiiPT1_PKS3_S6_.uses_vcc, 1
	.set _ZN9rocsparseL39gtsv_spike_backward_substitution_kernelILj256ELj4E21rocsparse_complex_numIfEEEviiiPT1_PKS3_S6_.uses_flat_scratch, 0
	.set _ZN9rocsparseL39gtsv_spike_backward_substitution_kernelILj256ELj4E21rocsparse_complex_numIfEEEviiiPT1_PKS3_S6_.has_dyn_sized_stack, 0
	.set _ZN9rocsparseL39gtsv_spike_backward_substitution_kernelILj256ELj4E21rocsparse_complex_numIfEEEviiiPT1_PKS3_S6_.has_recursion, 0
	.set _ZN9rocsparseL39gtsv_spike_backward_substitution_kernelILj256ELj4E21rocsparse_complex_numIfEEEviiiPT1_PKS3_S6_.has_indirect_call, 0
	.section	.AMDGPU.csdata,"",@progbits
; Kernel info:
; codeLenInByte = 600
; TotalNumSgprs: 16
; NumVgprs: 20
; ScratchSize: 0
; MemoryBound: 0
; FloatMode: 240
; IeeeMode: 1
; LDSByteSize: 0 bytes/workgroup (compile time only)
; SGPRBlocks: 1
; VGPRBlocks: 4
; NumSGPRsForWavesPerEU: 16
; NumVGPRsForWavesPerEU: 20
; Occupancy: 10
; WaveLimiterHint : 0
; COMPUTE_PGM_RSRC2:SCRATCH_EN: 0
; COMPUTE_PGM_RSRC2:USER_SGPR: 6
; COMPUTE_PGM_RSRC2:TRAP_HANDLER: 0
; COMPUTE_PGM_RSRC2:TGID_X_EN: 1
; COMPUTE_PGM_RSRC2:TGID_Y_EN: 1
; COMPUTE_PGM_RSRC2:TGID_Z_EN: 0
; COMPUTE_PGM_RSRC2:TIDIG_COMP_CNT: 0
	.section	.text._ZN9rocsparseL32gtsv_transpose_back_array_kernelILj256ELj4E21rocsparse_complex_numIfEEEviiiPKT1_PS3_,"axG",@progbits,_ZN9rocsparseL32gtsv_transpose_back_array_kernelILj256ELj4E21rocsparse_complex_numIfEEEviiiPKT1_PS3_,comdat
	.globl	_ZN9rocsparseL32gtsv_transpose_back_array_kernelILj256ELj4E21rocsparse_complex_numIfEEEviiiPKT1_PS3_ ; -- Begin function _ZN9rocsparseL32gtsv_transpose_back_array_kernelILj256ELj4E21rocsparse_complex_numIfEEEviiiPKT1_PS3_
	.p2align	8
	.type	_ZN9rocsparseL32gtsv_transpose_back_array_kernelILj256ELj4E21rocsparse_complex_numIfEEEviiiPKT1_PS3_,@function
_ZN9rocsparseL32gtsv_transpose_back_array_kernelILj256ELj4E21rocsparse_complex_numIfEEEviiiPKT1_PS3_: ; @_ZN9rocsparseL32gtsv_transpose_back_array_kernelILj256ELj4E21rocsparse_complex_numIfEEEviiiPKT1_PS3_
; %bb.0:
	s_load_dwordx4 s[0:3], s[4:5], 0x0
	s_waitcnt lgkmcnt(0)
	v_cvt_f32_u32_e32 v1, s1
	s_sub_i32 s3, 0, s1
	v_rcp_iflag_f32_e32 v1, v1
	v_mul_f32_e32 v1, 0x4f7ffffe, v1
	v_cvt_u32_f32_e32 v2, v1
	v_mul_lo_u32 v1, s3, v2
	v_mul_hi_u32 v3, v2, v1
	v_lshl_or_b32 v1, s6, 8, v0
	v_lshlrev_b32_e32 v0, 2, v1
	v_add_u32_e32 v2, v2, v3
	v_mul_hi_u32 v2, v0, v2
	v_mul_lo_u32 v3, v2, s1
	v_add_u32_e32 v4, 1, v2
	v_sub_u32_e32 v3, v0, v3
	v_cmp_le_u32_e32 vcc, s1, v3
	v_cndmask_b32_e32 v2, v2, v4, vcc
	v_subrev_u32_e32 v4, s1, v3
	v_cndmask_b32_e32 v3, v3, v4, vcc
	v_add_u32_e32 v4, 1, v2
	v_cmp_le_u32_e32 vcc, s1, v3
	v_cndmask_b32_e32 v2, v2, v4, vcc
	v_mul_lo_u32 v3, v2, s1
	v_sub_u32_e32 v0, v0, v3
	v_add_u32_e32 v0, v2, v0
	v_cmp_gt_i32_e32 vcc, s0, v0
	s_and_saveexec_b64 s[8:9], vcc
	s_cbranch_execz .LBB206_2
; %bb.1:
	s_load_dwordx4 s[8:11], s[4:5], 0x10
	s_mul_i32 s0, s1, s7
	v_add_u32_e32 v1, s0, v1
	v_ashrrev_i32_e32 v2, 31, v1
	v_lshlrev_b64 v[1:2], 3, v[1:2]
	s_waitcnt lgkmcnt(0)
	v_mov_b32_e32 v3, s9
	v_add_co_u32_e32 v1, vcc, s8, v1
	v_addc_co_u32_e32 v2, vcc, v3, v2, vcc
	global_load_dwordx2 v[1:2], v[1:2], off
	s_mul_i32 s0, s2, s7
	v_add_u32_e32 v3, s0, v0
	v_ashrrev_i32_e32 v4, 31, v3
	v_lshlrev_b64 v[3:4], 3, v[3:4]
	v_mov_b32_e32 v0, s11
	v_add_co_u32_e32 v3, vcc, s10, v3
	v_addc_co_u32_e32 v4, vcc, v0, v4, vcc
	s_waitcnt vmcnt(0)
	global_store_dwordx2 v[3:4], v[1:2], off
.LBB206_2:
	s_endpgm
	.section	.rodata,"a",@progbits
	.p2align	6, 0x0
	.amdhsa_kernel _ZN9rocsparseL32gtsv_transpose_back_array_kernelILj256ELj4E21rocsparse_complex_numIfEEEviiiPKT1_PS3_
		.amdhsa_group_segment_fixed_size 0
		.amdhsa_private_segment_fixed_size 0
		.amdhsa_kernarg_size 32
		.amdhsa_user_sgpr_count 6
		.amdhsa_user_sgpr_private_segment_buffer 1
		.amdhsa_user_sgpr_dispatch_ptr 0
		.amdhsa_user_sgpr_queue_ptr 0
		.amdhsa_user_sgpr_kernarg_segment_ptr 1
		.amdhsa_user_sgpr_dispatch_id 0
		.amdhsa_user_sgpr_flat_scratch_init 0
		.amdhsa_user_sgpr_private_segment_size 0
		.amdhsa_uses_dynamic_stack 0
		.amdhsa_system_sgpr_private_segment_wavefront_offset 0
		.amdhsa_system_sgpr_workgroup_id_x 1
		.amdhsa_system_sgpr_workgroup_id_y 1
		.amdhsa_system_sgpr_workgroup_id_z 0
		.amdhsa_system_sgpr_workgroup_info 0
		.amdhsa_system_vgpr_workitem_id 0
		.amdhsa_next_free_vgpr 5
		.amdhsa_next_free_sgpr 12
		.amdhsa_reserve_vcc 1
		.amdhsa_reserve_flat_scratch 0
		.amdhsa_float_round_mode_32 0
		.amdhsa_float_round_mode_16_64 0
		.amdhsa_float_denorm_mode_32 3
		.amdhsa_float_denorm_mode_16_64 3
		.amdhsa_dx10_clamp 1
		.amdhsa_ieee_mode 1
		.amdhsa_fp16_overflow 0
		.amdhsa_exception_fp_ieee_invalid_op 0
		.amdhsa_exception_fp_denorm_src 0
		.amdhsa_exception_fp_ieee_div_zero 0
		.amdhsa_exception_fp_ieee_overflow 0
		.amdhsa_exception_fp_ieee_underflow 0
		.amdhsa_exception_fp_ieee_inexact 0
		.amdhsa_exception_int_div_zero 0
	.end_amdhsa_kernel
	.section	.text._ZN9rocsparseL32gtsv_transpose_back_array_kernelILj256ELj4E21rocsparse_complex_numIfEEEviiiPKT1_PS3_,"axG",@progbits,_ZN9rocsparseL32gtsv_transpose_back_array_kernelILj256ELj4E21rocsparse_complex_numIfEEEviiiPKT1_PS3_,comdat
.Lfunc_end206:
	.size	_ZN9rocsparseL32gtsv_transpose_back_array_kernelILj256ELj4E21rocsparse_complex_numIfEEEviiiPKT1_PS3_, .Lfunc_end206-_ZN9rocsparseL32gtsv_transpose_back_array_kernelILj256ELj4E21rocsparse_complex_numIfEEEviiiPKT1_PS3_
                                        ; -- End function
	.set _ZN9rocsparseL32gtsv_transpose_back_array_kernelILj256ELj4E21rocsparse_complex_numIfEEEviiiPKT1_PS3_.num_vgpr, 5
	.set _ZN9rocsparseL32gtsv_transpose_back_array_kernelILj256ELj4E21rocsparse_complex_numIfEEEviiiPKT1_PS3_.num_agpr, 0
	.set _ZN9rocsparseL32gtsv_transpose_back_array_kernelILj256ELj4E21rocsparse_complex_numIfEEEviiiPKT1_PS3_.numbered_sgpr, 12
	.set _ZN9rocsparseL32gtsv_transpose_back_array_kernelILj256ELj4E21rocsparse_complex_numIfEEEviiiPKT1_PS3_.num_named_barrier, 0
	.set _ZN9rocsparseL32gtsv_transpose_back_array_kernelILj256ELj4E21rocsparse_complex_numIfEEEviiiPKT1_PS3_.private_seg_size, 0
	.set _ZN9rocsparseL32gtsv_transpose_back_array_kernelILj256ELj4E21rocsparse_complex_numIfEEEviiiPKT1_PS3_.uses_vcc, 1
	.set _ZN9rocsparseL32gtsv_transpose_back_array_kernelILj256ELj4E21rocsparse_complex_numIfEEEviiiPKT1_PS3_.uses_flat_scratch, 0
	.set _ZN9rocsparseL32gtsv_transpose_back_array_kernelILj256ELj4E21rocsparse_complex_numIfEEEviiiPKT1_PS3_.has_dyn_sized_stack, 0
	.set _ZN9rocsparseL32gtsv_transpose_back_array_kernelILj256ELj4E21rocsparse_complex_numIfEEEviiiPKT1_PS3_.has_recursion, 0
	.set _ZN9rocsparseL32gtsv_transpose_back_array_kernelILj256ELj4E21rocsparse_complex_numIfEEEviiiPKT1_PS3_.has_indirect_call, 0
	.section	.AMDGPU.csdata,"",@progbits
; Kernel info:
; codeLenInByte = 248
; TotalNumSgprs: 16
; NumVgprs: 5
; ScratchSize: 0
; MemoryBound: 0
; FloatMode: 240
; IeeeMode: 1
; LDSByteSize: 0 bytes/workgroup (compile time only)
; SGPRBlocks: 1
; VGPRBlocks: 1
; NumSGPRsForWavesPerEU: 16
; NumVGPRsForWavesPerEU: 5
; Occupancy: 10
; WaveLimiterHint : 0
; COMPUTE_PGM_RSRC2:SCRATCH_EN: 0
; COMPUTE_PGM_RSRC2:USER_SGPR: 6
; COMPUTE_PGM_RSRC2:TRAP_HANDLER: 0
; COMPUTE_PGM_RSRC2:TGID_X_EN: 1
; COMPUTE_PGM_RSRC2:TGID_Y_EN: 1
; COMPUTE_PGM_RSRC2:TGID_Z_EN: 0
; COMPUTE_PGM_RSRC2:TIDIG_COMP_CNT: 0
	.section	.text._ZN9rocsparseL42gtsv_transpose_and_pad_array_shared_kernelILj256ELj8E21rocsparse_complex_numIfEEEviiiPKT1_PS3_S3_,"axG",@progbits,_ZN9rocsparseL42gtsv_transpose_and_pad_array_shared_kernelILj256ELj8E21rocsparse_complex_numIfEEEviiiPKT1_PS3_S3_,comdat
	.globl	_ZN9rocsparseL42gtsv_transpose_and_pad_array_shared_kernelILj256ELj8E21rocsparse_complex_numIfEEEviiiPKT1_PS3_S3_ ; -- Begin function _ZN9rocsparseL42gtsv_transpose_and_pad_array_shared_kernelILj256ELj8E21rocsparse_complex_numIfEEEviiiPKT1_PS3_S3_
	.p2align	8
	.type	_ZN9rocsparseL42gtsv_transpose_and_pad_array_shared_kernelILj256ELj8E21rocsparse_complex_numIfEEEviiiPKT1_PS3_S3_,@function
_ZN9rocsparseL42gtsv_transpose_and_pad_array_shared_kernelILj256ELj8E21rocsparse_complex_numIfEEEviiiPKT1_PS3_S3_: ; @_ZN9rocsparseL42gtsv_transpose_and_pad_array_shared_kernelILj256ELj8E21rocsparse_complex_numIfEEEviiiPKT1_PS3_S3_
; %bb.0:
	s_load_dwordx4 s[0:3], s[4:5], 0x0
	v_lshl_or_b32 v3, s6, 8, v0
                                        ; implicit-def: $sgpr10_sgpr11
	s_waitcnt lgkmcnt(0)
	v_cmp_le_i32_e32 vcc, s0, v3
	s_and_saveexec_b64 s[8:9], vcc
	s_xor_b64 s[8:9], exec, s[8:9]
; %bb.1:
	s_load_dwordx2 s[10:11], s[4:5], 0x20
                                        ; implicit-def: $vgpr3
; %bb.2:
	s_or_saveexec_b64 s[8:9], s[8:9]
	s_waitcnt lgkmcnt(0)
	v_mov_b32_e32 v1, s10
	v_mov_b32_e32 v2, s11
	s_xor_b64 exec, exec, s[8:9]
	s_cbranch_execz .LBB207_4
; %bb.3:
	s_load_dwordx2 s[10:11], s[4:5], 0x10
	s_mul_i32 s0, s2, s7
	v_add_u32_e32 v1, s0, v3
	v_ashrrev_i32_e32 v2, 31, v1
	v_lshlrev_b64 v[1:2], 3, v[1:2]
	s_waitcnt lgkmcnt(0)
	v_mov_b32_e32 v3, s11
	v_add_co_u32_e32 v1, vcc, s10, v1
	v_addc_co_u32_e32 v2, vcc, v3, v2, vcc
	global_load_dwordx2 v[1:2], v[1:2], off
.LBB207_4:
	s_or_b64 exec, exec, s[8:9]
	v_lshrrev_b32_e32 v3, 5, v0
	v_and_b32_e32 v4, 31, v0
	v_lshlrev_b32_e32 v0, 3, v0
	s_waitcnt vmcnt(0)
	ds_write_b64 v0, v[1:2]
	s_lshr_b32 s0, s1, 3
	v_lshl_or_b32 v0, s6, 5, v4
	v_mad_u64_u32 v[0:1], s[2:3], s0, v3, v[0:1]
	s_waitcnt lgkmcnt(0)
	s_barrier
	v_cmp_gt_i32_e32 vcc, s1, v0
	s_and_saveexec_b64 s[2:3], vcc
	s_cbranch_execz .LBB207_6
; %bb.5:
	s_load_dwordx2 s[2:3], s[4:5], 0x18
	v_lshlrev_b32_e32 v1, 3, v3
	s_mul_i32 s0, s1, s7
	v_lshl_or_b32 v2, v4, 6, v1
	v_add_u32_e32 v0, s0, v0
	v_ashrrev_i32_e32 v1, 31, v0
	ds_read_b64 v[2:3], v2
	v_lshlrev_b64 v[0:1], 3, v[0:1]
	s_waitcnt lgkmcnt(0)
	v_mov_b32_e32 v4, s3
	v_add_co_u32_e32 v0, vcc, s2, v0
	v_addc_co_u32_e32 v1, vcc, v4, v1, vcc
	global_store_dwordx2 v[0:1], v[2:3], off
.LBB207_6:
	s_endpgm
	.section	.rodata,"a",@progbits
	.p2align	6, 0x0
	.amdhsa_kernel _ZN9rocsparseL42gtsv_transpose_and_pad_array_shared_kernelILj256ELj8E21rocsparse_complex_numIfEEEviiiPKT1_PS3_S3_
		.amdhsa_group_segment_fixed_size 2048
		.amdhsa_private_segment_fixed_size 0
		.amdhsa_kernarg_size 40
		.amdhsa_user_sgpr_count 6
		.amdhsa_user_sgpr_private_segment_buffer 1
		.amdhsa_user_sgpr_dispatch_ptr 0
		.amdhsa_user_sgpr_queue_ptr 0
		.amdhsa_user_sgpr_kernarg_segment_ptr 1
		.amdhsa_user_sgpr_dispatch_id 0
		.amdhsa_user_sgpr_flat_scratch_init 0
		.amdhsa_user_sgpr_private_segment_size 0
		.amdhsa_uses_dynamic_stack 0
		.amdhsa_system_sgpr_private_segment_wavefront_offset 0
		.amdhsa_system_sgpr_workgroup_id_x 1
		.amdhsa_system_sgpr_workgroup_id_y 1
		.amdhsa_system_sgpr_workgroup_id_z 0
		.amdhsa_system_sgpr_workgroup_info 0
		.amdhsa_system_vgpr_workitem_id 0
		.amdhsa_next_free_vgpr 5
		.amdhsa_next_free_sgpr 12
		.amdhsa_reserve_vcc 1
		.amdhsa_reserve_flat_scratch 0
		.amdhsa_float_round_mode_32 0
		.amdhsa_float_round_mode_16_64 0
		.amdhsa_float_denorm_mode_32 3
		.amdhsa_float_denorm_mode_16_64 3
		.amdhsa_dx10_clamp 1
		.amdhsa_ieee_mode 1
		.amdhsa_fp16_overflow 0
		.amdhsa_exception_fp_ieee_invalid_op 0
		.amdhsa_exception_fp_denorm_src 0
		.amdhsa_exception_fp_ieee_div_zero 0
		.amdhsa_exception_fp_ieee_overflow 0
		.amdhsa_exception_fp_ieee_underflow 0
		.amdhsa_exception_fp_ieee_inexact 0
		.amdhsa_exception_int_div_zero 0
	.end_amdhsa_kernel
	.section	.text._ZN9rocsparseL42gtsv_transpose_and_pad_array_shared_kernelILj256ELj8E21rocsparse_complex_numIfEEEviiiPKT1_PS3_S3_,"axG",@progbits,_ZN9rocsparseL42gtsv_transpose_and_pad_array_shared_kernelILj256ELj8E21rocsparse_complex_numIfEEEviiiPKT1_PS3_S3_,comdat
.Lfunc_end207:
	.size	_ZN9rocsparseL42gtsv_transpose_and_pad_array_shared_kernelILj256ELj8E21rocsparse_complex_numIfEEEviiiPKT1_PS3_S3_, .Lfunc_end207-_ZN9rocsparseL42gtsv_transpose_and_pad_array_shared_kernelILj256ELj8E21rocsparse_complex_numIfEEEviiiPKT1_PS3_S3_
                                        ; -- End function
	.set _ZN9rocsparseL42gtsv_transpose_and_pad_array_shared_kernelILj256ELj8E21rocsparse_complex_numIfEEEviiiPKT1_PS3_S3_.num_vgpr, 5
	.set _ZN9rocsparseL42gtsv_transpose_and_pad_array_shared_kernelILj256ELj8E21rocsparse_complex_numIfEEEviiiPKT1_PS3_S3_.num_agpr, 0
	.set _ZN9rocsparseL42gtsv_transpose_and_pad_array_shared_kernelILj256ELj8E21rocsparse_complex_numIfEEEviiiPKT1_PS3_S3_.numbered_sgpr, 12
	.set _ZN9rocsparseL42gtsv_transpose_and_pad_array_shared_kernelILj256ELj8E21rocsparse_complex_numIfEEEviiiPKT1_PS3_S3_.num_named_barrier, 0
	.set _ZN9rocsparseL42gtsv_transpose_and_pad_array_shared_kernelILj256ELj8E21rocsparse_complex_numIfEEEviiiPKT1_PS3_S3_.private_seg_size, 0
	.set _ZN9rocsparseL42gtsv_transpose_and_pad_array_shared_kernelILj256ELj8E21rocsparse_complex_numIfEEEviiiPKT1_PS3_S3_.uses_vcc, 1
	.set _ZN9rocsparseL42gtsv_transpose_and_pad_array_shared_kernelILj256ELj8E21rocsparse_complex_numIfEEEviiiPKT1_PS3_S3_.uses_flat_scratch, 0
	.set _ZN9rocsparseL42gtsv_transpose_and_pad_array_shared_kernelILj256ELj8E21rocsparse_complex_numIfEEEviiiPKT1_PS3_S3_.has_dyn_sized_stack, 0
	.set _ZN9rocsparseL42gtsv_transpose_and_pad_array_shared_kernelILj256ELj8E21rocsparse_complex_numIfEEEviiiPKT1_PS3_S3_.has_recursion, 0
	.set _ZN9rocsparseL42gtsv_transpose_and_pad_array_shared_kernelILj256ELj8E21rocsparse_complex_numIfEEEviiiPKT1_PS3_S3_.has_indirect_call, 0
	.section	.AMDGPU.csdata,"",@progbits
; Kernel info:
; codeLenInByte = 260
; TotalNumSgprs: 16
; NumVgprs: 5
; ScratchSize: 0
; MemoryBound: 0
; FloatMode: 240
; IeeeMode: 1
; LDSByteSize: 2048 bytes/workgroup (compile time only)
; SGPRBlocks: 1
; VGPRBlocks: 1
; NumSGPRsForWavesPerEU: 16
; NumVGPRsForWavesPerEU: 5
; Occupancy: 10
; WaveLimiterHint : 0
; COMPUTE_PGM_RSRC2:SCRATCH_EN: 0
; COMPUTE_PGM_RSRC2:USER_SGPR: 6
; COMPUTE_PGM_RSRC2:TRAP_HANDLER: 0
; COMPUTE_PGM_RSRC2:TGID_X_EN: 1
; COMPUTE_PGM_RSRC2:TGID_Y_EN: 1
; COMPUTE_PGM_RSRC2:TGID_Z_EN: 0
; COMPUTE_PGM_RSRC2:TIDIG_COMP_CNT: 0
	.section	.text._ZN9rocsparseL18gtsv_LBM_wv_kernelILj256ELj8E21rocsparse_complex_numIfEEEviiiPKT1_S5_S5_PS3_S6_S6_Pi,"axG",@progbits,_ZN9rocsparseL18gtsv_LBM_wv_kernelILj256ELj8E21rocsparse_complex_numIfEEEviiiPKT1_S5_S5_PS3_S6_S6_Pi,comdat
	.globl	_ZN9rocsparseL18gtsv_LBM_wv_kernelILj256ELj8E21rocsparse_complex_numIfEEEviiiPKT1_S5_S5_PS3_S6_S6_Pi ; -- Begin function _ZN9rocsparseL18gtsv_LBM_wv_kernelILj256ELj8E21rocsparse_complex_numIfEEEviiiPKT1_S5_S5_PS3_S6_S6_Pi
	.p2align	8
	.type	_ZN9rocsparseL18gtsv_LBM_wv_kernelILj256ELj8E21rocsparse_complex_numIfEEEviiiPKT1_S5_S5_PS3_S6_S6_Pi,@function
_ZN9rocsparseL18gtsv_LBM_wv_kernelILj256ELj8E21rocsparse_complex_numIfEEEviiiPKT1_S5_S5_PS3_S6_S6_Pi: ; @_ZN9rocsparseL18gtsv_LBM_wv_kernelILj256ELj8E21rocsparse_complex_numIfEEEviiiPKT1_S5_S5_PS3_S6_S6_Pi
; %bb.0:
	s_load_dword s29, s[4:5], 0x0
	v_lshl_or_b32 v0, s6, 8, v0
	s_waitcnt lgkmcnt(0)
	s_lshr_b32 s28, s29, 3
	v_cmp_gt_i32_e32 vcc, s28, v0
	s_and_saveexec_b64 s[0:1], vcc
	s_cbranch_execz .LBB208_72
; %bb.1:
	s_load_dwordx2 s[16:17], s[4:5], 0x10
	s_load_dwordx8 s[8:15], s[4:5], 0x20
	v_ashrrev_i32_e32 v1, 31, v0
	v_lshlrev_b64 v[4:5], 3, v[0:1]
	s_mul_i32 s30, s28, 7
	s_waitcnt lgkmcnt(0)
	v_mov_b32_e32 v2, s17
	v_add_co_u32_e32 v1, vcc, s16, v4
	v_addc_co_u32_e32 v2, vcc, v2, v5, vcc
	global_load_dwordx2 v[6:7], v[1:2], off
	v_add_u32_e32 v2, s30, v0
	v_mov_b32_e32 v3, 0
	v_lshlrev_b64 v[8:9], 3, v[2:3]
	v_mov_b32_e32 v2, s9
	v_add_co_u32_e32 v1, vcc, s8, v8
	v_addc_co_u32_e32 v2, vcc, v2, v9, vcc
	global_load_dwordx2 v[10:11], v[1:2], off
	s_load_dwordx2 s[6:7], s[4:5], 0x40
	v_mov_b32_e32 v2, s11
	v_add_co_u32_e32 v1, vcc, s10, v4
	v_addc_co_u32_e32 v2, vcc, v2, v5, vcc
	s_cmp_lt_i32 s29, 1
	v_add_u32_e32 v35, s28, v0
	v_mov_b32_e32 v12, s13
	v_add_co_u32_e32 v8, vcc, s12, v8
	v_addc_co_u32_e32 v9, vcc, v12, v9, vcc
	s_waitcnt vmcnt(1)
	global_store_dwordx2 v[1:2], v[6:7], off
	s_waitcnt vmcnt(1)
	global_store_dwordx2 v[8:9], v[10:11], off
	s_cbranch_scc1 .LBB208_65
; %bb.2:
	s_load_dwordx2 s[18:19], s[4:5], 0x18
	s_mov_b32 s22, 0x372fe950
	s_mul_i32 s31, s28, 6
	s_lshl_b32 s33, s28, 1
	v_add_u32_e32 v36, s28, v35
	s_waitcnt lgkmcnt(0)
	v_mov_b32_e32 v6, s19
	v_add_co_u32_e32 v3, vcc, s18, v4
	v_addc_co_u32_e32 v4, vcc, v6, v5, vcc
	global_load_dwordx2 v[7:8], v[3:4], off
	v_mov_b32_e32 v3, 0
	s_mov_b64 s[20:21], 0
	s_mov_b32 s34, 0xf800000
	v_mov_b32_e32 v37, 0x260
	s_mov_b32 s23, 0x3fe3c6ef
	v_mov_b32_e32 v38, 2
	v_mov_b32_e32 v39, 1
	s_branch .LBB208_5
.LBB208_3:                              ;   in Loop: Header=BB208_5 Depth=1
	s_or_b64 exec, exec, s[4:5]
	v_mul_f32_e64 v5, v7, -v25
	v_mul_f32_e32 v6, v7, v24
	v_fmac_f32_e32 v5, v24, v4
	v_fmac_f32_e32 v6, v25, v4
	v_sub_f32_e32 v7, v19, v5
	v_sub_f32_e32 v8, v20, v6
	v_mov_b32_e32 v4, s28
.LBB208_4:                              ;   in Loop: Header=BB208_5 Depth=1
	s_or_b64 exec, exec, s[2:3]
	v_add_u32_e32 v3, v4, v3
	v_cmp_le_i32_e32 vcc, s29, v3
	s_or_b64 s[20:21], vcc, s[20:21]
	s_andn2_b64 exec, exec, s[20:21]
	s_cbranch_execz .LBB208_64
.LBB208_5:                              ; =>This Inner Loop Header: Depth=1
	v_add_u32_e32 v11, v3, v0
	v_ashrrev_i32_e32 v12, 31, v11
	v_lshlrev_b64 v[15:16], 3, v[11:12]
	v_mov_b32_e32 v5, s9
	v_add_co_u32_e32 v4, vcc, s8, v15
	v_addc_co_u32_e32 v5, vcc, v5, v16, vcc
	global_load_dwordx2 v[13:14], v[4:5], off
	v_cmp_gt_u32_e64 s[0:1], s30, v3
	v_mov_b32_e32 v5, 0
	v_mov_b32_e32 v6, 0
	s_and_saveexec_b64 s[2:3], s[0:1]
	s_cbranch_execz .LBB208_7
; %bb.6:                                ;   in Loop: Header=BB208_5 Depth=1
	v_add_u32_e32 v4, v35, v3
	v_ashrrev_i32_e32 v5, 31, v4
	v_lshlrev_b64 v[4:5], 3, v[4:5]
	v_mov_b32_e32 v6, s17
	v_add_co_u32_e32 v4, vcc, s16, v4
	v_addc_co_u32_e32 v5, vcc, v6, v5, vcc
	global_load_dwordx2 v[5:6], v[4:5], off
.LBB208_7:                              ;   in Loop: Header=BB208_5 Depth=1
	s_or_b64 exec, exec, s[2:3]
	v_mov_b32_e32 v9, 0
	v_mov_b32_e32 v19, 0
	;; [unrolled: 1-line block ×3, first 2 shown]
	s_and_saveexec_b64 s[2:3], s[0:1]
	s_cbranch_execz .LBB208_9
; %bb.8:                                ;   in Loop: Header=BB208_5 Depth=1
	v_add_u32_e32 v17, v35, v3
	v_ashrrev_i32_e32 v18, 31, v17
	v_lshlrev_b64 v[17:18], 3, v[17:18]
	v_mov_b32_e32 v4, s19
	v_add_co_u32_e32 v17, vcc, s18, v17
	v_addc_co_u32_e32 v18, vcc, v4, v18, vcc
	global_load_dwordx2 v[19:20], v[17:18], off
.LBB208_9:                              ;   in Loop: Header=BB208_5 Depth=1
	s_or_b64 exec, exec, s[2:3]
	v_mov_b32_e32 v10, 0
	s_and_saveexec_b64 s[2:3], s[0:1]
	s_cbranch_execz .LBB208_11
; %bb.10:                               ;   in Loop: Header=BB208_5 Depth=1
	v_add_u32_e32 v9, v35, v3
	v_ashrrev_i32_e32 v10, 31, v9
	v_lshlrev_b64 v[9:10], 3, v[9:10]
	v_mov_b32_e32 v4, s9
	v_add_co_u32_e32 v9, vcc, s8, v9
	v_addc_co_u32_e32 v10, vcc, v4, v10, vcc
	global_load_dwordx2 v[9:10], v[9:10], off
.LBB208_11:                             ;   in Loop: Header=BB208_5 Depth=1
	s_or_b64 exec, exec, s[2:3]
	v_cmp_gt_u32_e64 s[2:3], s31, v3
	v_mov_b32_e32 v17, 0
	v_mov_b32_e32 v18, 0
	s_and_saveexec_b64 s[4:5], s[2:3]
	s_cbranch_execz .LBB208_13
; %bb.12:                               ;   in Loop: Header=BB208_5 Depth=1
	v_add_u32_e32 v17, v36, v3
	v_ashrrev_i32_e32 v18, 31, v17
	v_lshlrev_b64 v[17:18], 3, v[17:18]
	v_mov_b32_e32 v4, s17
	v_add_co_u32_e32 v17, vcc, s16, v17
	v_addc_co_u32_e32 v18, vcc, v4, v18, vcc
	global_load_dwordx2 v[17:18], v[17:18], off
.LBB208_13:                             ;   in Loop: Header=BB208_5 Depth=1
	s_or_b64 exec, exec, s[4:5]
	s_waitcnt vmcnt(0)
	v_cmp_gt_f32_e32 vcc, 0, v5
	v_cndmask_b32_e64 v21, v5, -v5, vcc
	v_cmp_gt_f32_e32 vcc, 0, v6
	v_cndmask_b32_e64 v22, v6, -v6, vcc
	v_cmp_ngt_f32_e32 vcc, v21, v22
                                        ; implicit-def: $vgpr4
	s_and_saveexec_b64 s[4:5], vcc
	s_xor_b64 s[24:25], exec, s[4:5]
	s_cbranch_execz .LBB208_17
; %bb.14:                               ;   in Loop: Header=BB208_5 Depth=1
	v_mov_b32_e32 v4, 0
	v_cmp_neq_f32_e32 vcc, 0, v6
	s_and_saveexec_b64 s[26:27], vcc
	s_cbranch_execz .LBB208_16
; %bb.15:                               ;   in Loop: Header=BB208_5 Depth=1
	v_div_scale_f32 v4, s[4:5], v22, v22, v21
	v_div_scale_f32 v23, vcc, v21, v22, v21
	v_rcp_f32_e32 v24, v4
	v_fma_f32 v25, -v4, v24, 1.0
	v_fmac_f32_e32 v24, v25, v24
	v_mul_f32_e32 v25, v23, v24
	v_fma_f32 v26, -v4, v25, v23
	v_fmac_f32_e32 v25, v26, v24
	v_fma_f32 v4, -v4, v25, v23
	v_div_fmas_f32 v4, v4, v24, v25
	v_div_fixup_f32 v4, v4, v22, v21
	v_fma_f32 v4, v4, v4, 1.0
	v_mul_f32_e32 v21, 0x4f800000, v4
	v_cmp_gt_f32_e32 vcc, s34, v4
	v_cndmask_b32_e32 v4, v4, v21, vcc
	v_sqrt_f32_e32 v21, v4
	v_add_u32_e32 v23, -1, v21
	v_add_u32_e32 v24, 1, v21
	v_fma_f32 v25, -v23, v21, v4
	v_fma_f32 v26, -v24, v21, v4
	v_cmp_ge_f32_e64 s[4:5], 0, v25
	v_cndmask_b32_e64 v21, v21, v23, s[4:5]
	v_cmp_lt_f32_e64 s[4:5], 0, v26
	v_cndmask_b32_e64 v21, v21, v24, s[4:5]
	v_mul_f32_e32 v23, 0x37800000, v21
	v_cndmask_b32_e32 v21, v21, v23, vcc
	v_cmp_class_f32_e32 vcc, v4, v37
	v_cndmask_b32_e32 v4, v21, v4, vcc
	v_mul_f32_e32 v4, v22, v4
.LBB208_16:                             ;   in Loop: Header=BB208_5 Depth=1
	s_or_b64 exec, exec, s[26:27]
                                        ; implicit-def: $vgpr21
                                        ; implicit-def: $vgpr22
.LBB208_17:                             ;   in Loop: Header=BB208_5 Depth=1
	s_andn2_saveexec_b64 s[24:25], s[24:25]
	s_cbranch_execz .LBB208_19
; %bb.18:                               ;   in Loop: Header=BB208_5 Depth=1
	v_div_scale_f32 v4, s[4:5], v21, v21, v22
	v_div_scale_f32 v23, vcc, v22, v21, v22
	v_rcp_f32_e32 v24, v4
	v_fma_f32 v25, -v4, v24, 1.0
	v_fmac_f32_e32 v24, v25, v24
	v_mul_f32_e32 v25, v23, v24
	v_fma_f32 v26, -v4, v25, v23
	v_fmac_f32_e32 v25, v26, v24
	v_fma_f32 v4, -v4, v25, v23
	v_div_fmas_f32 v4, v4, v24, v25
	v_div_fixup_f32 v4, v4, v21, v22
	v_fma_f32 v4, v4, v4, 1.0
	v_mul_f32_e32 v22, 0x4f800000, v4
	v_cmp_gt_f32_e32 vcc, s34, v4
	v_cndmask_b32_e32 v4, v4, v22, vcc
	v_sqrt_f32_e32 v22, v4
	v_add_u32_e32 v23, -1, v22
	v_add_u32_e32 v24, 1, v22
	v_fma_f32 v25, -v23, v22, v4
	v_fma_f32 v26, -v24, v22, v4
	v_cmp_ge_f32_e64 s[4:5], 0, v25
	v_cndmask_b32_e64 v22, v22, v23, s[4:5]
	v_cmp_lt_f32_e64 s[4:5], 0, v26
	v_cndmask_b32_e64 v22, v22, v24, s[4:5]
	v_mul_f32_e32 v23, 0x37800000, v22
	v_cndmask_b32_e32 v22, v22, v23, vcc
	v_cmp_class_f32_e32 vcc, v4, v37
	v_cndmask_b32_e32 v4, v22, v4, vcc
	v_mul_f32_e32 v4, v21, v4
.LBB208_19:                             ;   in Loop: Header=BB208_5 Depth=1
	s_or_b64 exec, exec, s[24:25]
	v_cmp_gt_f32_e32 vcc, 0, v17
	v_cndmask_b32_e64 v22, v17, -v17, vcc
	v_cmp_gt_f32_e32 vcc, 0, v18
	v_cndmask_b32_e64 v23, v18, -v18, vcc
	v_cmp_ngt_f32_e32 vcc, v22, v23
                                        ; implicit-def: $vgpr21
	s_and_saveexec_b64 s[4:5], vcc
	s_xor_b64 s[24:25], exec, s[4:5]
	s_cbranch_execz .LBB208_23
; %bb.20:                               ;   in Loop: Header=BB208_5 Depth=1
	v_mov_b32_e32 v21, 0
	v_cmp_neq_f32_e32 vcc, 0, v18
	s_and_saveexec_b64 s[26:27], vcc
	s_cbranch_execz .LBB208_22
; %bb.21:                               ;   in Loop: Header=BB208_5 Depth=1
	v_div_scale_f32 v21, s[4:5], v23, v23, v22
	v_div_scale_f32 v24, vcc, v22, v23, v22
	v_rcp_f32_e32 v25, v21
	v_fma_f32 v26, -v21, v25, 1.0
	v_fmac_f32_e32 v25, v26, v25
	v_mul_f32_e32 v26, v24, v25
	v_fma_f32 v27, -v21, v26, v24
	v_fmac_f32_e32 v26, v27, v25
	v_fma_f32 v21, -v21, v26, v24
	v_div_fmas_f32 v21, v21, v25, v26
	v_div_fixup_f32 v21, v21, v23, v22
	v_fma_f32 v21, v21, v21, 1.0
	v_mul_f32_e32 v22, 0x4f800000, v21
	v_cmp_gt_f32_e32 vcc, s34, v21
	v_cndmask_b32_e32 v21, v21, v22, vcc
	v_sqrt_f32_e32 v22, v21
	v_add_u32_e32 v24, -1, v22
	v_add_u32_e32 v25, 1, v22
	v_fma_f32 v26, -v24, v22, v21
	v_fma_f32 v27, -v25, v22, v21
	v_cmp_ge_f32_e64 s[4:5], 0, v26
	v_cndmask_b32_e64 v22, v22, v24, s[4:5]
	v_cmp_lt_f32_e64 s[4:5], 0, v27
	v_cndmask_b32_e64 v22, v22, v25, s[4:5]
	v_mul_f32_e32 v24, 0x37800000, v22
	v_cndmask_b32_e32 v22, v22, v24, vcc
	v_cmp_class_f32_e32 vcc, v21, v37
	v_cndmask_b32_e32 v21, v22, v21, vcc
	v_mul_f32_e32 v21, v23, v21
.LBB208_22:                             ;   in Loop: Header=BB208_5 Depth=1
	s_or_b64 exec, exec, s[26:27]
                                        ; implicit-def: $vgpr22
                                        ; implicit-def: $vgpr23
.LBB208_23:                             ;   in Loop: Header=BB208_5 Depth=1
	s_andn2_saveexec_b64 s[24:25], s[24:25]
	s_cbranch_execz .LBB208_25
; %bb.24:                               ;   in Loop: Header=BB208_5 Depth=1
	v_div_scale_f32 v21, s[4:5], v22, v22, v23
	v_div_scale_f32 v24, vcc, v23, v22, v23
	v_rcp_f32_e32 v25, v21
	v_fma_f32 v26, -v21, v25, 1.0
	v_fmac_f32_e32 v25, v26, v25
	v_mul_f32_e32 v26, v24, v25
	v_fma_f32 v27, -v21, v26, v24
	v_fmac_f32_e32 v26, v27, v25
	v_fma_f32 v21, -v21, v26, v24
	v_div_fmas_f32 v21, v21, v25, v26
	v_div_fixup_f32 v21, v21, v22, v23
	v_fma_f32 v21, v21, v21, 1.0
	v_mul_f32_e32 v23, 0x4f800000, v21
	v_cmp_gt_f32_e32 vcc, s34, v21
	v_cndmask_b32_e32 v21, v21, v23, vcc
	v_sqrt_f32_e32 v23, v21
	v_add_u32_e32 v24, -1, v23
	v_add_u32_e32 v25, 1, v23
	v_fma_f32 v26, -v24, v23, v21
	v_fma_f32 v27, -v25, v23, v21
	v_cmp_ge_f32_e64 s[4:5], 0, v26
	v_cndmask_b32_e64 v23, v23, v24, s[4:5]
	v_cmp_lt_f32_e64 s[4:5], 0, v27
	v_cndmask_b32_e64 v23, v23, v25, s[4:5]
	v_mul_f32_e32 v24, 0x37800000, v23
	v_cndmask_b32_e32 v23, v23, v24, vcc
	v_cmp_class_f32_e32 vcc, v21, v37
	v_cndmask_b32_e32 v21, v23, v21, vcc
	v_mul_f32_e32 v21, v22, v21
.LBB208_25:                             ;   in Loop: Header=BB208_5 Depth=1
	s_or_b64 exec, exec, s[24:25]
	v_cmp_gt_f32_e32 vcc, 0, v19
	v_cndmask_b32_e64 v23, v19, -v19, vcc
	v_cmp_gt_f32_e32 vcc, 0, v20
	v_cndmask_b32_e64 v24, v20, -v20, vcc
	v_cmp_ngt_f32_e32 vcc, v23, v24
                                        ; implicit-def: $vgpr22
	s_and_saveexec_b64 s[4:5], vcc
	s_xor_b64 s[24:25], exec, s[4:5]
	s_cbranch_execz .LBB208_29
; %bb.26:                               ;   in Loop: Header=BB208_5 Depth=1
	v_mov_b32_e32 v22, 0
	v_cmp_neq_f32_e32 vcc, 0, v20
	s_and_saveexec_b64 s[26:27], vcc
	s_cbranch_execz .LBB208_28
; %bb.27:                               ;   in Loop: Header=BB208_5 Depth=1
	v_div_scale_f32 v22, s[4:5], v24, v24, v23
	v_div_scale_f32 v25, vcc, v23, v24, v23
	v_rcp_f32_e32 v26, v22
	v_fma_f32 v27, -v22, v26, 1.0
	v_fmac_f32_e32 v26, v27, v26
	v_mul_f32_e32 v27, v25, v26
	v_fma_f32 v28, -v22, v27, v25
	v_fmac_f32_e32 v27, v28, v26
	v_fma_f32 v22, -v22, v27, v25
	v_div_fmas_f32 v22, v22, v26, v27
	v_div_fixup_f32 v22, v22, v24, v23
	v_fma_f32 v22, v22, v22, 1.0
	v_mul_f32_e32 v23, 0x4f800000, v22
	v_cmp_gt_f32_e32 vcc, s34, v22
	v_cndmask_b32_e32 v22, v22, v23, vcc
	v_sqrt_f32_e32 v23, v22
	v_add_u32_e32 v25, -1, v23
	v_add_u32_e32 v26, 1, v23
	v_fma_f32 v27, -v25, v23, v22
	v_fma_f32 v28, -v26, v23, v22
	v_cmp_ge_f32_e64 s[4:5], 0, v27
	v_cndmask_b32_e64 v23, v23, v25, s[4:5]
	v_cmp_lt_f32_e64 s[4:5], 0, v28
	v_cndmask_b32_e64 v23, v23, v26, s[4:5]
	v_mul_f32_e32 v25, 0x37800000, v23
	v_cndmask_b32_e32 v23, v23, v25, vcc
	v_cmp_class_f32_e32 vcc, v22, v37
	v_cndmask_b32_e32 v22, v23, v22, vcc
	v_mul_f32_e32 v22, v24, v22
.LBB208_28:                             ;   in Loop: Header=BB208_5 Depth=1
	s_or_b64 exec, exec, s[26:27]
                                        ; implicit-def: $vgpr23
                                        ; implicit-def: $vgpr24
.LBB208_29:                             ;   in Loop: Header=BB208_5 Depth=1
	s_andn2_saveexec_b64 s[24:25], s[24:25]
	s_cbranch_execz .LBB208_31
; %bb.30:                               ;   in Loop: Header=BB208_5 Depth=1
	v_div_scale_f32 v22, s[4:5], v23, v23, v24
	v_div_scale_f32 v25, vcc, v24, v23, v24
	v_rcp_f32_e32 v26, v22
	v_fma_f32 v27, -v22, v26, 1.0
	v_fmac_f32_e32 v26, v27, v26
	v_mul_f32_e32 v27, v25, v26
	v_fma_f32 v28, -v22, v27, v25
	v_fmac_f32_e32 v27, v28, v26
	v_fma_f32 v22, -v22, v27, v25
	v_div_fmas_f32 v22, v22, v26, v27
	v_div_fixup_f32 v22, v22, v23, v24
	v_fma_f32 v22, v22, v22, 1.0
	v_mul_f32_e32 v24, 0x4f800000, v22
	v_cmp_gt_f32_e32 vcc, s34, v22
	v_cndmask_b32_e32 v22, v22, v24, vcc
	v_sqrt_f32_e32 v24, v22
	v_add_u32_e32 v25, -1, v24
	v_add_u32_e32 v26, 1, v24
	v_fma_f32 v27, -v25, v24, v22
	v_fma_f32 v28, -v26, v24, v22
	v_cmp_ge_f32_e64 s[4:5], 0, v27
	v_cndmask_b32_e64 v24, v24, v25, s[4:5]
	v_cmp_lt_f32_e64 s[4:5], 0, v28
	v_cndmask_b32_e64 v24, v24, v26, s[4:5]
	v_mul_f32_e32 v25, 0x37800000, v24
	v_cndmask_b32_e32 v24, v24, v25, vcc
	v_cmp_class_f32_e32 vcc, v22, v37
	v_cndmask_b32_e32 v22, v24, v22, vcc
	v_mul_f32_e32 v22, v23, v22
.LBB208_31:                             ;   in Loop: Header=BB208_5 Depth=1
	s_or_b64 exec, exec, s[24:25]
	v_cmp_gt_f32_e32 vcc, 0, v13
	v_cndmask_b32_e64 v24, v13, -v13, vcc
	v_cmp_gt_f32_e32 vcc, 0, v14
	v_cndmask_b32_e64 v25, v14, -v14, vcc
	v_cmp_ngt_f32_e32 vcc, v24, v25
                                        ; implicit-def: $vgpr23
	s_and_saveexec_b64 s[4:5], vcc
	s_xor_b64 s[24:25], exec, s[4:5]
	s_cbranch_execz .LBB208_35
; %bb.32:                               ;   in Loop: Header=BB208_5 Depth=1
	v_mov_b32_e32 v23, 0
	v_cmp_neq_f32_e32 vcc, 0, v14
	s_and_saveexec_b64 s[26:27], vcc
	s_cbranch_execz .LBB208_34
; %bb.33:                               ;   in Loop: Header=BB208_5 Depth=1
	v_div_scale_f32 v23, s[4:5], v25, v25, v24
	v_div_scale_f32 v26, vcc, v24, v25, v24
	v_rcp_f32_e32 v27, v23
	v_fma_f32 v28, -v23, v27, 1.0
	v_fmac_f32_e32 v27, v28, v27
	v_mul_f32_e32 v28, v26, v27
	v_fma_f32 v29, -v23, v28, v26
	v_fmac_f32_e32 v28, v29, v27
	v_fma_f32 v23, -v23, v28, v26
	v_div_fmas_f32 v23, v23, v27, v28
	v_div_fixup_f32 v23, v23, v25, v24
	v_fma_f32 v23, v23, v23, 1.0
	v_mul_f32_e32 v24, 0x4f800000, v23
	v_cmp_gt_f32_e32 vcc, s34, v23
	v_cndmask_b32_e32 v23, v23, v24, vcc
	v_sqrt_f32_e32 v24, v23
	v_add_u32_e32 v26, -1, v24
	v_add_u32_e32 v27, 1, v24
	v_fma_f32 v28, -v26, v24, v23
	v_fma_f32 v29, -v27, v24, v23
	v_cmp_ge_f32_e64 s[4:5], 0, v28
	v_cndmask_b32_e64 v24, v24, v26, s[4:5]
	v_cmp_lt_f32_e64 s[4:5], 0, v29
	v_cndmask_b32_e64 v24, v24, v27, s[4:5]
	v_mul_f32_e32 v26, 0x37800000, v24
	v_cndmask_b32_e32 v24, v24, v26, vcc
	v_cmp_class_f32_e32 vcc, v23, v37
	v_cndmask_b32_e32 v23, v24, v23, vcc
	v_mul_f32_e32 v23, v25, v23
.LBB208_34:                             ;   in Loop: Header=BB208_5 Depth=1
	s_or_b64 exec, exec, s[26:27]
                                        ; implicit-def: $vgpr24
                                        ; implicit-def: $vgpr25
.LBB208_35:                             ;   in Loop: Header=BB208_5 Depth=1
	s_andn2_saveexec_b64 s[24:25], s[24:25]
	s_cbranch_execz .LBB208_37
; %bb.36:                               ;   in Loop: Header=BB208_5 Depth=1
	v_div_scale_f32 v23, s[4:5], v24, v24, v25
	v_div_scale_f32 v26, vcc, v25, v24, v25
	v_rcp_f32_e32 v27, v23
	v_fma_f32 v28, -v23, v27, 1.0
	v_fmac_f32_e32 v27, v28, v27
	v_mul_f32_e32 v28, v26, v27
	v_fma_f32 v29, -v23, v28, v26
	v_fmac_f32_e32 v28, v29, v27
	v_fma_f32 v23, -v23, v28, v26
	v_div_fmas_f32 v23, v23, v27, v28
	v_div_fixup_f32 v23, v23, v24, v25
	v_fma_f32 v23, v23, v23, 1.0
	v_mul_f32_e32 v25, 0x4f800000, v23
	v_cmp_gt_f32_e32 vcc, s34, v23
	v_cndmask_b32_e32 v23, v23, v25, vcc
	v_sqrt_f32_e32 v25, v23
	v_add_u32_e32 v26, -1, v25
	v_add_u32_e32 v27, 1, v25
	v_fma_f32 v28, -v26, v25, v23
	v_fma_f32 v29, -v27, v25, v23
	v_cmp_ge_f32_e64 s[4:5], 0, v28
	v_cndmask_b32_e64 v25, v25, v26, s[4:5]
	v_cmp_lt_f32_e64 s[4:5], 0, v29
	v_cndmask_b32_e64 v25, v25, v27, s[4:5]
	v_mul_f32_e32 v26, 0x37800000, v25
	v_cndmask_b32_e32 v25, v25, v26, vcc
	v_cmp_class_f32_e32 vcc, v23, v37
	v_cndmask_b32_e32 v23, v25, v23, vcc
	v_mul_f32_e32 v23, v24, v23
.LBB208_37:                             ;   in Loop: Header=BB208_5 Depth=1
	s_or_b64 exec, exec, s[24:25]
	v_cmp_gt_f32_e32 vcc, 0, v9
	v_cndmask_b32_e64 v24, v9, -v9, vcc
	v_cmp_gt_f32_e32 vcc, 0, v10
	v_cndmask_b32_e64 v25, v10, -v10, vcc
	v_cmp_ngt_f32_e32 vcc, v24, v25
                                        ; implicit-def: $vgpr26
	s_and_saveexec_b64 s[4:5], vcc
	s_xor_b64 s[24:25], exec, s[4:5]
	s_cbranch_execz .LBB208_41
; %bb.38:                               ;   in Loop: Header=BB208_5 Depth=1
	v_mov_b32_e32 v26, 0
	v_cmp_neq_f32_e32 vcc, 0, v10
	s_and_saveexec_b64 s[26:27], vcc
	s_cbranch_execz .LBB208_40
; %bb.39:                               ;   in Loop: Header=BB208_5 Depth=1
	v_div_scale_f32 v26, s[4:5], v25, v25, v24
	v_div_scale_f32 v27, vcc, v24, v25, v24
	v_rcp_f32_e32 v28, v26
	v_fma_f32 v29, -v26, v28, 1.0
	v_fmac_f32_e32 v28, v29, v28
	v_mul_f32_e32 v29, v27, v28
	v_fma_f32 v30, -v26, v29, v27
	v_fmac_f32_e32 v29, v30, v28
	v_fma_f32 v26, -v26, v29, v27
	v_div_fmas_f32 v26, v26, v28, v29
	v_div_fixup_f32 v24, v26, v25, v24
	v_fma_f32 v24, v24, v24, 1.0
	v_mul_f32_e32 v26, 0x4f800000, v24
	v_cmp_gt_f32_e32 vcc, s34, v24
	v_cndmask_b32_e32 v24, v24, v26, vcc
	v_sqrt_f32_e32 v26, v24
	v_add_u32_e32 v27, -1, v26
	v_add_u32_e32 v28, 1, v26
	v_fma_f32 v29, -v27, v26, v24
	v_fma_f32 v30, -v28, v26, v24
	v_cmp_ge_f32_e64 s[4:5], 0, v29
	v_cndmask_b32_e64 v26, v26, v27, s[4:5]
	v_cmp_lt_f32_e64 s[4:5], 0, v30
	v_cndmask_b32_e64 v26, v26, v28, s[4:5]
	v_mul_f32_e32 v27, 0x37800000, v26
	v_cndmask_b32_e32 v26, v26, v27, vcc
	v_cmp_class_f32_e32 vcc, v24, v37
	v_cndmask_b32_e32 v24, v26, v24, vcc
	v_mul_f32_e32 v26, v25, v24
.LBB208_40:                             ;   in Loop: Header=BB208_5 Depth=1
	s_or_b64 exec, exec, s[26:27]
                                        ; implicit-def: $vgpr24
                                        ; implicit-def: $vgpr25
.LBB208_41:                             ;   in Loop: Header=BB208_5 Depth=1
	s_andn2_saveexec_b64 s[24:25], s[24:25]
	s_cbranch_execz .LBB208_43
; %bb.42:                               ;   in Loop: Header=BB208_5 Depth=1
	v_div_scale_f32 v26, s[4:5], v24, v24, v25
	v_div_scale_f32 v27, vcc, v25, v24, v25
	v_rcp_f32_e32 v28, v26
	v_fma_f32 v29, -v26, v28, 1.0
	v_fmac_f32_e32 v28, v29, v28
	v_mul_f32_e32 v29, v27, v28
	v_fma_f32 v30, -v26, v29, v27
	v_fmac_f32_e32 v29, v30, v28
	v_fma_f32 v26, -v26, v29, v27
	v_div_fmas_f32 v26, v26, v28, v29
	v_div_fixup_f32 v25, v26, v24, v25
	v_fma_f32 v25, v25, v25, 1.0
	v_mul_f32_e32 v26, 0x4f800000, v25
	v_cmp_gt_f32_e32 vcc, s34, v25
	v_cndmask_b32_e32 v25, v25, v26, vcc
	v_sqrt_f32_e32 v26, v25
	v_add_u32_e32 v27, -1, v26
	v_add_u32_e32 v28, 1, v26
	v_fma_f32 v29, -v27, v26, v25
	v_fma_f32 v30, -v28, v26, v25
	v_cmp_ge_f32_e64 s[4:5], 0, v29
	v_cndmask_b32_e64 v26, v26, v27, s[4:5]
	v_cmp_lt_f32_e64 s[4:5], 0, v30
	v_cndmask_b32_e64 v26, v26, v28, s[4:5]
	v_mul_f32_e32 v27, 0x37800000, v26
	v_cndmask_b32_e32 v26, v26, v27, vcc
	v_cmp_class_f32_e32 vcc, v25, v37
	v_cndmask_b32_e32 v25, v26, v25, vcc
	v_mul_f32_e32 v26, v24, v25
.LBB208_43:                             ;   in Loop: Header=BB208_5 Depth=1
	s_or_b64 exec, exec, s[24:25]
	v_cmp_gt_f32_e32 vcc, 0, v7
	v_cndmask_b32_e64 v24, v7, -v7, vcc
	v_cmp_gt_f32_e32 vcc, 0, v8
	v_cndmask_b32_e64 v25, v8, -v8, vcc
	v_cmp_ngt_f32_e32 vcc, v24, v25
                                        ; implicit-def: $vgpr27
	s_and_saveexec_b64 s[4:5], vcc
	s_xor_b64 s[24:25], exec, s[4:5]
	s_cbranch_execz .LBB208_47
; %bb.44:                               ;   in Loop: Header=BB208_5 Depth=1
	v_mov_b32_e32 v27, 0
	v_cmp_neq_f32_e32 vcc, 0, v8
	s_and_saveexec_b64 s[26:27], vcc
	s_cbranch_execz .LBB208_46
; %bb.45:                               ;   in Loop: Header=BB208_5 Depth=1
	v_div_scale_f32 v27, s[4:5], v25, v25, v24
	v_div_scale_f32 v28, vcc, v24, v25, v24
	v_rcp_f32_e32 v29, v27
	v_fma_f32 v30, -v27, v29, 1.0
	v_fmac_f32_e32 v29, v30, v29
	v_mul_f32_e32 v30, v28, v29
	v_fma_f32 v31, -v27, v30, v28
	v_fmac_f32_e32 v30, v31, v29
	v_fma_f32 v27, -v27, v30, v28
	v_div_fmas_f32 v27, v27, v29, v30
	v_div_fixup_f32 v24, v27, v25, v24
	v_fma_f32 v24, v24, v24, 1.0
	v_mul_f32_e32 v27, 0x4f800000, v24
	v_cmp_gt_f32_e32 vcc, s34, v24
	v_cndmask_b32_e32 v24, v24, v27, vcc
	v_sqrt_f32_e32 v27, v24
	v_add_u32_e32 v28, -1, v27
	v_add_u32_e32 v29, 1, v27
	v_fma_f32 v30, -v28, v27, v24
	v_fma_f32 v31, -v29, v27, v24
	v_cmp_ge_f32_e64 s[4:5], 0, v30
	v_cndmask_b32_e64 v27, v27, v28, s[4:5]
	v_cmp_lt_f32_e64 s[4:5], 0, v31
	v_cndmask_b32_e64 v27, v27, v29, s[4:5]
	v_mul_f32_e32 v28, 0x37800000, v27
	v_cndmask_b32_e32 v27, v27, v28, vcc
	v_cmp_class_f32_e32 vcc, v24, v37
	v_cndmask_b32_e32 v24, v27, v24, vcc
	v_mul_f32_e32 v27, v25, v24
.LBB208_46:                             ;   in Loop: Header=BB208_5 Depth=1
	s_or_b64 exec, exec, s[26:27]
                                        ; implicit-def: $vgpr24
                                        ; implicit-def: $vgpr25
.LBB208_47:                             ;   in Loop: Header=BB208_5 Depth=1
	s_andn2_saveexec_b64 s[24:25], s[24:25]
	s_cbranch_execz .LBB208_49
; %bb.48:                               ;   in Loop: Header=BB208_5 Depth=1
	v_div_scale_f32 v27, s[4:5], v24, v24, v25
	v_div_scale_f32 v28, vcc, v25, v24, v25
	v_rcp_f32_e32 v29, v27
	v_fma_f32 v30, -v27, v29, 1.0
	v_fmac_f32_e32 v29, v30, v29
	v_mul_f32_e32 v30, v28, v29
	v_fma_f32 v31, -v27, v30, v28
	v_fmac_f32_e32 v30, v31, v29
	v_fma_f32 v27, -v27, v30, v28
	v_div_fmas_f32 v27, v27, v29, v30
	v_div_fixup_f32 v25, v27, v24, v25
	v_fma_f32 v25, v25, v25, 1.0
	v_mul_f32_e32 v27, 0x4f800000, v25
	v_cmp_gt_f32_e32 vcc, s34, v25
	v_cndmask_b32_e32 v25, v25, v27, vcc
	v_sqrt_f32_e32 v27, v25
	v_add_u32_e32 v28, -1, v27
	v_add_u32_e32 v29, 1, v27
	v_fma_f32 v30, -v28, v27, v25
	v_fma_f32 v31, -v29, v27, v25
	v_cmp_ge_f32_e64 s[4:5], 0, v30
	v_cndmask_b32_e64 v27, v27, v28, s[4:5]
	v_cmp_lt_f32_e64 s[4:5], 0, v31
	v_cndmask_b32_e64 v27, v27, v29, s[4:5]
	v_mul_f32_e32 v28, 0x37800000, v27
	v_cndmask_b32_e32 v27, v27, v28, vcc
	v_cmp_class_f32_e32 vcc, v25, v37
	v_cndmask_b32_e32 v25, v27, v25, vcc
	v_mul_f32_e32 v27, v24, v25
.LBB208_49:                             ;   in Loop: Header=BB208_5 Depth=1
	s_or_b64 exec, exec, s[24:25]
	v_mul_f32_e64 v24, v14, -v6
	v_fmac_f32_e32 v24, v5, v13
	v_mul_f32_e32 v25, v5, v14
	v_fmac_f32_e32 v25, v6, v13
	v_cmp_gt_f32_e32 vcc, 0, v24
	v_cndmask_b32_e64 v28, v24, -v24, vcc
	v_cmp_gt_f32_e32 vcc, 0, v25
	v_cndmask_b32_e64 v29, v25, -v25, vcc
	v_cmp_ngt_f32_e32 vcc, v28, v29
                                        ; implicit-def: $vgpr30
	s_and_saveexec_b64 s[4:5], vcc
	s_xor_b64 s[24:25], exec, s[4:5]
	s_cbranch_execz .LBB208_53
; %bb.50:                               ;   in Loop: Header=BB208_5 Depth=1
	v_mov_b32_e32 v30, 0
	v_cmp_neq_f32_e32 vcc, 0, v25
	s_and_saveexec_b64 s[26:27], vcc
	s_cbranch_execz .LBB208_52
; %bb.51:                               ;   in Loop: Header=BB208_5 Depth=1
	v_div_scale_f32 v30, s[4:5], v29, v29, v28
	v_div_scale_f32 v31, vcc, v28, v29, v28
	v_rcp_f32_e32 v32, v30
	v_fma_f32 v33, -v30, v32, 1.0
	v_fmac_f32_e32 v32, v33, v32
	v_mul_f32_e32 v33, v31, v32
	v_fma_f32 v34, -v30, v33, v31
	v_fmac_f32_e32 v33, v34, v32
	v_fma_f32 v30, -v30, v33, v31
	v_div_fmas_f32 v30, v30, v32, v33
	v_div_fixup_f32 v28, v30, v29, v28
	v_fma_f32 v28, v28, v28, 1.0
	v_mul_f32_e32 v30, 0x4f800000, v28
	v_cmp_gt_f32_e32 vcc, s34, v28
	v_cndmask_b32_e32 v28, v28, v30, vcc
	v_sqrt_f32_e32 v30, v28
	v_add_u32_e32 v31, -1, v30
	v_add_u32_e32 v32, 1, v30
	v_fma_f32 v33, -v31, v30, v28
	v_fma_f32 v34, -v32, v30, v28
	v_cmp_ge_f32_e64 s[4:5], 0, v33
	v_cndmask_b32_e64 v30, v30, v31, s[4:5]
	v_cmp_lt_f32_e64 s[4:5], 0, v34
	v_cndmask_b32_e64 v30, v30, v32, s[4:5]
	v_mul_f32_e32 v31, 0x37800000, v30
	v_cndmask_b32_e32 v30, v30, v31, vcc
	v_cmp_class_f32_e32 vcc, v28, v37
	v_cndmask_b32_e32 v28, v30, v28, vcc
	v_mul_f32_e32 v30, v29, v28
.LBB208_52:                             ;   in Loop: Header=BB208_5 Depth=1
	s_or_b64 exec, exec, s[26:27]
                                        ; implicit-def: $vgpr28
                                        ; implicit-def: $vgpr29
.LBB208_53:                             ;   in Loop: Header=BB208_5 Depth=1
	s_andn2_saveexec_b64 s[24:25], s[24:25]
	s_cbranch_execz .LBB208_55
; %bb.54:                               ;   in Loop: Header=BB208_5 Depth=1
	v_div_scale_f32 v30, s[4:5], v28, v28, v29
	v_div_scale_f32 v31, vcc, v29, v28, v29
	v_rcp_f32_e32 v32, v30
	v_fma_f32 v33, -v30, v32, 1.0
	v_fmac_f32_e32 v32, v33, v32
	v_mul_f32_e32 v33, v31, v32
	v_fma_f32 v34, -v30, v33, v31
	v_fmac_f32_e32 v33, v34, v32
	v_fma_f32 v30, -v30, v33, v31
	v_div_fmas_f32 v30, v30, v32, v33
	v_div_fixup_f32 v29, v30, v28, v29
	v_fma_f32 v29, v29, v29, 1.0
	v_mul_f32_e32 v30, 0x4f800000, v29
	v_cmp_gt_f32_e32 vcc, s34, v29
	v_cndmask_b32_e32 v29, v29, v30, vcc
	v_sqrt_f32_e32 v30, v29
	v_add_u32_e32 v31, -1, v30
	v_add_u32_e32 v32, 1, v30
	v_fma_f32 v33, -v31, v30, v29
	v_fma_f32 v34, -v32, v30, v29
	v_cmp_ge_f32_e64 s[4:5], 0, v33
	v_cndmask_b32_e64 v30, v30, v31, s[4:5]
	v_cmp_lt_f32_e64 s[4:5], 0, v34
	v_cndmask_b32_e64 v30, v30, v32, s[4:5]
	v_mul_f32_e32 v31, 0x37800000, v30
	v_cndmask_b32_e32 v30, v30, v31, vcc
	v_cmp_class_f32_e32 vcc, v29, v37
	v_cndmask_b32_e32 v29, v30, v29, vcc
	v_mul_f32_e32 v30, v28, v29
.LBB208_55:                             ;   in Loop: Header=BB208_5 Depth=1
	s_or_b64 exec, exec, s[24:25]
	v_cmp_lt_f32_e32 vcc, v4, v21
	v_cndmask_b32_e32 v4, v4, v21, vcc
	v_cmp_lt_f32_e32 vcc, v22, v4
	v_cndmask_b32_e32 v4, v22, v4, vcc
	;; [unrolled: 2-line block ×4, first 2 shown]
	v_cvt_f64_f32_e32 v[21:22], v4
	v_cvt_f64_f32_e32 v[26:27], v27
	;; [unrolled: 1-line block ×3, first 2 shown]
	v_cmp_ne_u32_e64 s[4:5], s30, v3
	v_mul_f64 v[21:22], v[21:22], v[26:27]
	v_mul_f64 v[26:27], v[28:29], s[22:23]
	v_cmp_nge_f64_e32 vcc, v[21:22], v[26:27]
	s_and_b64 s[4:5], s[4:5], vcc
	s_and_saveexec_b64 s[24:25], s[4:5]
	s_xor_b64 s[4:5], exec, s[24:25]
	s_cbranch_execz .LBB208_61
; %bb.56:                               ;   in Loop: Header=BB208_5 Depth=1
	v_mul_f32_e64 v4, v20, -v8
	v_mul_f32_e32 v21, v7, v20
	v_fmac_f32_e32 v4, v7, v19
	v_fmac_f32_e32 v21, v8, v19
	v_sub_f32_e32 v23, v4, v24
	v_sub_f32_e32 v24, v21, v25
	v_mul_f32_e32 v33, v24, v24
	v_fmac_f32_e32 v33, v23, v23
	v_div_scale_f32 v21, s[24:25], v33, v33, 1.0
	v_div_scale_f32 v22, vcc, 1.0, v33, 1.0
	v_ashrrev_i32_e32 v4, 31, v3
	v_mov_b32_e32 v30, s11
	v_lshlrev_b64 v[11:12], 2, v[11:12]
	v_rcp_f32_e32 v25, v21
	v_fma_f32 v26, -v21, v25, 1.0
	v_fmac_f32_e32 v25, v26, v25
	v_mul_f32_e32 v26, v22, v25
	v_fma_f32 v27, -v21, v26, v22
	v_fmac_f32_e32 v26, v27, v25
	v_fma_f32 v21, -v21, v26, v22
	v_div_fmas_f32 v34, v21, v25, v26
	v_add_u32_e32 v25, v35, v3
	v_lshlrev_b64 v[21:22], 3, v[3:4]
	v_ashrrev_i32_e32 v26, 31, v25
	v_add_co_u32_e32 v31, vcc, v1, v21
	v_lshlrev_b64 v[27:28], 3, v[25:26]
	v_addc_co_u32_e32 v32, vcc, v2, v22, vcc
	v_add_co_u32_e32 v29, vcc, s10, v27
	v_fma_f32 v4, 0, v24, v23
	v_fma_f32 v23, v23, 0, -v24
	v_addc_co_u32_e32 v30, vcc, v30, v28, vcc
	v_div_fixup_f32 v21, v34, v33, 1.0
	v_mul_f32_e32 v4, v4, v21
	v_mul_f32_e32 v40, v23, v21
	global_load_dwordx2 v[21:22], v[31:32], off
	global_load_dwordx2 v[23:24], v[29:30], off
	s_waitcnt vmcnt(1)
	v_mul_f32_e64 v33, v22, -v20
	s_waitcnt vmcnt(0)
	v_mul_f32_e64 v34, v24, -v14
	v_fmac_f32_e32 v33, v19, v21
	v_fmac_f32_e32 v34, v13, v23
	v_sub_f32_e32 v41, v33, v34
	v_mul_f32_e32 v33, v19, v22
	v_mul_f32_e32 v34, v24, v13
	v_fmac_f32_e32 v33, v20, v21
	v_fmac_f32_e32 v34, v14, v23
	v_sub_f32_e32 v42, v33, v34
	v_mul_f32_e64 v33, v40, -v42
	v_mul_f32_e32 v34, v40, v41
	v_fmac_f32_e32 v33, v41, v4
	v_fmac_f32_e32 v34, v42, v4
	global_store_dwordx2 v[31:32], v[33:34], off
	v_mov_b32_e32 v31, s13
	v_add_co_u32_e32 v41, vcc, s12, v15
	v_addc_co_u32_e32 v42, vcc, v31, v16, vcc
	global_load_dwordx2 v[31:32], v[41:42], off
	s_waitcnt vmcnt(0)
	v_mul_f32_e64 v43, v32, -v20
	v_mul_f32_e32 v44, v19, v32
	v_fmac_f32_e32 v43, v19, v31
	v_fmac_f32_e32 v44, v20, v31
	v_mov_b32_e32 v20, s13
	v_add_co_u32_e32 v19, vcc, s12, v27
	v_addc_co_u32_e32 v20, vcc, v20, v28, vcc
	global_load_dwordx2 v[33:34], v[19:20], off
	v_add_co_u32_e32 v15, vcc, s14, v15
	s_waitcnt vmcnt(0)
	v_mul_f32_e64 v45, v34, -v14
	v_fmac_f32_e32 v45, v13, v33
	v_sub_f32_e32 v45, v43, v45
	v_mul_f32_e32 v43, v34, v13
	v_fmac_f32_e32 v43, v14, v33
	v_sub_f32_e32 v46, v44, v43
	v_mul_f32_e64 v43, v40, -v46
	v_mul_f32_e32 v44, v40, v45
	v_fmac_f32_e32 v43, v45, v4
	v_fmac_f32_e32 v44, v46, v4
	global_store_dwordx2 v[41:42], v[43:44], off
	v_mov_b32_e32 v41, s15
	v_addc_co_u32_e32 v16, vcc, v41, v16, vcc
	v_mul_f32_e32 v41, v10, v14
	v_fma_f32 v41, -v13, v9, v41
	v_mul_f32_e64 v13, v10, -v13
	v_fma_f32 v42, -v14, v9, v13
	v_mul_f32_e64 v13, v40, -v42
	v_mul_f32_e32 v14, v40, v41
	v_fmac_f32_e32 v13, v41, v4
	v_fmac_f32_e32 v14, v42, v4
	global_store_dwordx2 v[15:16], v[13:14], off
	v_mov_b32_e32 v13, s7
	v_add_co_u32_e32 v11, vcc, s6, v11
	v_addc_co_u32_e32 v12, vcc, v13, v12, vcc
	global_store_dword v[11:12], v38, off
	s_and_saveexec_b64 s[24:25], s[0:1]
	s_cbranch_execz .LBB208_58
; %bb.57:                               ;   in Loop: Header=BB208_5 Depth=1
	v_mul_f32_e32 v11, v6, v22
	v_mul_f32_e64 v12, v22, -v5
	v_mul_f32_e64 v13, v24, -v8
	v_mul_f32_e32 v14, v7, v24
	v_fma_f32 v11, -v5, v21, v11
	v_fma_f32 v12, -v6, v21, v12
	v_fmac_f32_e32 v13, v7, v23
	v_fmac_f32_e32 v14, v8, v23
	v_add_f32_e32 v13, v11, v13
	v_add_f32_e32 v14, v12, v14
	v_mul_f32_e64 v11, v40, -v14
	v_mul_f32_e32 v12, v40, v13
	v_fmac_f32_e32 v11, v13, v4
	v_fmac_f32_e32 v12, v14, v4
	global_store_dwordx2 v[29:30], v[11:12], off
	v_mul_f32_e32 v11, v6, v32
	v_mul_f32_e64 v12, v32, -v5
	v_mul_f32_e64 v13, v34, -v8
	v_mul_f32_e32 v14, v7, v34
	v_fma_f32 v11, -v5, v31, v11
	v_fma_f32 v12, -v6, v31, v12
	v_fmac_f32_e32 v13, v7, v33
	v_fmac_f32_e32 v14, v8, v33
	v_add_f32_e32 v13, v11, v13
	v_add_f32_e32 v14, v12, v14
	v_mul_f32_e64 v11, v40, -v14
	v_mul_f32_e32 v12, v40, v13
	v_fmac_f32_e32 v11, v13, v4
	v_fmac_f32_e32 v12, v14, v4
	v_mul_f32_e32 v13, v7, v10
	global_store_dwordx2 v[19:20], v[11:12], off
	v_mul_f32_e64 v12, v10, -v8
	v_fmac_f32_e32 v13, v8, v9
	v_fmac_f32_e32 v12, v7, v9
	v_mul_f32_e64 v11, v40, -v13
	v_fmac_f32_e32 v11, v12, v4
	v_mul_f32_e32 v12, v40, v12
	v_fmac_f32_e32 v12, v13, v4
	v_mov_b32_e32 v14, s15
	v_add_co_u32_e32 v13, vcc, s14, v27
	v_addc_co_u32_e32 v14, vcc, v14, v28, vcc
	global_store_dwordx2 v[13:14], v[11:12], off
	v_lshlrev_b64 v[11:12], 2, v[25:26]
	v_mov_b32_e32 v13, s7
	v_add_co_u32_e32 v11, vcc, s6, v11
	v_addc_co_u32_e32 v12, vcc, v13, v12, vcc
	global_store_dword v[11:12], v38, off
.LBB208_58:                             ;   in Loop: Header=BB208_5 Depth=1
	s_or_b64 exec, exec, s[24:25]
	v_mov_b32_e32 v12, 0
	v_mov_b32_e32 v11, 0
	s_and_saveexec_b64 s[24:25], s[2:3]
	s_cbranch_execz .LBB208_60
; %bb.59:                               ;   in Loop: Header=BB208_5 Depth=1
	v_add_u32_e32 v11, v36, v3
	v_ashrrev_i32_e32 v12, 31, v11
	v_lshlrev_b64 v[11:12], 3, v[11:12]
	v_mov_b32_e32 v14, s11
	v_add_co_u32_e32 v13, vcc, s10, v11
	v_addc_co_u32_e32 v14, vcc, v14, v12, vcc
	v_mov_b32_e32 v19, s19
	v_add_co_u32_e32 v11, vcc, s18, v11
	v_addc_co_u32_e32 v12, vcc, v19, v12, vcc
	global_load_dwordx2 v[15:16], v[13:14], off
	v_mul_f32_e32 v19, v6, v18
	global_load_dwordx2 v[11:12], v[11:12], off
	v_mul_f32_e64 v20, v18, -v5
	v_mul_f32_e64 v25, v18, -v8
	v_mul_f32_e32 v26, v7, v18
	v_mul_f32_e64 v27, v8, -v18
	v_mul_f32_e32 v28, v8, v17
	v_fma_f32 v5, -v5, v17, v19
	v_fma_f32 v6, -v6, v17, v20
	v_fmac_f32_e32 v25, v7, v17
	v_fmac_f32_e32 v26, v8, v17
	v_fmac_f32_e32 v27, v17, v7
	v_fmac_f32_e32 v28, v18, v7
	v_mul_f32_e64 v7, v40, -v6
	v_mul_f32_e32 v8, v40, v5
	v_mul_f32_e64 v17, v40, -v26
	v_mul_f32_e32 v18, v40, v25
	;; [unrolled: 2-line block ×3, first 2 shown]
	v_fmac_f32_e32 v7, v5, v4
	v_fmac_f32_e32 v8, v6, v4
	;; [unrolled: 1-line block ×6, first 2 shown]
	v_mul_f32_e32 v5, v8, v22
	v_mul_f32_e64 v6, v22, -v7
	v_mul_f32_e64 v9, v24, -v18
	v_mul_f32_e32 v20, v17, v24
	v_mul_f32_e64 v22, v40, -v10
	v_mul_f32_e32 v24, v40, v19
	v_fma_f32 v5, -v7, v21, v5
	v_fma_f32 v6, -v8, v21, v6
	v_fmac_f32_e32 v9, v17, v23
	v_fmac_f32_e32 v20, v18, v23
	;; [unrolled: 1-line block ×4, first 2 shown]
	v_sub_f32_e32 v4, v5, v9
	v_sub_f32_e32 v5, v6, v20
	s_waitcnt vmcnt(1)
	v_add_f32_e32 v4, v4, v15
	v_add_f32_e32 v5, v5, v16
	s_waitcnt vmcnt(0)
	v_sub_f32_e32 v11, v11, v22
	v_sub_f32_e32 v12, v12, v24
	global_store_dwordx2 v[13:14], v[4:5], off
.LBB208_60:                             ;   in Loop: Header=BB208_5 Depth=1
	s_or_b64 exec, exec, s[24:25]
	v_mov_b32_e32 v8, v12
	v_mov_b32_e32 v7, v11
                                        ; implicit-def: $vgpr13_vgpr14
                                        ; implicit-def: $vgpr5
                                        ; implicit-def: $vgpr19
                                        ; implicit-def: $vgpr24
                                        ; implicit-def: $vgpr25
                                        ; implicit-def: $vgpr11_vgpr12
                                        ; implicit-def: $vgpr15_vgpr16
.LBB208_61:                             ;   in Loop: Header=BB208_5 Depth=1
	s_or_saveexec_b64 s[2:3], s[4:5]
	v_mov_b32_e32 v4, s33
	s_xor_b64 exec, exec, s[2:3]
	s_cbranch_execz .LBB208_4
; %bb.62:                               ;   in Loop: Header=BB208_5 Depth=1
	v_ashrrev_i32_e32 v4, 31, v3
	v_lshlrev_b64 v[9:10], 3, v[3:4]
	v_mov_b32_e32 v4, s13
	v_add_co_u32_e32 v17, vcc, s12, v15
	v_addc_co_u32_e32 v18, vcc, v4, v16, vcc
	v_add_co_u32_e32 v26, vcc, v1, v9
	v_addc_co_u32_e32 v27, vcc, v2, v10, vcc
	global_load_dwordx2 v[21:22], v[17:18], off
	global_load_dwordx2 v[9:10], v[26:27], off
	v_mul_f32_e32 v4, v8, v8
	v_fmac_f32_e32 v4, v7, v7
	v_div_scale_f32 v23, s[4:5], v4, v4, 1.0
	v_div_scale_f32 v28, vcc, 1.0, v4, 1.0
	v_rcp_f32_e32 v29, v23
	v_fma_f32 v30, -v23, v29, 1.0
	v_fmac_f32_e32 v29, v30, v29
	v_mul_f32_e32 v30, v28, v29
	v_fma_f32 v31, -v23, v30, v28
	v_fmac_f32_e32 v30, v31, v29
	v_fma_f32 v23, -v23, v30, v28
	v_div_fmas_f32 v23, v23, v29, v30
	v_fma_f32 v28, 0, v8, v7
	v_fma_f32 v29, v7, 0, -v8
	v_mov_b32_e32 v30, s15
	v_lshlrev_b64 v[7:8], 2, v[11:12]
	v_add_co_u32_e32 v11, vcc, s14, v15
	v_addc_co_u32_e32 v12, vcc, v30, v16, vcc
	v_add_co_u32_e32 v15, vcc, s6, v7
	v_mov_b32_e32 v31, s7
	v_addc_co_u32_e32 v16, vcc, v31, v8, vcc
	v_div_fixup_f32 v7, v23, v4, 1.0
	v_mul_f32_e32 v4, v28, v7
	v_mul_f32_e32 v7, v29, v7
	v_mul_f32_e64 v28, v7, -v14
	v_mul_f32_e32 v29, v7, v13
	v_fmac_f32_e32 v28, v13, v4
	v_fmac_f32_e32 v29, v14, v4
	global_store_dwordx2 v[11:12], v[28:29], off
	s_waitcnt vmcnt(2)
	v_mul_f32_e64 v11, v7, -v22
	v_mul_f32_e32 v12, v7, v21
	s_waitcnt vmcnt(1)
	v_mul_f32_e64 v13, v7, -v10
	v_mul_f32_e32 v14, v7, v9
	v_fmac_f32_e32 v11, v21, v4
	v_fmac_f32_e32 v12, v22, v4
	;; [unrolled: 1-line block ×4, first 2 shown]
	global_store_dwordx2 v[17:18], v[11:12], off
	global_store_dwordx2 v[26:27], v[13:14], off
	global_store_dword v[15:16], v39, off
	s_and_saveexec_b64 s[4:5], s[0:1]
	s_cbranch_execz .LBB208_3
; %bb.63:                               ;   in Loop: Header=BB208_5 Depth=1
	v_add_u32_e32 v11, v35, v3
	v_ashrrev_i32_e32 v12, 31, v11
	v_lshlrev_b64 v[11:12], 3, v[11:12]
	v_mov_b32_e32 v8, s11
	v_add_co_u32_e32 v11, vcc, s10, v11
	v_addc_co_u32_e32 v12, vcc, v8, v12, vcc
	global_load_dwordx2 v[13:14], v[11:12], off
	v_mul_f32_e32 v8, v7, v5
	v_mul_f32_e64 v15, v7, -v6
	v_fmac_f32_e32 v8, v6, v4
	v_fmac_f32_e32 v15, v5, v4
	v_mul_f32_e32 v5, v8, v10
	v_mul_f32_e64 v6, v10, -v15
	v_fma_f32 v5, -v15, v9, v5
	v_fma_f32 v6, -v8, v9, v6
	s_waitcnt vmcnt(0)
	v_add_f32_e32 v5, v5, v13
	v_add_f32_e32 v6, v6, v14
	global_store_dwordx2 v[11:12], v[5:6], off
	s_branch .LBB208_3
.LBB208_64:
	s_or_b64 exec, exec, s[20:21]
.LBB208_65:
	v_subrev_u32_e32 v5, s28, v3
	v_add_u32_e32 v3, v5, v0
	v_ashrrev_i32_e32 v4, 31, v3
	v_lshlrev_b64 v[3:4], 2, v[3:4]
	s_waitcnt lgkmcnt(0)
	v_mov_b32_e32 v6, s7
	v_add_co_u32_e32 v3, vcc, s6, v3
	v_addc_co_u32_e32 v4, vcc, v6, v4, vcc
	s_waitcnt vmcnt(0)
	buffer_wbinvl1_vol
	global_load_dword v3, v[3:4], off
	s_waitcnt vmcnt(0)
	v_mul_lo_u32 v3, v3, s28
	v_sub_u32_e32 v3, v5, v3
	v_cmp_lt_i32_e32 vcc, -1, v3
	s_and_b64 exec, exec, vcc
	s_cbranch_execz .LBB208_72
; %bb.66:
	v_subrev_u32_e32 v11, s28, v0
	s_lshl_b32 s4, s28, 1
	s_mov_b64 s[0:1], 0
	v_mov_b32_e32 v12, s7
	v_mov_b32_e32 v13, s15
	s_branch .LBB208_68
.LBB208_67:                             ;   in Loop: Header=BB208_68 Depth=1
	s_or_b64 exec, exec, s[2:3]
	s_waitcnt vmcnt(0)
	v_lshlrev_b64 v[5:6], 3, v[7:8]
	v_mov_b32_e32 v7, s13
	v_add_co_u32_e32 v5, vcc, s12, v5
	v_addc_co_u32_e32 v6, vcc, v7, v6, vcc
	global_load_dwordx2 v[7:8], v[5:6], off
	v_sub_u32_e32 v3, v3, v9
	v_cmp_gt_i32_e32 vcc, 0, v3
	s_or_b64 s[0:1], vcc, s[0:1]
	s_waitcnt vmcnt(0)
	v_add_f32_e32 v7, v7, v4
	v_add_f32_e32 v8, v14, v8
	global_store_dwordx2 v[5:6], v[7:8], off
	s_andn2_b64 exec, exec, s[0:1]
	s_cbranch_execz .LBB208_72
.LBB208_68:                             ; =>This Inner Loop Header: Depth=1
	v_add_u32_e32 v7, v3, v0
	v_ashrrev_i32_e32 v8, 31, v7
	v_lshlrev_b64 v[4:5], 2, v[7:8]
	v_lshlrev_b64 v[9:10], 3, v[7:8]
	v_add_co_u32_e32 v4, vcc, s6, v4
	v_addc_co_u32_e32 v5, vcc, v12, v5, vcc
	global_load_dword v14, v[4:5], off
	v_add_co_u32_e32 v4, vcc, s14, v9
	v_addc_co_u32_e32 v5, vcc, v13, v10, vcc
	global_load_dwordx2 v[5:6], v[4:5], off
                                        ; implicit-def: $vgpr4
	s_waitcnt vmcnt(1)
	v_cmp_ne_u32_e32 vcc, 1, v14
                                        ; implicit-def: $vgpr14
	s_and_saveexec_b64 s[2:3], vcc
	s_xor_b64 s[2:3], exec, s[2:3]
	s_cbranch_execz .LBB208_70
; %bb.69:                               ;   in Loop: Header=BB208_68 Depth=1
	v_add_u32_e32 v7, v35, v3
	v_ashrrev_i32_e32 v8, 31, v7
	v_lshlrev_b64 v[7:8], 3, v[7:8]
	v_mov_b32_e32 v4, s11
	v_add_co_u32_e32 v14, vcc, s10, v7
	v_addc_co_u32_e32 v15, vcc, v4, v8, vcc
	v_ashrrev_i32_e32 v4, 31, v3
	v_lshlrev_b64 v[18:19], 3, v[3:4]
	v_mov_b32_e32 v4, s13
	v_add_co_u32_e32 v20, vcc, s12, v7
	v_addc_co_u32_e32 v21, vcc, v4, v8, vcc
	global_load_dwordx2 v[16:17], v[14:15], off
	v_add_co_u32_e32 v18, vcc, v1, v18
	global_load_dwordx2 v[22:23], v[20:21], off
	v_addc_co_u32_e32 v19, vcc, v2, v19, vcc
	global_load_dwordx2 v[24:25], v[18:19], off
	v_add_co_u32_e32 v9, vcc, s12, v9
	v_addc_co_u32_e32 v10, vcc, v4, v10, vcc
	global_load_dwordx2 v[26:27], v[9:10], off
	v_add_u32_e32 v7, v11, v3
	v_ashrrev_i32_e32 v8, 31, v7
	v_lshlrev_b64 v[28:29], 3, v[7:8]
	v_mov_b32_e32 v4, s15
	v_add_co_u32_e32 v30, vcc, s14, v28
	v_addc_co_u32_e32 v31, vcc, v4, v29, vcc
	v_mov_b32_e32 v32, s11
	global_load_dwordx2 v[30:31], v[30:31], off
	s_waitcnt vmcnt(4)
	v_mul_f32_e32 v4, v6, v17
	v_mul_f32_e64 v17, v17, -v5
	v_fma_f32 v4, -v5, v16, v4
	s_waitcnt vmcnt(3)
	v_mul_f32_e32 v33, v6, v23
	v_fma_f32 v16, -v6, v16, v17
	v_mul_f32_e64 v23, v23, -v5
	v_fma_f32 v17, -v5, v22, v33
	s_waitcnt vmcnt(2)
	v_add_f32_e32 v4, v24, v4
	v_add_f32_e32 v5, v16, v25
	v_fma_f32 v6, -v6, v22, v23
	global_store_dwordx2 v[18:19], v[4:5], off
	s_waitcnt vmcnt(2)
	v_add_f32_e32 v16, v26, v17
	v_add_f32_e32 v17, v6, v27
	global_load_dwordx2 v[4:5], v[14:15], off
	v_add_co_u32_e32 v14, vcc, s10, v28
	global_store_dwordx2 v[9:10], v[16:17], off
	v_addc_co_u32_e32 v15, vcc, v32, v29, vcc
	global_load_dwordx2 v[9:10], v[20:21], off
	global_load_dwordx2 v[16:17], v[14:15], off
	s_waitcnt vmcnt(3)
	v_mul_f32_e32 v6, v31, v5
	v_mul_f32_e64 v5, v5, -v30
	v_fma_f32 v6, -v30, v4, v6
	v_fma_f32 v19, -v31, v4, v5
	s_waitcnt vmcnt(1)
	v_mul_f32_e32 v18, v31, v10
	v_mul_f32_e64 v10, v10, -v30
	s_waitcnt vmcnt(0)
	v_add_f32_e32 v5, v16, v6
	v_add_f32_e32 v6, v19, v17
	v_fma_f32 v4, -v30, v9, v18
	global_store_dwordx2 v[14:15], v[5:6], off
	v_fma_f32 v14, -v31, v9, v10
                                        ; implicit-def: $vgpr5_vgpr6
.LBB208_70:                             ;   in Loop: Header=BB208_68 Depth=1
	s_or_saveexec_b64 s[2:3], s[2:3]
	v_mov_b32_e32 v9, s4
	s_xor_b64 exec, exec, s[2:3]
	s_cbranch_execz .LBB208_67
; %bb.71:                               ;   in Loop: Header=BB208_68 Depth=1
	v_add_u32_e32 v9, v35, v3
	v_ashrrev_i32_e32 v10, 31, v9
	v_lshlrev_b64 v[9:10], 3, v[9:10]
	v_mov_b32_e32 v4, s11
	v_add_co_u32_e32 v14, vcc, s10, v9
	v_addc_co_u32_e32 v15, vcc, v4, v10, vcc
	v_ashrrev_i32_e32 v4, 31, v3
	v_mov_b32_e32 v16, s13
	v_add_co_u32_e32 v9, vcc, s12, v9
	v_addc_co_u32_e32 v10, vcc, v16, v10, vcc
	v_lshlrev_b64 v[16:17], 3, v[3:4]
	global_load_dwordx2 v[14:15], v[14:15], off
	v_add_co_u32_e32 v16, vcc, v1, v16
	global_load_dwordx2 v[9:10], v[9:10], off
	v_addc_co_u32_e32 v17, vcc, v2, v17, vcc
	global_load_dwordx2 v[18:19], v[16:17], off
	s_waitcnt vmcnt(2)
	v_mul_f32_e32 v4, v6, v15
	v_mul_f32_e64 v15, v15, -v5
	v_fma_f32 v21, -v5, v14, v4
	s_waitcnt vmcnt(1)
	v_mul_f32_e32 v20, v6, v10
	v_mul_f32_e64 v10, v10, -v5
	v_fma_f32 v15, -v6, v14, v15
	v_fma_f32 v4, -v5, v9, v20
	;; [unrolled: 1-line block ×3, first 2 shown]
	s_waitcnt vmcnt(0)
	v_add_f32_e32 v5, v18, v21
	v_add_f32_e32 v6, v15, v19
	v_mov_b32_e32 v9, s28
	global_store_dwordx2 v[16:17], v[5:6], off
	s_branch .LBB208_67
.LBB208_72:
	s_endpgm
	.section	.rodata,"a",@progbits
	.p2align	6, 0x0
	.amdhsa_kernel _ZN9rocsparseL18gtsv_LBM_wv_kernelILj256ELj8E21rocsparse_complex_numIfEEEviiiPKT1_S5_S5_PS3_S6_S6_Pi
		.amdhsa_group_segment_fixed_size 0
		.amdhsa_private_segment_fixed_size 0
		.amdhsa_kernarg_size 72
		.amdhsa_user_sgpr_count 6
		.amdhsa_user_sgpr_private_segment_buffer 1
		.amdhsa_user_sgpr_dispatch_ptr 0
		.amdhsa_user_sgpr_queue_ptr 0
		.amdhsa_user_sgpr_kernarg_segment_ptr 1
		.amdhsa_user_sgpr_dispatch_id 0
		.amdhsa_user_sgpr_flat_scratch_init 0
		.amdhsa_user_sgpr_private_segment_size 0
		.amdhsa_uses_dynamic_stack 0
		.amdhsa_system_sgpr_private_segment_wavefront_offset 0
		.amdhsa_system_sgpr_workgroup_id_x 1
		.amdhsa_system_sgpr_workgroup_id_y 0
		.amdhsa_system_sgpr_workgroup_id_z 0
		.amdhsa_system_sgpr_workgroup_info 0
		.amdhsa_system_vgpr_workitem_id 0
		.amdhsa_next_free_vgpr 47
		.amdhsa_next_free_sgpr 35
		.amdhsa_reserve_vcc 1
		.amdhsa_reserve_flat_scratch 0
		.amdhsa_float_round_mode_32 0
		.amdhsa_float_round_mode_16_64 0
		.amdhsa_float_denorm_mode_32 3
		.amdhsa_float_denorm_mode_16_64 3
		.amdhsa_dx10_clamp 1
		.amdhsa_ieee_mode 1
		.amdhsa_fp16_overflow 0
		.amdhsa_exception_fp_ieee_invalid_op 0
		.amdhsa_exception_fp_denorm_src 0
		.amdhsa_exception_fp_ieee_div_zero 0
		.amdhsa_exception_fp_ieee_overflow 0
		.amdhsa_exception_fp_ieee_underflow 0
		.amdhsa_exception_fp_ieee_inexact 0
		.amdhsa_exception_int_div_zero 0
	.end_amdhsa_kernel
	.section	.text._ZN9rocsparseL18gtsv_LBM_wv_kernelILj256ELj8E21rocsparse_complex_numIfEEEviiiPKT1_S5_S5_PS3_S6_S6_Pi,"axG",@progbits,_ZN9rocsparseL18gtsv_LBM_wv_kernelILj256ELj8E21rocsparse_complex_numIfEEEviiiPKT1_S5_S5_PS3_S6_S6_Pi,comdat
.Lfunc_end208:
	.size	_ZN9rocsparseL18gtsv_LBM_wv_kernelILj256ELj8E21rocsparse_complex_numIfEEEviiiPKT1_S5_S5_PS3_S6_S6_Pi, .Lfunc_end208-_ZN9rocsparseL18gtsv_LBM_wv_kernelILj256ELj8E21rocsparse_complex_numIfEEEviiiPKT1_S5_S5_PS3_S6_S6_Pi
                                        ; -- End function
	.set _ZN9rocsparseL18gtsv_LBM_wv_kernelILj256ELj8E21rocsparse_complex_numIfEEEviiiPKT1_S5_S5_PS3_S6_S6_Pi.num_vgpr, 47
	.set _ZN9rocsparseL18gtsv_LBM_wv_kernelILj256ELj8E21rocsparse_complex_numIfEEEviiiPKT1_S5_S5_PS3_S6_S6_Pi.num_agpr, 0
	.set _ZN9rocsparseL18gtsv_LBM_wv_kernelILj256ELj8E21rocsparse_complex_numIfEEEviiiPKT1_S5_S5_PS3_S6_S6_Pi.numbered_sgpr, 35
	.set _ZN9rocsparseL18gtsv_LBM_wv_kernelILj256ELj8E21rocsparse_complex_numIfEEEviiiPKT1_S5_S5_PS3_S6_S6_Pi.num_named_barrier, 0
	.set _ZN9rocsparseL18gtsv_LBM_wv_kernelILj256ELj8E21rocsparse_complex_numIfEEEviiiPKT1_S5_S5_PS3_S6_S6_Pi.private_seg_size, 0
	.set _ZN9rocsparseL18gtsv_LBM_wv_kernelILj256ELj8E21rocsparse_complex_numIfEEEviiiPKT1_S5_S5_PS3_S6_S6_Pi.uses_vcc, 1
	.set _ZN9rocsparseL18gtsv_LBM_wv_kernelILj256ELj8E21rocsparse_complex_numIfEEEviiiPKT1_S5_S5_PS3_S6_S6_Pi.uses_flat_scratch, 0
	.set _ZN9rocsparseL18gtsv_LBM_wv_kernelILj256ELj8E21rocsparse_complex_numIfEEEviiiPKT1_S5_S5_PS3_S6_S6_Pi.has_dyn_sized_stack, 0
	.set _ZN9rocsparseL18gtsv_LBM_wv_kernelILj256ELj8E21rocsparse_complex_numIfEEEviiiPKT1_S5_S5_PS3_S6_S6_Pi.has_recursion, 0
	.set _ZN9rocsparseL18gtsv_LBM_wv_kernelILj256ELj8E21rocsparse_complex_numIfEEEviiiPKT1_S5_S5_PS3_S6_S6_Pi.has_indirect_call, 0
	.section	.AMDGPU.csdata,"",@progbits
; Kernel info:
; codeLenInByte = 6088
; TotalNumSgprs: 39
; NumVgprs: 47
; ScratchSize: 0
; MemoryBound: 0
; FloatMode: 240
; IeeeMode: 1
; LDSByteSize: 0 bytes/workgroup (compile time only)
; SGPRBlocks: 4
; VGPRBlocks: 11
; NumSGPRsForWavesPerEU: 39
; NumVGPRsForWavesPerEU: 47
; Occupancy: 5
; WaveLimiterHint : 0
; COMPUTE_PGM_RSRC2:SCRATCH_EN: 0
; COMPUTE_PGM_RSRC2:USER_SGPR: 6
; COMPUTE_PGM_RSRC2:TRAP_HANDLER: 0
; COMPUTE_PGM_RSRC2:TGID_X_EN: 1
; COMPUTE_PGM_RSRC2:TGID_Y_EN: 0
; COMPUTE_PGM_RSRC2:TGID_Z_EN: 0
; COMPUTE_PGM_RSRC2:TIDIG_COMP_CNT: 0
	.section	.text._ZN9rocsparseL19gtsv_LBM_rhs_kernelILj256ELj8ELj8E21rocsparse_complex_numIfEEEviiiPKT2_S5_S5_PS3_S5_PKi,"axG",@progbits,_ZN9rocsparseL19gtsv_LBM_rhs_kernelILj256ELj8ELj8E21rocsparse_complex_numIfEEEviiiPKT2_S5_S5_PS3_S5_PKi,comdat
	.globl	_ZN9rocsparseL19gtsv_LBM_rhs_kernelILj256ELj8ELj8E21rocsparse_complex_numIfEEEviiiPKT2_S5_S5_PS3_S5_PKi ; -- Begin function _ZN9rocsparseL19gtsv_LBM_rhs_kernelILj256ELj8ELj8E21rocsparse_complex_numIfEEEviiiPKT2_S5_S5_PS3_S5_PKi
	.p2align	8
	.type	_ZN9rocsparseL19gtsv_LBM_rhs_kernelILj256ELj8ELj8E21rocsparse_complex_numIfEEEviiiPKT2_S5_S5_PS3_S5_PKi,@function
_ZN9rocsparseL19gtsv_LBM_rhs_kernelILj256ELj8ELj8E21rocsparse_complex_numIfEEEviiiPKT2_S5_S5_PS3_S5_PKi: ; @_ZN9rocsparseL19gtsv_LBM_rhs_kernelILj256ELj8ELj8E21rocsparse_complex_numIfEEEviiiPKT2_S5_S5_PS3_S5_PKi
; %bb.0:
	s_load_dword s23, s[4:5], 0x0
	v_lshl_or_b32 v0, s6, 8, v0
	s_waitcnt lgkmcnt(0)
	s_lshr_b32 s22, s23, 3
	v_cmp_gt_i32_e32 vcc, s22, v0
	s_and_saveexec_b64 s[0:1], vcc
	s_cbranch_execz .LBB209_29
; %bb.1:
	s_load_dwordx4 s[8:11], s[4:5], 0x28
	s_load_dwordx2 s[16:17], s[4:5], 0x38
	s_cmp_lt_i32 s23, 1
	v_add_u32_e32 v25, s22, v0
	s_mul_i32 s24, s7, s23
	s_cbranch_scc1 .LBB209_21
; %bb.2:
	s_load_dwordx4 s[12:15], s[4:5], 0x10
	s_load_dwordx2 s[6:7], s[4:5], 0x20
	v_ashrrev_i32_e32 v1, 31, v0
	v_lshlrev_b64 v[1:2], 3, v[0:1]
	s_lshl_b32 s28, s24, 3
	s_waitcnt lgkmcnt(0)
	v_mov_b32_e32 v3, s15
	v_add_co_u32_e32 v1, vcc, s14, v1
	v_addc_co_u32_e32 v2, vcc, v3, v2, vcc
	global_load_dwordx2 v[3:4], v[1:2], off
	s_add_i32 s29, s28, s23
	s_add_i32 s30, s29, s23
	;; [unrolled: 1-line block ×6, first 2 shown]
	s_mul_i32 s25, s22, 7
	s_mul_i32 s26, s22, 6
	s_lshl_b32 s27, s22, 1
	v_add_u32_e32 v26, s22, v25
	s_add_i32 s36, s35, s23
	v_mov_b32_e32 v2, 0
	s_mov_b64 s[18:19], 0
	v_mov_b32_e32 v28, s7
	v_mov_b32_e32 v27, 0
	s_branch .LBB209_5
.LBB209_3:                              ;   in Loop: Header=BB209_5 Depth=1
	s_or_b64 exec, exec, s[4:5]
	v_fmac_f32_e32 v30, v5, v7
	v_fmac_f32_e32 v29, v6, v7
	v_mul_f32_e64 v1, v31, -v29
	v_mul_f32_e32 v4, v31, v30
	v_fmac_f32_e32 v1, v30, v8
	v_fmac_f32_e32 v4, v29, v8
	v_sub_f32_e32 v3, v9, v1
	v_sub_f32_e32 v4, v10, v4
	v_mov_b32_e32 v8, s22
.LBB209_4:                              ;   in Loop: Header=BB209_5 Depth=1
	s_or_b64 exec, exec, s[2:3]
	v_add_u32_e32 v27, v8, v27
	v_cmp_le_i32_e32 vcc, s23, v27
	s_or_b64 s[18:19], vcc, s[18:19]
	s_andn2_b64 exec, exec, s[18:19]
	s_cbranch_execz .LBB209_20
.LBB209_5:                              ; =>This Inner Loop Header: Depth=1
	v_add_u32_e32 v15, v27, v0
	v_ashrrev_i32_e32 v16, 31, v15
	v_lshlrev_b64 v[5:6], 3, v[15:16]
	v_cmp_gt_u32_e64 s[0:1], s25, v27
	v_add_co_u32_e32 v5, vcc, s6, v5
	v_addc_co_u32_e32 v6, vcc, v28, v6, vcc
	global_load_dwordx2 v[7:8], v[5:6], off
	v_mov_b32_e32 v5, 0
	v_mov_b32_e32 v6, 0
	s_and_saveexec_b64 s[2:3], s[0:1]
	s_cbranch_execz .LBB209_7
; %bb.6:                                ;   in Loop: Header=BB209_5 Depth=1
	v_add_u32_e32 v5, v25, v27
	v_ashrrev_i32_e32 v6, 31, v5
	v_lshlrev_b64 v[5:6], 3, v[5:6]
	v_mov_b32_e32 v1, s13
	v_add_co_u32_e32 v5, vcc, s12, v5
	v_addc_co_u32_e32 v6, vcc, v1, v6, vcc
	global_load_dwordx2 v[5:6], v[5:6], off
.LBB209_7:                              ;   in Loop: Header=BB209_5 Depth=1
	s_or_b64 exec, exec, s[2:3]
	v_mov_b32_e32 v11, 0
	v_mov_b32_e32 v9, 0
	;; [unrolled: 1-line block ×3, first 2 shown]
	s_and_saveexec_b64 s[2:3], s[0:1]
	s_cbranch_execz .LBB209_9
; %bb.8:                                ;   in Loop: Header=BB209_5 Depth=1
	v_add_u32_e32 v9, v25, v27
	v_ashrrev_i32_e32 v10, 31, v9
	v_lshlrev_b64 v[9:10], 3, v[9:10]
	v_mov_b32_e32 v1, s15
	v_add_co_u32_e32 v9, vcc, s14, v9
	v_addc_co_u32_e32 v10, vcc, v1, v10, vcc
	global_load_dwordx2 v[9:10], v[9:10], off
.LBB209_9:                              ;   in Loop: Header=BB209_5 Depth=1
	s_or_b64 exec, exec, s[2:3]
	v_mov_b32_e32 v12, 0
	s_and_saveexec_b64 s[2:3], s[0:1]
	s_cbranch_execz .LBB209_11
; %bb.10:                               ;   in Loop: Header=BB209_5 Depth=1
	v_add_u32_e32 v11, v25, v27
	v_ashrrev_i32_e32 v12, 31, v11
	v_lshlrev_b64 v[11:12], 3, v[11:12]
	v_mov_b32_e32 v1, s7
	v_add_co_u32_e32 v11, vcc, s6, v11
	v_addc_co_u32_e32 v12, vcc, v1, v12, vcc
	global_load_dwordx2 v[11:12], v[11:12], off
.LBB209_11:                             ;   in Loop: Header=BB209_5 Depth=1
	s_or_b64 exec, exec, s[2:3]
	v_cmp_gt_u32_e64 s[2:3], s26, v27
	v_mov_b32_e32 v13, 0
	v_mov_b32_e32 v14, 0
	s_and_saveexec_b64 s[4:5], s[2:3]
	s_cbranch_execz .LBB209_13
; %bb.12:                               ;   in Loop: Header=BB209_5 Depth=1
	v_add_u32_e32 v13, v26, v27
	v_ashrrev_i32_e32 v14, 31, v13
	v_lshlrev_b64 v[13:14], 3, v[13:14]
	v_mov_b32_e32 v1, s13
	v_add_co_u32_e32 v13, vcc, s12, v13
	v_addc_co_u32_e32 v14, vcc, v1, v14, vcc
	global_load_dwordx2 v[13:14], v[13:14], off
.LBB209_13:                             ;   in Loop: Header=BB209_5 Depth=1
	s_or_b64 exec, exec, s[4:5]
	v_lshlrev_b64 v[16:17], 2, v[15:16]
	v_mov_b32_e32 v1, s17
	v_add_co_u32_e32 v16, vcc, s16, v16
	v_addc_co_u32_e32 v17, vcc, v1, v17, vcc
	global_load_dword v20, v[16:17], off
	v_cmp_ne_u32_e32 vcc, s25, v27
	s_waitcnt vmcnt(1)
	v_mul_f32_e64 v30, v8, -v6
	v_mul_f32_e32 v29, v5, v8
	v_add_u32_e32 v1, s28, v15
	v_add_u32_e32 v23, s29, v15
	;; [unrolled: 1-line block ×8, first 2 shown]
	s_waitcnt vmcnt(0)
	v_cmp_ne_u32_e64 s[4:5], 1, v20
	s_and_b64 s[4:5], vcc, s[4:5]
	s_and_saveexec_b64 s[20:21], s[4:5]
	s_xor_b64 s[4:5], exec, s[20:21]
	s_cbranch_execz .LBB209_17
; %bb.14:                               ;   in Loop: Header=BB209_5 Depth=1
	v_mul_f32_e32 v22, v3, v10
	v_mul_f32_e64 v20, v10, -v4
	v_fmac_f32_e32 v22, v4, v9
	v_fmac_f32_e32 v29, v6, v7
	;; [unrolled: 1-line block ×4, first 2 shown]
	v_sub_f32_e32 v33, v22, v29
	v_sub_f32_e32 v20, v20, v30
	v_mul_f32_e32 v35, v33, v33
	v_fmac_f32_e32 v35, v20, v20
	v_div_scale_f32 v31, s[20:21], v35, v35, 1.0
	v_div_scale_f32 v32, vcc, 1.0, v35, 1.0
	v_lshlrev_b64 v[29:30], 3, v[1:2]
	v_mov_b32_e32 v24, v2
	v_mov_b32_e32 v1, s9
	v_lshlrev_b64 v[23:24], 3, v[23:24]
	v_mov_b32_e32 v36, s9
	v_mov_b32_e32 v22, v2
	;; [unrolled: 1-line block ×3, first 2 shown]
	v_rcp_f32_e32 v34, v31
	v_fma_f32 v37, -v31, v34, 1.0
	v_fmac_f32_e32 v34, v37, v34
	v_mul_f32_e32 v37, v32, v34
	v_fma_f32 v38, -v31, v37, v32
	v_fmac_f32_e32 v37, v38, v34
	v_fma_f32 v31, -v31, v37, v32
	v_div_fmas_f32 v39, v31, v34, v37
	v_add_co_u32_e32 v29, vcc, s8, v29
	v_addc_co_u32_e32 v30, vcc, v1, v30, vcc
	v_add_co_u32_e32 v23, vcc, s8, v23
	v_fma_f32 v1, 0, v33, v20
	v_fma_f32 v20, v20, 0, -v33
	v_addc_co_u32_e32 v24, vcc, v36, v24, vcc
	global_load_dwordx2 v[33:34], v[29:30], off
	global_load_dwordx2 v[37:38], v[23:24], off
	v_lshlrev_b64 v[31:32], 3, v[21:22]
	v_add_co_u32_e32 v31, vcc, s8, v31
	v_div_fixup_f32 v22, v39, v35, 1.0
	v_mul_f32_e32 v21, v1, v22
	v_mul_f32_e32 v22, v20, v22
	v_mov_b32_e32 v20, v2
	v_lshlrev_b64 v[19:20], 3, v[19:20]
	v_addc_co_u32_e32 v32, vcc, v40, v32, vcc
	v_add_co_u32_e32 v42, vcc, s8, v19
	v_mov_b32_e32 v19, v2
	v_mov_b32_e32 v1, s9
	v_lshlrev_b64 v[18:19], 3, v[18:19]
	v_addc_co_u32_e32 v43, vcc, v1, v20, vcc
	v_add_co_u32_e32 v53, vcc, s8, v18
	v_add_u32_e32 v39, v25, v27
	v_addc_co_u32_e32 v54, vcc, v1, v19, vcc
	v_add_u32_e32 v1, s28, v39
	v_lshlrev_b64 v[19:20], 3, v[1:2]
	v_mov_b32_e32 v18, v2
	v_mov_b32_e32 v1, s9
	v_add_co_u32_e32 v55, vcc, s8, v19
	v_lshlrev_b64 v[17:18], 3, v[17:18]
	v_addc_co_u32_e32 v56, vcc, v1, v20, vcc
	v_add_co_u32_e32 v57, vcc, s8, v17
	v_mov_b32_e32 v17, v2
	v_lshlrev_b64 v[16:17], 3, v[16:17]
	v_addc_co_u32_e32 v58, vcc, v1, v18, vcc
	v_add_co_u32_e32 v59, vcc, s8, v16
	v_addc_co_u32_e32 v60, vcc, v1, v17, vcc
	v_add_u32_e32 v1, s29, v39
	v_lshlrev_b64 v[17:18], 3, v[1:2]
	v_mov_b32_e32 v16, v2
	v_lshlrev_b64 v[15:16], 3, v[15:16]
	v_mov_b32_e32 v1, s9
	v_add_co_u32_e32 v61, vcc, s8, v17
	v_addc_co_u32_e32 v62, vcc, v1, v18, vcc
	v_mov_b32_e32 v35, s9
	v_add_co_u32_e32 v63, vcc, s8, v15
	v_add_u32_e32 v1, s30, v39
	v_addc_co_u32_e32 v64, vcc, v35, v16, vcc
	v_lshlrev_b64 v[15:16], 3, v[1:2]
	v_mov_b32_e32 v1, s9
	v_add_co_u32_e32 v65, vcc, s8, v15
	global_load_dwordx2 v[19:20], v[55:56], off
	global_load_dwordx2 v[46:47], v[31:32], off
	;; [unrolled: 1-line block ×3, first 2 shown]
	v_addc_co_u32_e32 v66, vcc, v1, v16, vcc
	v_add_u32_e32 v1, s31, v39
	v_lshlrev_b64 v[15:16], 3, v[1:2]
	global_load_dwordx2 v[17:18], v[61:62], off
	v_mov_b32_e32 v1, s9
	v_add_co_u32_e32 v67, vcc, s8, v15
	v_addc_co_u32_e32 v68, vcc, v1, v16, vcc
	v_add_u32_e32 v1, s33, v39
	v_lshlrev_b64 v[35:36], 3, v[1:2]
	global_load_dwordx2 v[15:16], v[65:66], off
	global_load_dwordx2 v[75:76], v[67:68], off
	v_mov_b32_e32 v1, s9
	v_add_co_u32_e32 v69, vcc, s8, v35
	v_addc_co_u32_e32 v70, vcc, v1, v36, vcc
	v_add_u32_e32 v1, s34, v39
	v_lshlrev_b64 v[35:36], 3, v[1:2]
	v_mov_b32_e32 v1, s9
	v_add_co_u32_e32 v71, vcc, s8, v35
	v_addc_co_u32_e32 v72, vcc, v1, v36, vcc
	v_add_u32_e32 v1, s35, v39
	v_lshlrev_b64 v[35:36], 3, v[1:2]
	s_waitcnt vmcnt(7)
	v_mul_f32_e64 v45, v22, -v34
	v_mul_f32_e32 v48, v22, v33
	v_mov_b32_e32 v1, s9
	v_add_co_u32_e32 v77, vcc, s8, v35
	v_fmac_f32_e32 v45, v33, v21
	v_fmac_f32_e32 v48, v34, v21
	global_load_dwordx2 v[33:34], v[53:54], off
	global_load_dwordx2 v[81:82], v[69:70], off
	v_addc_co_u32_e32 v78, vcc, v1, v36, vcc
	v_add_u32_e32 v1, s36, v39
	v_lshlrev_b64 v[35:36], 3, v[1:2]
	v_mov_b32_e32 v1, s9
	v_add_co_u32_e32 v79, vcc, s8, v35
	v_addc_co_u32_e32 v80, vcc, v1, v36, vcc
	global_load_dwordx2 v[83:84], v[57:58], off
	global_load_dwordx2 v[85:86], v[59:60], off
	;; [unrolled: 1-line block ×6, first 2 shown]
	v_mul_f32_e64 v1, v48, -v10
	v_fmac_f32_e32 v1, v9, v45
	s_waitcnt vmcnt(14)
	v_mul_f32_e32 v39, v22, v37
	v_mul_f32_e64 v36, v22, -v38
	v_fmac_f32_e32 v39, v38, v21
	v_fmac_f32_e32 v36, v37, v21
	s_waitcnt vmcnt(13)
	v_mul_f32_e32 v52, v22, v19
	v_mul_f32_e64 v51, v22, -v20
	v_fmac_f32_e32 v52, v20, v21
	v_fmac_f32_e32 v51, v19, v21
	v_mul_f32_e32 v20, v9, v48
	v_mul_f32_e64 v19, v52, -v8
	v_mul_f32_e32 v35, v52, v7
	v_fmac_f32_e32 v20, v10, v45
	v_fmac_f32_e32 v19, v7, v51
	;; [unrolled: 1-line block ×3, first 2 shown]
	s_waitcnt vmcnt(10)
	v_mul_f32_e32 v41, v22, v17
	v_sub_f32_e32 v19, v1, v19
	v_sub_f32_e32 v20, v20, v35
	v_mul_f32_e64 v38, v22, -v18
	v_fmac_f32_e32 v41, v18, v21
	global_store_dwordx2 v[29:30], v[19:20], off
	v_fmac_f32_e32 v38, v17, v21
	v_mul_f32_e64 v1, v39, -v10
	v_mul_f32_e32 v18, v9, v39
	v_mul_f32_e64 v17, v41, -v8
	v_mul_f32_e32 v19, v41, v7
	v_fmac_f32_e32 v1, v9, v36
	v_fmac_f32_e32 v18, v10, v36
	;; [unrolled: 1-line block ×4, first 2 shown]
	v_mul_f32_e32 v49, v22, v46
	s_waitcnt vmcnt(10)
	v_mul_f32_e32 v50, v22, v15
	v_sub_f32_e32 v17, v1, v17
	v_sub_f32_e32 v18, v18, v19
	v_mul_f32_e64 v44, v22, -v47
	v_fmac_f32_e32 v49, v47, v21
	v_mul_f32_e64 v47, v22, -v16
	v_fmac_f32_e32 v50, v16, v21
	global_store_dwordx2 v[23:24], v[17:18], off
	v_fmac_f32_e32 v44, v46, v21
	v_fmac_f32_e32 v47, v15, v21
	v_mul_f32_e64 v1, v49, -v10
	v_mul_f32_e32 v16, v9, v49
	v_mul_f32_e64 v15, v50, -v8
	v_mul_f32_e32 v17, v50, v7
	v_fmac_f32_e32 v1, v9, v44
	v_fmac_f32_e32 v16, v10, v44
	;; [unrolled: 1-line block ×4, first 2 shown]
	v_sub_f32_e32 v15, v1, v15
	v_sub_f32_e32 v16, v16, v17
	v_mul_f32_e32 v35, v22, v73
	s_waitcnt vmcnt(10)
	v_mul_f32_e32 v37, v22, v75
	global_store_dwordx2 v[31:32], v[15:16], off
	v_mul_f32_e64 v30, v22, -v74
	v_fmac_f32_e32 v35, v74, v21
	v_mul_f32_e64 v32, v22, -v76
	v_fmac_f32_e32 v37, v76, v21
	v_fmac_f32_e32 v30, v73, v21
	v_fmac_f32_e32 v32, v75, v21
	v_mul_f32_e64 v1, v35, -v10
	v_mul_f32_e32 v16, v9, v35
	v_mul_f32_e64 v15, v37, -v8
	v_mul_f32_e32 v17, v37, v7
	v_fmac_f32_e32 v1, v9, v30
	v_fmac_f32_e32 v16, v10, v30
	;; [unrolled: 1-line block ×4, first 2 shown]
	v_sub_f32_e32 v15, v1, v15
	v_sub_f32_e32 v16, v16, v17
	global_store_dwordx2 v[42:43], v[15:16], off
	s_waitcnt vmcnt(11)
	v_mul_f32_e32 v43, v22, v33
	s_waitcnt vmcnt(10)
	v_mul_f32_e32 v46, v22, v81
	v_mul_f32_e64 v40, v22, -v34
	v_fmac_f32_e32 v43, v34, v21
	v_mul_f32_e64 v42, v22, -v82
	v_fmac_f32_e32 v46, v82, v21
	v_fmac_f32_e32 v40, v33, v21
	;; [unrolled: 1-line block ×3, first 2 shown]
	v_mul_f32_e64 v1, v43, -v10
	v_mul_f32_e32 v16, v9, v43
	v_mul_f32_e64 v15, v46, -v8
	v_mul_f32_e32 v17, v46, v7
	v_fmac_f32_e32 v1, v9, v40
	v_fmac_f32_e32 v16, v10, v40
	;; [unrolled: 1-line block ×4, first 2 shown]
	s_waitcnt vmcnt(9)
	v_mul_f32_e32 v33, v22, v83
	s_waitcnt vmcnt(6)
	v_mul_f32_e32 v34, v22, v89
	v_sub_f32_e32 v15, v1, v15
	v_sub_f32_e32 v16, v16, v17
	v_mul_f32_e64 v29, v22, -v84
	v_fmac_f32_e32 v33, v84, v21
	v_mul_f32_e64 v31, v22, -v90
	v_fmac_f32_e32 v34, v90, v21
	global_store_dwordx2 v[53:54], v[15:16], off
	v_fmac_f32_e32 v29, v83, v21
	v_fmac_f32_e32 v31, v89, v21
	v_mul_f32_e64 v1, v33, -v10
	v_mul_f32_e32 v16, v9, v33
	v_mul_f32_e64 v15, v34, -v8
	v_mul_f32_e32 v17, v34, v7
	v_fmac_f32_e32 v1, v9, v29
	v_fmac_f32_e32 v16, v10, v29
	;; [unrolled: 1-line block ×4, first 2 shown]
	v_mul_f32_e32 v23, v22, v85
	s_waitcnt vmcnt(6)
	v_mul_f32_e32 v24, v22, v91
	v_sub_f32_e32 v15, v1, v15
	v_sub_f32_e32 v16, v16, v17
	v_mul_f32_e64 v17, v22, -v86
	v_fmac_f32_e32 v23, v86, v21
	v_mul_f32_e64 v19, v22, -v92
	v_fmac_f32_e32 v24, v92, v21
	global_store_dwordx2 v[57:58], v[15:16], off
	v_fmac_f32_e32 v17, v85, v21
	v_fmac_f32_e32 v19, v91, v21
	v_mul_f32_e64 v1, v23, -v10
	v_mul_f32_e32 v16, v9, v23
	v_mul_f32_e64 v15, v24, -v8
	v_mul_f32_e32 v18, v24, v7
	v_fmac_f32_e32 v1, v9, v17
	v_fmac_f32_e32 v16, v10, v17
	v_fmac_f32_e32 v15, v7, v19
	v_fmac_f32_e32 v18, v8, v19
	v_sub_f32_e32 v15, v1, v15
	v_sub_f32_e32 v16, v16, v18
	v_mul_f32_e32 v18, v22, v87
	global_store_dwordx2 v[59:60], v[15:16], off
	v_mul_f32_e64 v15, v22, -v88
	v_fmac_f32_e32 v18, v88, v21
	v_fmac_f32_e32 v15, v87, v21
	s_waitcnt vmcnt(7)
	v_mul_f32_e32 v20, v22, v93
	v_mul_f32_e64 v1, v18, -v10
	v_mul_f32_e64 v16, v22, -v94
	v_fmac_f32_e32 v20, v94, v21
	v_fmac_f32_e32 v1, v9, v15
	v_mul_f32_e32 v9, v9, v18
	v_fmac_f32_e32 v16, v93, v21
	v_fmac_f32_e32 v9, v10, v15
	v_mul_f32_e64 v10, v20, -v8
	v_mul_f32_e32 v53, v20, v7
	v_fmac_f32_e32 v10, v7, v16
	v_fmac_f32_e32 v53, v8, v16
	v_sub_f32_e32 v7, v1, v10
	v_sub_f32_e32 v8, v9, v53
	global_store_dwordx2 v[63:64], v[7:8], off
	v_mul_f32_e64 v7, v48, -v5
	v_mul_f32_e32 v1, v6, v48
	v_fma_f32 v8, -v6, v45, v7
	v_mul_f32_e64 v7, v52, -v4
	v_mul_f32_e32 v9, v3, v52
	v_fma_f32 v1, -v5, v45, v1
	v_fmac_f32_e32 v7, v3, v51
	v_fmac_f32_e32 v9, v4, v51
	v_add_f32_e32 v7, v1, v7
	v_add_f32_e32 v8, v8, v9
	global_store_dwordx2 v[55:56], v[7:8], off
	v_mul_f32_e64 v7, v39, -v5
	v_mul_f32_e32 v1, v6, v39
	v_fma_f32 v8, -v6, v36, v7
	v_mul_f32_e64 v7, v41, -v4
	v_mul_f32_e32 v9, v3, v41
	v_fma_f32 v1, -v5, v36, v1
	v_fmac_f32_e32 v7, v3, v38
	v_fmac_f32_e32 v9, v4, v38
	v_add_f32_e32 v7, v1, v7
	v_add_f32_e32 v8, v8, v9
	global_store_dwordx2 v[61:62], v[7:8], off
	v_mul_f32_e32 v7, v6, v49
	v_mul_f32_e64 v8, v49, -v5
	v_mul_f32_e64 v9, v50, -v4
	v_mul_f32_e32 v10, v3, v50
	v_fma_f32 v7, -v5, v44, v7
	v_fma_f32 v8, -v6, v44, v8
	v_fmac_f32_e32 v9, v3, v47
	v_fmac_f32_e32 v10, v4, v47
	v_add_f32_e32 v7, v7, v9
	v_add_f32_e32 v8, v8, v10
	global_store_dwordx2 v[65:66], v[7:8], off
	v_mul_f32_e32 v7, v6, v35
	v_mul_f32_e64 v8, v35, -v5
	v_mul_f32_e64 v9, v37, -v4
	v_mul_f32_e32 v10, v3, v37
	v_fma_f32 v7, -v5, v30, v7
	;; [unrolled: 11-line block ×6, first 2 shown]
	v_fma_f32 v8, -v6, v15, v8
	v_fmac_f32_e32 v9, v3, v16
	v_fmac_f32_e32 v10, v4, v16
	v_add_f32_e32 v7, v7, v9
	v_add_f32_e32 v8, v8, v10
	v_mov_b32_e32 v1, 0
	global_store_dwordx2 v[79:80], v[7:8], off
	v_mov_b32_e32 v7, 0
	s_and_saveexec_b64 s[20:21], s[2:3]
	s_cbranch_execz .LBB209_16
; %bb.15:                               ;   in Loop: Header=BB209_5 Depth=1
	v_add_u32_e32 v7, v26, v27
	v_add_u32_e32 v1, s28, v7
	v_lshlrev_b64 v[8:9], 3, v[1:2]
	v_mov_b32_e32 v1, s9
	v_add_co_u32_e32 v8, vcc, s8, v8
	v_addc_co_u32_e32 v9, vcc, v1, v9, vcc
	global_load_dwordx2 v[53:54], v[8:9], off
	v_mul_f32_e32 v1, v6, v14
	v_mul_f32_e64 v10, v14, -v5
	v_mul_f32_e64 v57, v14, -v4
	v_mul_f32_e32 v58, v3, v14
	v_fma_f32 v60, -v5, v13, v1
	v_fma_f32 v10, -v6, v13, v10
	v_fmac_f32_e32 v57, v3, v13
	v_fmac_f32_e32 v58, v4, v13
	v_mul_f32_e32 v5, v10, v48
	v_mul_f32_e64 v6, v48, -v60
	v_add_u32_e32 v1, s29, v7
	v_mul_f32_e64 v48, v52, -v58
	v_mul_f32_e32 v52, v57, v52
	v_fma_f32 v56, -v60, v45, v5
	v_fma_f32 v45, -v10, v45, v6
	v_lshlrev_b64 v[5:6], 3, v[1:2]
	v_fmac_f32_e32 v52, v58, v51
	v_add_u32_e32 v1, s30, v7
	v_mov_b32_e32 v55, s9
	v_fmac_f32_e32 v48, v57, v51
	v_sub_f32_e32 v45, v45, v52
	v_lshlrev_b64 v[51:52], 3, v[1:2]
	v_add_co_u32_e32 v5, vcc, s8, v5
	v_sub_f32_e32 v48, v56, v48
	v_addc_co_u32_e32 v6, vcc, v55, v6, vcc
	v_mov_b32_e32 v59, s9
	global_load_dwordx2 v[55:56], v[5:6], off
	v_add_co_u32_e32 v51, vcc, s8, v51
	v_addc_co_u32_e32 v52, vcc, v59, v52, vcc
	v_mul_f32_e32 v1, v10, v39
	v_mul_f32_e64 v39, v39, -v60
	v_mul_f32_e64 v59, v50, -v58
	v_mul_f32_e32 v50, v57, v50
	v_fma_f32 v1, -v60, v36, v1
	v_fma_f32 v36, -v10, v36, v39
	v_fmac_f32_e32 v59, v57, v47
	v_fmac_f32_e32 v50, v58, v47
	s_waitcnt vmcnt(1)
	v_add_f32_e32 v53, v48, v53
	v_add_f32_e32 v54, v45, v54
	global_store_dwordx2 v[8:9], v[53:54], off
	global_load_dwordx2 v[8:9], v[51:52], off
	v_mul_f32_e64 v45, v41, -v58
	v_mul_f32_e32 v41, v57, v41
	v_mul_f32_e32 v54, v10, v49
	v_mul_f32_e64 v49, v49, -v60
	v_fmac_f32_e32 v45, v57, v38
	v_fmac_f32_e32 v41, v58, v38
	v_fma_f32 v38, -v60, v44, v54
	v_fma_f32 v39, -v10, v44, v49
	v_sub_f32_e32 v47, v1, v45
	v_add_u32_e32 v1, s31, v7
	v_sub_f32_e32 v36, v36, v41
	v_sub_f32_e32 v41, v38, v59
	;; [unrolled: 1-line block ×3, first 2 shown]
	v_lshlrev_b64 v[38:39], 3, v[1:2]
	v_add_u32_e32 v1, s33, v7
	v_mov_b32_e32 v48, s9
	v_lshlrev_b64 v[44:45], 3, v[1:2]
	v_add_co_u32_e32 v38, vcc, s8, v38
	v_addc_co_u32_e32 v39, vcc, v48, v39, vcc
	v_mov_b32_e32 v53, s9
	v_add_co_u32_e32 v44, vcc, s8, v44
	v_addc_co_u32_e32 v45, vcc, v53, v45, vcc
	s_waitcnt vmcnt(2)
	v_add_f32_e32 v47, v47, v55
	v_add_f32_e32 v48, v36, v56
	global_store_dwordx2 v[5:6], v[47:48], off
	global_load_dwordx2 v[5:6], v[38:39], off
	v_mul_f32_e32 v1, v10, v35
	v_mul_f32_e64 v36, v37, -v58
	v_mul_f32_e64 v35, v35, -v60
	v_mul_f32_e32 v37, v57, v37
	v_mul_f32_e32 v47, v10, v43
	v_mul_f32_e64 v43, v43, -v60
	v_mul_f32_e64 v48, v46, -v58
	v_mul_f32_e32 v46, v57, v46
	v_fma_f32 v1, -v60, v30, v1
	v_fmac_f32_e32 v36, v57, v32
	v_fma_f32 v30, -v10, v30, v35
	v_fmac_f32_e32 v37, v58, v32
	v_fma_f32 v32, -v60, v40, v47
	v_fma_f32 v35, -v10, v40, v43
	v_fmac_f32_e32 v46, v58, v42
	v_sub_f32_e32 v40, v1, v36
	v_add_u32_e32 v1, s34, v7
	v_fmac_f32_e32 v48, v57, v42
	v_sub_f32_e32 v30, v30, v37
	v_sub_f32_e32 v37, v35, v46
	v_lshlrev_b64 v[35:36], 3, v[1:2]
	v_sub_f32_e32 v32, v32, v48
	v_add_co_u32_e32 v35, vcc, s8, v35
	v_mul_f32_e32 v1, v10, v33
	v_fma_f32 v1, -v60, v29, v1
	s_waitcnt vmcnt(2)
	v_add_f32_e32 v8, v41, v8
	v_add_f32_e32 v9, v49, v9
	global_store_dwordx2 v[51:52], v[8:9], off
	global_load_dwordx2 v[8:9], v[44:45], off
	v_mov_b32_e32 v41, s9
	v_addc_co_u32_e32 v36, vcc, v41, v36, vcc
	s_waitcnt vmcnt(2)
	v_add_f32_e32 v5, v40, v5
	v_add_f32_e32 v6, v30, v6
	global_store_dwordx2 v[38:39], v[5:6], off
	v_mov_b32_e32 v30, s9
	s_waitcnt vmcnt(1)
	v_add_f32_e32 v5, v32, v8
	v_add_f32_e32 v6, v37, v9
	global_store_dwordx2 v[44:45], v[5:6], off
	global_load_dwordx2 v[5:6], v[35:36], off
	v_mul_f32_e64 v9, v34, -v58
	v_mul_f32_e64 v8, v33, -v60
	v_mul_f32_e32 v32, v57, v34
	v_fmac_f32_e32 v9, v57, v31
	v_fma_f32 v8, -v10, v29, v8
	v_fmac_f32_e32 v32, v58, v31
	v_sub_f32_e32 v31, v1, v9
	v_add_u32_e32 v1, s35, v7
	v_sub_f32_e32 v32, v8, v32
	v_lshlrev_b64 v[8:9], 3, v[1:2]
	v_mov_b32_e32 v1, s15
	v_add_co_u32_e32 v29, vcc, s8, v8
	v_addc_co_u32_e32 v30, vcc, v30, v9, vcc
	v_ashrrev_i32_e32 v8, 31, v7
	v_lshlrev_b64 v[8:9], 3, v[7:8]
	v_mul_f32_e64 v33, v24, -v58
	v_mul_f32_e32 v24, v57, v24
	v_add_co_u32_e32 v8, vcc, s14, v8
	v_fmac_f32_e32 v24, v58, v19
	v_addc_co_u32_e32 v9, vcc, v1, v9, vcc
	v_add_u32_e32 v1, s36, v7
	v_fmac_f32_e32 v33, v57, v19
	global_load_dwordx2 v[8:9], v[8:9], off
	v_mul_f32_e64 v7, v18, -v60
	v_fma_f32 v7, -v10, v15, v7
	s_waitcnt vmcnt(1)
	v_add_f32_e32 v5, v31, v5
	v_add_f32_e32 v6, v32, v6
	global_store_dwordx2 v[35:36], v[5:6], off
	global_load_dwordx2 v[5:6], v[29:30], off
	v_mul_f32_e32 v32, v10, v23
	v_mul_f32_e64 v23, v23, -v60
	v_fma_f32 v32, -v60, v17, v32
	v_fma_f32 v17, -v10, v17, v23
	v_sub_f32_e32 v17, v17, v24
	v_lshlrev_b64 v[23:24], 3, v[1:2]
	v_sub_f32_e32 v19, v32, v33
	v_mov_b32_e32 v31, s9
	v_add_co_u32_e32 v23, vcc, s8, v23
	v_addc_co_u32_e32 v24, vcc, v31, v24, vcc
	v_mul_f32_e64 v1, v4, -v14
	v_mul_f32_e32 v4, v4, v13
	v_fmac_f32_e32 v1, v13, v3
	v_fmac_f32_e32 v4, v14, v3
	v_mul_f32_e32 v3, v10, v18
	v_mul_f32_e64 v13, v20, -v58
	v_mul_f32_e32 v14, v57, v20
	v_fma_f32 v3, -v60, v15, v3
	v_fmac_f32_e32 v13, v57, v16
	v_fmac_f32_e32 v14, v58, v16
	s_waitcnt vmcnt(0)
	v_add_f32_e32 v5, v19, v5
	v_add_f32_e32 v6, v17, v6
	global_store_dwordx2 v[29:30], v[5:6], off
	global_load_dwordx2 v[5:6], v[23:24], off
	v_mul_f32_e64 v17, v12, -v4
	v_mul_f32_e32 v12, v12, v1
	v_fmac_f32_e32 v17, v1, v11
	v_fmac_f32_e32 v12, v4, v11
	v_sub_f32_e32 v1, v3, v13
	v_mul_f32_e64 v3, v22, -v12
	v_mul_f32_e32 v10, v22, v17
	v_sub_f32_e32 v4, v7, v14
	v_fmac_f32_e32 v3, v17, v21
	v_fmac_f32_e32 v10, v12, v21
	v_sub_f32_e32 v7, v8, v3
	s_waitcnt vmcnt(0)
	v_add_f32_e32 v3, v1, v5
	v_add_f32_e32 v4, v4, v6
	v_sub_f32_e32 v1, v9, v10
	global_store_dwordx2 v[23:24], v[3:4], off
.LBB209_16:                             ;   in Loop: Header=BB209_5 Depth=1
	s_or_b64 exec, exec, s[20:21]
	v_mov_b32_e32 v4, v1
	v_mov_b32_e32 v3, v7
                                        ; implicit-def: $vgpr7_vgpr8
                                        ; implicit-def: $vgpr5
                                        ; implicit-def: $vgpr9
                                        ; implicit-def: $vgpr30
                                        ; implicit-def: $vgpr29
                                        ; implicit-def: $vgpr23
                                        ; implicit-def: $vgpr21
                                        ; implicit-def: $vgpr19
                                        ; implicit-def: $vgpr18
                                        ; implicit-def: $vgpr17
                                        ; implicit-def: $vgpr16
                                        ; implicit-def: $vgpr15
.LBB209_17:                             ;   in Loop: Header=BB209_5 Depth=1
	s_or_saveexec_b64 s[2:3], s[4:5]
	v_mov_b32_e32 v8, s27
	s_xor_b64 exec, exec, s[2:3]
	s_cbranch_execz .LBB209_4
; %bb.18:                               ;   in Loop: Header=BB209_5 Depth=1
	v_lshlrev_b64 v[11:12], 3, v[1:2]
	v_mov_b32_e32 v24, v2
	v_mov_b32_e32 v1, s9
	v_lshlrev_b64 v[13:14], 3, v[23:24]
	v_add_co_u32_e32 v32, vcc, s8, v11
	v_mov_b32_e32 v22, v2
	v_addc_co_u32_e32 v33, vcc, v1, v12, vcc
	v_mov_b32_e32 v8, s9
	v_lshlrev_b64 v[21:22], 3, v[21:22]
	v_add_co_u32_e32 v34, vcc, s8, v13
	v_mov_b32_e32 v20, v2
	v_addc_co_u32_e32 v35, vcc, v8, v14, vcc
	v_mov_b32_e32 v31, s9
	v_lshlrev_b64 v[19:20], 3, v[19:20]
	v_add_co_u32_e32 v36, vcc, s8, v21
	v_addc_co_u32_e32 v37, vcc, v31, v22, vcc
	v_add_co_u32_e32 v38, vcc, s8, v19
	v_mov_b32_e32 v19, v2
	v_mov_b32_e32 v39, s9
	v_lshlrev_b64 v[13:14], 3, v[18:19]
	v_addc_co_u32_e32 v39, vcc, v39, v20, vcc
	v_add_co_u32_e32 v40, vcc, s8, v13
	v_mov_b32_e32 v18, v2
	v_addc_co_u32_e32 v41, vcc, v1, v14, vcc
	v_lshlrev_b64 v[13:14], 3, v[17:18]
	v_mov_b32_e32 v17, v2
	v_add_co_u32_e32 v44, vcc, s8, v13
	v_addc_co_u32_e32 v45, vcc, v1, v14, vcc
	v_lshlrev_b64 v[13:14], 3, v[16:17]
	v_mov_b32_e32 v16, v2
	v_add_co_u32_e32 v50, vcc, s8, v13
	v_addc_co_u32_e32 v51, vcc, v1, v14, vcc
	v_lshlrev_b64 v[13:14], 3, v[15:16]
	global_load_dwordx2 v[11:12], v[32:33], off
	v_add_co_u32_e32 v56, vcc, s8, v13
	v_addc_co_u32_e32 v57, vcc, v1, v14, vcc
	global_load_dwordx2 v[18:19], v[34:35], off
	global_load_dwordx2 v[42:43], v[36:37], off
	;; [unrolled: 1-line block ×7, first 2 shown]
	v_mul_f32_e32 v1, v4, v4
	v_fmac_f32_e32 v1, v3, v3
	v_div_scale_f32 v8, s[4:5], v1, v1, 1.0
	v_div_scale_f32 v13, vcc, 1.0, v1, 1.0
	v_rcp_f32_e32 v14, v8
	v_fma_f32 v15, -v8, v14, 1.0
	v_fmac_f32_e32 v14, v15, v14
	v_mul_f32_e32 v15, v13, v14
	v_fma_f32 v16, -v8, v15, v13
	v_fmac_f32_e32 v15, v16, v14
	v_fma_f32 v8, -v8, v15, v13
	v_div_fmas_f32 v8, v8, v14, v15
	v_fma_f32 v13, 0, v4, v3
	v_fma_f32 v3, v3, 0, -v4
	v_div_fixup_f32 v1, v8, v1, 1.0
	v_mul_f32_e32 v31, v3, v1
	v_mul_f32_e32 v8, v13, v1
	s_waitcnt vmcnt(7)
	v_mul_f32_e64 v23, v31, -v12
	v_mul_f32_e32 v24, v31, v11
	v_fmac_f32_e32 v23, v11, v8
	v_fmac_f32_e32 v24, v12, v8
	s_waitcnt vmcnt(6)
	v_mul_f32_e64 v21, v31, -v19
	v_mul_f32_e32 v22, v31, v18
	v_fmac_f32_e32 v21, v18, v8
	v_fmac_f32_e32 v22, v19, v8
	s_waitcnt vmcnt(5)
	v_mul_f32_e64 v19, v31, -v43
	v_mul_f32_e32 v20, v31, v42
	s_waitcnt vmcnt(4)
	v_mul_f32_e64 v17, v31, -v47
	v_mul_f32_e32 v18, v31, v46
	;; [unrolled: 3-line block ×6, first 2 shown]
	v_fmac_f32_e32 v19, v42, v8
	v_fmac_f32_e32 v20, v43, v8
	;; [unrolled: 1-line block ×12, first 2 shown]
	global_store_dwordx2 v[32:33], v[23:24], off
	global_store_dwordx2 v[34:35], v[21:22], off
	;; [unrolled: 1-line block ×8, first 2 shown]
	s_and_saveexec_b64 s[4:5], s[0:1]
	s_cbranch_execz .LBB209_3
; %bb.19:                               ;   in Loop: Header=BB209_5 Depth=1
	v_add_u32_e32 v42, v25, v27
	v_add_u32_e32 v1, s28, v42
	v_lshlrev_b64 v[32:33], 3, v[1:2]
	v_mov_b32_e32 v1, s9
	v_add_co_u32_e32 v32, vcc, s8, v32
	v_addc_co_u32_e32 v33, vcc, v1, v33, vcc
	global_load_dwordx2 v[34:35], v[32:33], off
	v_add_u32_e32 v1, s29, v42
	v_lshlrev_b64 v[36:37], 3, v[1:2]
	v_mov_b32_e32 v40, s9
	v_add_u32_e32 v1, s30, v42
	v_add_co_u32_e32 v36, vcc, s8, v36
	v_lshlrev_b64 v[38:39], 3, v[1:2]
	v_addc_co_u32_e32 v37, vcc, v40, v37, vcc
	global_load_dwordx2 v[40:41], v[36:37], off
	v_mov_b32_e32 v43, s9
	v_add_co_u32_e32 v38, vcc, s8, v38
	v_addc_co_u32_e32 v39, vcc, v43, v39, vcc
	v_mov_b32_e32 v44, s9
	s_waitcnt vmcnt(1)
	v_fma_f32 v34, -v5, v23, v34
	v_fma_f32 v1, -v6, v23, v35
	v_fmac_f32_e32 v34, v6, v24
	v_fma_f32 v35, -v5, v24, v1
	global_store_dwordx2 v[32:33], v[34:35], off
	global_load_dwordx2 v[23:24], v[38:39], off
	v_add_u32_e32 v1, s31, v42
	v_lshlrev_b64 v[32:33], 3, v[1:2]
	v_add_u32_e32 v1, s33, v42
	v_lshlrev_b64 v[34:35], 3, v[1:2]
	v_add_co_u32_e32 v32, vcc, s8, v32
	s_waitcnt vmcnt(2)
	v_fma_f32 v40, -v5, v21, v40
	v_fma_f32 v1, -v6, v21, v41
	v_addc_co_u32_e32 v33, vcc, v43, v33, vcc
	v_fmac_f32_e32 v40, v6, v22
	v_fma_f32 v41, -v5, v22, v1
	v_add_co_u32_e32 v34, vcc, s8, v34
	global_store_dwordx2 v[36:37], v[40:41], off
	v_addc_co_u32_e32 v35, vcc, v44, v35, vcc
	global_load_dwordx2 v[21:22], v[32:33], off
	v_mov_b32_e32 v36, s9
	s_waitcnt vmcnt(2)
	v_fma_f32 v23, -v5, v19, v23
	v_fma_f32 v1, -v6, v19, v24
	v_fmac_f32_e32 v23, v6, v20
	v_fma_f32 v24, -v5, v20, v1
	global_store_dwordx2 v[38:39], v[23:24], off
	global_load_dwordx2 v[19:20], v[34:35], off
	v_add_u32_e32 v1, s34, v42
	v_lshlrev_b64 v[23:24], 3, v[1:2]
	v_add_co_u32_e32 v23, vcc, s8, v23
	v_addc_co_u32_e32 v24, vcc, v36, v24, vcc
	s_waitcnt vmcnt(2)
	v_fma_f32 v1, -v6, v17, v22
	v_fma_f32 v21, -v5, v17, v21
	;; [unrolled: 1-line block ×3, first 2 shown]
	v_fmac_f32_e32 v21, v6, v18
	global_store_dwordx2 v[32:33], v[21:22], off
	s_waitcnt vmcnt(1)
	v_fma_f32 v17, -v5, v15, v19
	v_fma_f32 v1, -v6, v15, v20
	v_fmac_f32_e32 v17, v6, v16
	v_fma_f32 v18, -v5, v16, v1
	global_store_dwordx2 v[34:35], v[17:18], off
	global_load_dwordx2 v[15:16], v[23:24], off
	v_add_u32_e32 v1, s35, v42
	v_lshlrev_b64 v[17:18], 3, v[1:2]
	v_mov_b32_e32 v19, s9
	v_add_co_u32_e32 v17, vcc, s8, v17
	v_addc_co_u32_e32 v18, vcc, v19, v18, vcc
	s_waitcnt vmcnt(0)
	v_fma_f32 v15, -v5, v13, v15
	v_fma_f32 v1, -v6, v13, v16
	v_fmac_f32_e32 v15, v6, v14
	v_fma_f32 v16, -v5, v14, v1
	global_store_dwordx2 v[23:24], v[15:16], off
	global_load_dwordx2 v[13:14], v[17:18], off
	v_add_u32_e32 v1, s36, v42
	v_lshlrev_b64 v[15:16], 3, v[1:2]
	v_add_co_u32_e32 v15, vcc, s8, v15
	v_addc_co_u32_e32 v16, vcc, v19, v16, vcc
	s_waitcnt vmcnt(0)
	v_fma_f32 v13, -v5, v11, v13
	v_fma_f32 v1, -v6, v11, v14
	v_fmac_f32_e32 v13, v6, v12
	v_fma_f32 v14, -v5, v12, v1
	global_store_dwordx2 v[17:18], v[13:14], off
	global_load_dwordx2 v[11:12], v[15:16], off
	s_waitcnt vmcnt(0)
	v_fma_f32 v11, -v5, v3, v11
	v_fma_f32 v1, -v6, v3, v12
	v_fmac_f32_e32 v11, v6, v4
	v_fma_f32 v12, -v5, v4, v1
	global_store_dwordx2 v[15:16], v[11:12], off
	s_branch .LBB209_3
.LBB209_20:
	s_or_b64 exec, exec, s[18:19]
	s_branch .LBB209_22
.LBB209_21:
	v_mov_b32_e32 v27, 0
.LBB209_22:
	v_subrev_u32_e32 v3, s22, v27
	v_add_u32_e32 v1, v3, v0
	v_ashrrev_i32_e32 v2, 31, v1
	v_lshlrev_b64 v[1:2], 2, v[1:2]
	s_waitcnt lgkmcnt(0)
	v_mov_b32_e32 v4, s17
	v_add_co_u32_e32 v1, vcc, s16, v1
	v_addc_co_u32_e32 v2, vcc, v4, v2, vcc
	s_waitcnt vmcnt(0)
	buffer_wbinvl1_vol
	global_load_dword v1, v[1:2], off
	s_waitcnt vmcnt(0)
	v_mul_lo_u32 v1, v1, s22
	v_sub_u32_e32 v7, v3, v1
	v_cmp_lt_i32_e32 vcc, -1, v7
	s_and_b64 exec, exec, vcc
	s_cbranch_execz .LBB209_29
; %bb.23:
	s_lshl_b32 s4, s24, 3
	s_add_i32 s5, s4, s23
	s_add_i32 s6, s5, s23
	;; [unrolled: 1-line block ×7, first 2 shown]
	s_lshl_b32 s18, s22, 1
	s_mov_b64 s[0:1], 0
	v_mov_b32_e32 v8, s17
	v_mov_b32_e32 v9, s11
	;; [unrolled: 1-line block ×3, first 2 shown]
	s_branch .LBB209_25
.LBB209_24:                             ;   in Loop: Header=BB209_25 Depth=1
	s_or_b64 exec, exec, s[2:3]
	v_sub_u32_e32 v7, v7, v1
	v_cmp_gt_i32_e32 vcc, 0, v7
	s_or_b64 s[0:1], vcc, s[0:1]
	s_andn2_b64 exec, exec, s[0:1]
	s_cbranch_execz .LBB209_29
.LBB209_25:                             ; =>This Inner Loop Header: Depth=1
	v_add_u32_e32 v5, v7, v0
	v_ashrrev_i32_e32 v6, 31, v5
	s_waitcnt vmcnt(0)
	v_lshlrev_b64 v[3:4], 2, v[5:6]
	v_add_co_u32_e32 v3, vcc, s16, v3
	v_addc_co_u32_e32 v4, vcc, v8, v4, vcc
	global_load_dword v1, v[3:4], off
	v_lshlrev_b64 v[3:4], 3, v[5:6]
	v_add_co_u32_e32 v3, vcc, s10, v3
	v_addc_co_u32_e32 v4, vcc, v9, v4, vcc
	global_load_dwordx2 v[3:4], v[3:4], off
	s_waitcnt vmcnt(1)
	v_cmp_ne_u32_e32 vcc, 1, v1
	s_and_saveexec_b64 s[2:3], vcc
	s_xor_b64 s[2:3], exec, s[2:3]
	s_cbranch_execz .LBB209_27
; %bb.26:                               ;   in Loop: Header=BB209_25 Depth=1
	v_add_u32_e32 v6, v25, v7
	v_add_u32_e32 v1, s4, v6
	v_lshlrev_b64 v[10:11], 3, v[1:2]
	v_mov_b32_e32 v1, s9
	v_add_co_u32_e32 v10, vcc, s8, v10
	v_addc_co_u32_e32 v11, vcc, v1, v11, vcc
	v_add_u32_e32 v1, s5, v6
	v_lshlrev_b64 v[12:13], 3, v[1:2]
	v_add_u32_e32 v1, s6, v6
	v_lshlrev_b64 v[14:15], 3, v[1:2]
	;; [unrolled: 2-line block ×8, first 2 shown]
	v_mov_b32_e32 v1, s9
	v_add_co_u32_e32 v28, vcc, s8, v28
	v_addc_co_u32_e32 v29, vcc, v1, v29, vcc
	global_load_dwordx2 v[10:11], v[10:11], off
	v_add_co_u32_e32 v12, vcc, s8, v12
	global_load_dwordx2 v[30:31], v[28:29], off
	v_addc_co_u32_e32 v13, vcc, v1, v13, vcc
	v_mov_b32_e32 v6, s9
	v_add_co_u32_e32 v14, vcc, s8, v14
	v_addc_co_u32_e32 v15, vcc, v6, v15, vcc
	v_mov_b32_e32 v24, s9
	v_add_co_u32_e32 v16, vcc, s8, v16
	v_addc_co_u32_e32 v17, vcc, v24, v17, vcc
	v_mov_b32_e32 v38, s9
	global_load_dwordx2 v[32:33], v[12:13], off
	global_load_dwordx2 v[34:35], v[14:15], off
	;; [unrolled: 1-line block ×3, first 2 shown]
	v_add_co_u32_e32 v12, vcc, s8, v18
	v_addc_co_u32_e32 v13, vcc, v38, v19, vcc
	v_mov_b32_e32 v39, s9
	v_add_co_u32_e32 v14, vcc, s8, v20
	v_addc_co_u32_e32 v15, vcc, v39, v21, vcc
	v_mov_b32_e32 v40, s9
	v_add_co_u32_e32 v16, vcc, s8, v22
	v_addc_co_u32_e32 v17, vcc, v40, v23, vcc
	v_add_u32_e32 v1, s5, v5
	v_mov_b32_e32 v41, s9
	v_add_co_u32_e32 v18, vcc, s8, v26
	v_lshlrev_b64 v[20:21], 3, v[1:2]
	v_addc_co_u32_e32 v19, vcc, v41, v27, vcc
	global_load_dwordx2 v[22:23], v[12:13], off
	global_load_dwordx2 v[26:27], v[14:15], off
	global_load_dwordx2 v[38:39], v[16:17], off
	global_load_dwordx2 v[40:41], v[18:19], off
	v_mov_b32_e32 v42, s9
	v_add_co_u32_e32 v12, vcc, s8, v20
	v_addc_co_u32_e32 v13, vcc, v42, v21, vcc
	v_mov_b32_e32 v19, s9
	s_waitcnt vmcnt(7)
	v_fma_f32 v14, -v3, v10, v30
	v_fma_f32 v1, -v4, v10, v31
	v_fmac_f32_e32 v14, v4, v11
	v_fma_f32 v15, -v3, v11, v1
	global_store_dwordx2 v[28:29], v[14:15], off
	global_load_dwordx2 v[14:15], v[12:13], off
	v_add_u32_e32 v1, s6, v5
	v_lshlrev_b64 v[16:17], 3, v[1:2]
	v_add_co_u32_e32 v16, vcc, s8, v16
	v_addc_co_u32_e32 v17, vcc, v6, v17, vcc
	s_waitcnt vmcnt(0)
	v_fma_f32 v14, -v3, v32, v14
	v_fma_f32 v1, -v4, v32, v15
	v_fmac_f32_e32 v14, v4, v33
	v_fma_f32 v15, -v3, v33, v1
	global_store_dwordx2 v[12:13], v[14:15], off
	global_load_dwordx2 v[12:13], v[16:17], off
	v_add_u32_e32 v1, s7, v5
	v_lshlrev_b64 v[14:15], 3, v[1:2]
	v_add_co_u32_e32 v14, vcc, s8, v14
	v_addc_co_u32_e32 v15, vcc, v6, v15, vcc
	;; [unrolled: 11-line block ×5, first 2 shown]
	s_waitcnt vmcnt(0)
	v_fma_f32 v12, -v3, v26, v12
	v_fma_f32 v1, -v4, v26, v13
	v_fmac_f32_e32 v12, v4, v27
	v_fma_f32 v13, -v3, v27, v1
	global_store_dwordx2 v[14:15], v[12:13], off
	global_load_dwordx2 v[12:13], v[16:17], off
	v_add_u32_e32 v1, s15, v5
	v_lshlrev_b64 v[5:6], 3, v[1:2]
	v_mov_b32_e32 v14, s9
	v_add_co_u32_e32 v5, vcc, s8, v5
	v_addc_co_u32_e32 v6, vcc, v14, v6, vcc
	s_waitcnt vmcnt(0)
	v_fma_f32 v12, -v3, v38, v12
	v_fma_f32 v1, -v4, v38, v13
	v_fmac_f32_e32 v12, v4, v39
	v_fma_f32 v13, -v3, v39, v1
	global_store_dwordx2 v[16:17], v[12:13], off
	global_load_dwordx2 v[12:13], v[5:6], off
	v_subrev_u32_e32 v1, s22, v7
	v_add_u32_e32 v14, v1, v0
	v_ashrrev_i32_e32 v15, 31, v14
	v_lshlrev_b64 v[15:16], 3, v[14:15]
	v_mov_b32_e32 v17, s11
	v_add_co_u32_e32 v15, vcc, s10, v15
	v_add_u32_e32 v1, s4, v14
	v_addc_co_u32_e32 v16, vcc, v17, v16, vcc
	v_lshlrev_b64 v[17:18], 3, v[1:2]
	global_load_dwordx2 v[15:16], v[15:16], off
	v_add_co_u32_e32 v17, vcc, s8, v17
	v_addc_co_u32_e32 v18, vcc, v19, v18, vcc
	s_waitcnt vmcnt(1)
	v_fma_f32 v12, -v3, v40, v12
	v_fma_f32 v1, -v4, v40, v13
	v_fmac_f32_e32 v12, v4, v41
	v_fma_f32 v13, -v3, v41, v1
	global_store_dwordx2 v[5:6], v[12:13], off
	global_load_dwordx2 v[3:4], v[17:18], off
	v_add_u32_e32 v1, s5, v14
	v_lshlrev_b64 v[5:6], 3, v[1:2]
	v_mov_b32_e32 v12, s9
	v_add_co_u32_e32 v5, vcc, s8, v5
	v_addc_co_u32_e32 v6, vcc, v12, v6, vcc
	s_waitcnt vmcnt(0)
	v_fma_f32 v3, -v15, v10, v3
	v_fma_f32 v1, -v16, v10, v4
	v_fmac_f32_e32 v3, v16, v11
	v_fma_f32 v4, -v15, v11, v1
	global_store_dwordx2 v[17:18], v[3:4], off
	global_load_dwordx2 v[3:4], v[5:6], off
	v_add_u32_e32 v1, s6, v14
	v_lshlrev_b64 v[10:11], 3, v[1:2]
	v_add_co_u32_e32 v10, vcc, s8, v10
	v_addc_co_u32_e32 v11, vcc, v12, v11, vcc
	s_waitcnt vmcnt(0)
	v_fma_f32 v3, -v15, v32, v3
	v_fma_f32 v1, -v16, v32, v4
	v_fmac_f32_e32 v3, v16, v33
	v_fma_f32 v4, -v15, v33, v1
	global_store_dwordx2 v[5:6], v[3:4], off
	global_load_dwordx2 v[3:4], v[10:11], off
	v_add_u32_e32 v1, s7, v14
	v_lshlrev_b64 v[5:6], 3, v[1:2]
	;; [unrolled: 11-line block ×6, first 2 shown]
	v_add_co_u32_e32 v5, vcc, s8, v5
	v_addc_co_u32_e32 v6, vcc, v12, v6, vcc
	s_waitcnt vmcnt(0)
	v_fma_f32 v3, -v15, v38, v3
	v_fma_f32 v1, -v16, v38, v4
	v_fmac_f32_e32 v3, v16, v39
	v_fma_f32 v4, -v15, v39, v1
	global_store_dwordx2 v[10:11], v[3:4], off
	global_load_dwordx2 v[3:4], v[5:6], off
	s_waitcnt vmcnt(0)
	v_fma_f32 v3, -v15, v40, v3
	v_fma_f32 v1, -v16, v40, v4
	v_fmac_f32_e32 v3, v16, v41
	v_fma_f32 v4, -v15, v41, v1
	global_store_dwordx2 v[5:6], v[3:4], off
                                        ; implicit-def: $vgpr5
                                        ; implicit-def: $vgpr3_vgpr4
.LBB209_27:                             ;   in Loop: Header=BB209_25 Depth=1
	s_or_saveexec_b64 s[2:3], s[2:3]
	v_mov_b32_e32 v1, s18
	s_xor_b64 exec, exec, s[2:3]
	s_cbranch_execz .LBB209_24
; %bb.28:                               ;   in Loop: Header=BB209_25 Depth=1
	v_add_u32_e32 v6, v25, v7
	v_add_u32_e32 v1, s4, v6
	v_lshlrev_b64 v[10:11], 3, v[1:2]
	v_mov_b32_e32 v1, s9
	v_add_co_u32_e32 v10, vcc, s8, v10
	v_addc_co_u32_e32 v11, vcc, v1, v11, vcc
	v_add_u32_e32 v1, s4, v5
	v_lshlrev_b64 v[12:13], 3, v[1:2]
	v_mov_b32_e32 v1, s9
	v_add_co_u32_e32 v12, vcc, s8, v12
	v_addc_co_u32_e32 v13, vcc, v1, v13, vcc
	global_load_dwordx2 v[14:15], v[10:11], off
	global_load_dwordx2 v[16:17], v[12:13], off
	v_add_u32_e32 v1, s5, v6
	v_lshlrev_b64 v[10:11], 3, v[1:2]
	v_add_u32_e32 v1, s5, v5
	v_mov_b32_e32 v20, s9
	v_lshlrev_b64 v[18:19], 3, v[1:2]
	v_add_co_u32_e32 v10, vcc, s8, v10
	v_addc_co_u32_e32 v11, vcc, v20, v11, vcc
	v_mov_b32_e32 v21, s9
	v_add_co_u32_e32 v18, vcc, s8, v18
	v_addc_co_u32_e32 v19, vcc, v21, v19, vcc
	s_waitcnt vmcnt(0)
	v_fma_f32 v16, -v3, v14, v16
	v_fma_f32 v1, -v4, v14, v17
	v_fmac_f32_e32 v16, v4, v15
	v_fma_f32 v17, -v3, v15, v1
	global_store_dwordx2 v[12:13], v[16:17], off
	global_load_dwordx2 v[12:13], v[10:11], off
	s_nop 0
	global_load_dwordx2 v[14:15], v[18:19], off
	v_add_u32_e32 v1, s6, v6
	v_lshlrev_b64 v[10:11], 3, v[1:2]
	v_add_u32_e32 v1, s6, v5
	v_lshlrev_b64 v[16:17], 3, v[1:2]
	v_add_co_u32_e32 v10, vcc, s8, v10
	v_addc_co_u32_e32 v11, vcc, v20, v11, vcc
	v_add_co_u32_e32 v16, vcc, s8, v16
	v_addc_co_u32_e32 v17, vcc, v21, v17, vcc
	s_waitcnt vmcnt(0)
	v_fma_f32 v14, -v3, v12, v14
	v_fma_f32 v1, -v4, v12, v15
	v_fmac_f32_e32 v14, v4, v13
	v_fma_f32 v15, -v3, v13, v1
	global_store_dwordx2 v[18:19], v[14:15], off
	global_load_dwordx2 v[12:13], v[10:11], off
	s_nop 0
	global_load_dwordx2 v[14:15], v[16:17], off
	v_add_u32_e32 v1, s7, v6
	v_lshlrev_b64 v[10:11], 3, v[1:2]
	v_add_u32_e32 v1, s7, v5
	v_lshlrev_b64 v[18:19], 3, v[1:2]
	v_add_co_u32_e32 v10, vcc, s8, v10
	v_addc_co_u32_e32 v11, vcc, v20, v11, vcc
	;; [unrolled: 17-line block ×5, first 2 shown]
	v_add_co_u32_e32 v16, vcc, s8, v16
	v_addc_co_u32_e32 v17, vcc, v21, v17, vcc
	s_waitcnt vmcnt(0)
	v_fma_f32 v14, -v3, v12, v14
	v_fma_f32 v1, -v4, v12, v15
	v_fmac_f32_e32 v14, v4, v13
	v_fma_f32 v15, -v3, v13, v1
	global_store_dwordx2 v[18:19], v[14:15], off
	global_load_dwordx2 v[12:13], v[10:11], off
	s_nop 0
	global_load_dwordx2 v[14:15], v[16:17], off
	v_add_u32_e32 v1, s15, v6
	v_lshlrev_b64 v[10:11], 3, v[1:2]
	v_add_u32_e32 v1, s15, v5
	v_mov_b32_e32 v18, s9
	v_lshlrev_b64 v[5:6], 3, v[1:2]
	v_add_co_u32_e32 v10, vcc, s8, v10
	v_addc_co_u32_e32 v11, vcc, v18, v11, vcc
	v_mov_b32_e32 v19, s9
	v_add_co_u32_e32 v5, vcc, s8, v5
	v_addc_co_u32_e32 v6, vcc, v19, v6, vcc
	s_waitcnt vmcnt(0)
	v_fma_f32 v14, -v3, v12, v14
	v_fma_f32 v1, -v4, v12, v15
	v_fmac_f32_e32 v14, v4, v13
	v_fma_f32 v15, -v3, v13, v1
	global_store_dwordx2 v[16:17], v[14:15], off
	global_load_dwordx2 v[12:13], v[10:11], off
	s_nop 0
	global_load_dwordx2 v[14:15], v[5:6], off
	s_waitcnt vmcnt(0)
	v_fma_f32 v10, -v3, v12, v14
	v_fma_f32 v1, -v4, v12, v15
	v_fmac_f32_e32 v10, v4, v13
	v_fma_f32 v11, -v3, v13, v1
	v_mov_b32_e32 v1, s22
	global_store_dwordx2 v[5:6], v[10:11], off
	s_branch .LBB209_24
.LBB209_29:
	s_endpgm
	.section	.rodata,"a",@progbits
	.p2align	6, 0x0
	.amdhsa_kernel _ZN9rocsparseL19gtsv_LBM_rhs_kernelILj256ELj8ELj8E21rocsparse_complex_numIfEEEviiiPKT2_S5_S5_PS3_S5_PKi
		.amdhsa_group_segment_fixed_size 0
		.amdhsa_private_segment_fixed_size 0
		.amdhsa_kernarg_size 64
		.amdhsa_user_sgpr_count 6
		.amdhsa_user_sgpr_private_segment_buffer 1
		.amdhsa_user_sgpr_dispatch_ptr 0
		.amdhsa_user_sgpr_queue_ptr 0
		.amdhsa_user_sgpr_kernarg_segment_ptr 1
		.amdhsa_user_sgpr_dispatch_id 0
		.amdhsa_user_sgpr_flat_scratch_init 0
		.amdhsa_user_sgpr_private_segment_size 0
		.amdhsa_uses_dynamic_stack 0
		.amdhsa_system_sgpr_private_segment_wavefront_offset 0
		.amdhsa_system_sgpr_workgroup_id_x 1
		.amdhsa_system_sgpr_workgroup_id_y 1
		.amdhsa_system_sgpr_workgroup_id_z 0
		.amdhsa_system_sgpr_workgroup_info 0
		.amdhsa_system_vgpr_workitem_id 0
		.amdhsa_next_free_vgpr 95
		.amdhsa_next_free_sgpr 37
		.amdhsa_reserve_vcc 1
		.amdhsa_reserve_flat_scratch 0
		.amdhsa_float_round_mode_32 0
		.amdhsa_float_round_mode_16_64 0
		.amdhsa_float_denorm_mode_32 3
		.amdhsa_float_denorm_mode_16_64 3
		.amdhsa_dx10_clamp 1
		.amdhsa_ieee_mode 1
		.amdhsa_fp16_overflow 0
		.amdhsa_exception_fp_ieee_invalid_op 0
		.amdhsa_exception_fp_denorm_src 0
		.amdhsa_exception_fp_ieee_div_zero 0
		.amdhsa_exception_fp_ieee_overflow 0
		.amdhsa_exception_fp_ieee_underflow 0
		.amdhsa_exception_fp_ieee_inexact 0
		.amdhsa_exception_int_div_zero 0
	.end_amdhsa_kernel
	.section	.text._ZN9rocsparseL19gtsv_LBM_rhs_kernelILj256ELj8ELj8E21rocsparse_complex_numIfEEEviiiPKT2_S5_S5_PS3_S5_PKi,"axG",@progbits,_ZN9rocsparseL19gtsv_LBM_rhs_kernelILj256ELj8ELj8E21rocsparse_complex_numIfEEEviiiPKT2_S5_S5_PS3_S5_PKi,comdat
.Lfunc_end209:
	.size	_ZN9rocsparseL19gtsv_LBM_rhs_kernelILj256ELj8ELj8E21rocsparse_complex_numIfEEEviiiPKT2_S5_S5_PS3_S5_PKi, .Lfunc_end209-_ZN9rocsparseL19gtsv_LBM_rhs_kernelILj256ELj8ELj8E21rocsparse_complex_numIfEEEviiiPKT2_S5_S5_PS3_S5_PKi
                                        ; -- End function
	.set _ZN9rocsparseL19gtsv_LBM_rhs_kernelILj256ELj8ELj8E21rocsparse_complex_numIfEEEviiiPKT2_S5_S5_PS3_S5_PKi.num_vgpr, 95
	.set _ZN9rocsparseL19gtsv_LBM_rhs_kernelILj256ELj8ELj8E21rocsparse_complex_numIfEEEviiiPKT2_S5_S5_PS3_S5_PKi.num_agpr, 0
	.set _ZN9rocsparseL19gtsv_LBM_rhs_kernelILj256ELj8ELj8E21rocsparse_complex_numIfEEEviiiPKT2_S5_S5_PS3_S5_PKi.numbered_sgpr, 37
	.set _ZN9rocsparseL19gtsv_LBM_rhs_kernelILj256ELj8ELj8E21rocsparse_complex_numIfEEEviiiPKT2_S5_S5_PS3_S5_PKi.num_named_barrier, 0
	.set _ZN9rocsparseL19gtsv_LBM_rhs_kernelILj256ELj8ELj8E21rocsparse_complex_numIfEEEviiiPKT2_S5_S5_PS3_S5_PKi.private_seg_size, 0
	.set _ZN9rocsparseL19gtsv_LBM_rhs_kernelILj256ELj8ELj8E21rocsparse_complex_numIfEEEviiiPKT2_S5_S5_PS3_S5_PKi.uses_vcc, 1
	.set _ZN9rocsparseL19gtsv_LBM_rhs_kernelILj256ELj8ELj8E21rocsparse_complex_numIfEEEviiiPKT2_S5_S5_PS3_S5_PKi.uses_flat_scratch, 0
	.set _ZN9rocsparseL19gtsv_LBM_rhs_kernelILj256ELj8ELj8E21rocsparse_complex_numIfEEEviiiPKT2_S5_S5_PS3_S5_PKi.has_dyn_sized_stack, 0
	.set _ZN9rocsparseL19gtsv_LBM_rhs_kernelILj256ELj8ELj8E21rocsparse_complex_numIfEEEviiiPKT2_S5_S5_PS3_S5_PKi.has_recursion, 0
	.set _ZN9rocsparseL19gtsv_LBM_rhs_kernelILj256ELj8ELj8E21rocsparse_complex_numIfEEEviiiPKT2_S5_S5_PS3_S5_PKi.has_indirect_call, 0
	.section	.AMDGPU.csdata,"",@progbits
; Kernel info:
; codeLenInByte = 7356
; TotalNumSgprs: 41
; NumVgprs: 95
; ScratchSize: 0
; MemoryBound: 0
; FloatMode: 240
; IeeeMode: 1
; LDSByteSize: 0 bytes/workgroup (compile time only)
; SGPRBlocks: 5
; VGPRBlocks: 23
; NumSGPRsForWavesPerEU: 41
; NumVGPRsForWavesPerEU: 95
; Occupancy: 2
; WaveLimiterHint : 0
; COMPUTE_PGM_RSRC2:SCRATCH_EN: 0
; COMPUTE_PGM_RSRC2:USER_SGPR: 6
; COMPUTE_PGM_RSRC2:TRAP_HANDLER: 0
; COMPUTE_PGM_RSRC2:TGID_X_EN: 1
; COMPUTE_PGM_RSRC2:TGID_Y_EN: 1
; COMPUTE_PGM_RSRC2:TGID_Z_EN: 0
; COMPUTE_PGM_RSRC2:TIDIG_COMP_CNT: 0
	.section	.text._ZN9rocsparseL19gtsv_LBM_rhs_kernelILj256ELj8ELj4E21rocsparse_complex_numIfEEEviiiPKT2_S5_S5_PS3_S5_PKi,"axG",@progbits,_ZN9rocsparseL19gtsv_LBM_rhs_kernelILj256ELj8ELj4E21rocsparse_complex_numIfEEEviiiPKT2_S5_S5_PS3_S5_PKi,comdat
	.globl	_ZN9rocsparseL19gtsv_LBM_rhs_kernelILj256ELj8ELj4E21rocsparse_complex_numIfEEEviiiPKT2_S5_S5_PS3_S5_PKi ; -- Begin function _ZN9rocsparseL19gtsv_LBM_rhs_kernelILj256ELj8ELj4E21rocsparse_complex_numIfEEEviiiPKT2_S5_S5_PS3_S5_PKi
	.p2align	8
	.type	_ZN9rocsparseL19gtsv_LBM_rhs_kernelILj256ELj8ELj4E21rocsparse_complex_numIfEEEviiiPKT2_S5_S5_PS3_S5_PKi,@function
_ZN9rocsparseL19gtsv_LBM_rhs_kernelILj256ELj8ELj4E21rocsparse_complex_numIfEEEviiiPKT2_S5_S5_PS3_S5_PKi: ; @_ZN9rocsparseL19gtsv_LBM_rhs_kernelILj256ELj8ELj4E21rocsparse_complex_numIfEEEviiiPKT2_S5_S5_PS3_S5_PKi
; %bb.0:
	s_load_dword s23, s[4:5], 0x0
	v_lshl_or_b32 v0, s6, 8, v0
	s_waitcnt lgkmcnt(0)
	s_lshr_b32 s22, s23, 3
	v_cmp_gt_i32_e32 vcc, s22, v0
	s_and_saveexec_b64 s[0:1], vcc
	s_cbranch_execz .LBB210_29
; %bb.1:
	s_load_dwordx4 s[8:11], s[4:5], 0x28
	s_load_dwordx2 s[16:17], s[4:5], 0x38
	s_cmp_lt_i32 s23, 1
	v_add_u32_e32 v19, s22, v0
	s_mul_i32 s24, s7, s23
	s_cbranch_scc1 .LBB210_21
; %bb.2:
	s_load_dwordx4 s[12:15], s[4:5], 0x10
	s_load_dwordx2 s[6:7], s[4:5], 0x20
	v_ashrrev_i32_e32 v1, 31, v0
	v_lshlrev_b64 v[1:2], 3, v[0:1]
	s_lshl_b32 s28, s24, 2
	s_waitcnt lgkmcnt(0)
	v_mov_b32_e32 v3, s15
	v_add_co_u32_e32 v1, vcc, s14, v1
	v_addc_co_u32_e32 v2, vcc, v3, v2, vcc
	global_load_dwordx2 v[5:6], v[1:2], off
	s_add_i32 s29, s28, s23
	s_add_i32 s30, s29, s23
	s_mul_i32 s25, s22, 7
	s_mul_i32 s26, s22, 6
	s_lshl_b32 s27, s22, 1
	v_add_u32_e32 v21, s22, v19
	s_add_i32 s31, s30, s23
	v_mov_b32_e32 v2, 0
	s_mov_b64 s[18:19], 0
	v_mov_b32_e32 v22, s7
	v_mov_b32_e32 v20, 0
	s_branch .LBB210_5
.LBB210_3:                              ;   in Loop: Header=BB210_5 Depth=1
	s_or_b64 exec, exec, s[4:5]
	v_fmac_f32_e32 v24, v3, v7
	v_fmac_f32_e32 v23, v4, v7
	v_mul_f32_e64 v1, v17, -v23
	v_mul_f32_e32 v3, v17, v24
	v_fmac_f32_e32 v1, v24, v8
	v_fmac_f32_e32 v3, v23, v8
	v_sub_f32_e32 v5, v9, v1
	v_sub_f32_e32 v6, v10, v3
	v_mov_b32_e32 v8, s22
.LBB210_4:                              ;   in Loop: Header=BB210_5 Depth=1
	s_or_b64 exec, exec, s[2:3]
	v_add_u32_e32 v20, v8, v20
	v_cmp_le_i32_e32 vcc, s23, v20
	s_or_b64 s[18:19], vcc, s[18:19]
	s_andn2_b64 exec, exec, s[18:19]
	s_cbranch_execz .LBB210_20
.LBB210_5:                              ; =>This Inner Loop Header: Depth=1
	v_add_u32_e32 v15, v20, v0
	v_ashrrev_i32_e32 v16, 31, v15
	v_lshlrev_b64 v[3:4], 3, v[15:16]
	v_cmp_gt_u32_e64 s[0:1], s25, v20
	v_add_co_u32_e32 v3, vcc, s6, v3
	v_addc_co_u32_e32 v4, vcc, v22, v4, vcc
	global_load_dwordx2 v[7:8], v[3:4], off
	v_mov_b32_e32 v3, 0
	v_mov_b32_e32 v4, 0
	s_and_saveexec_b64 s[2:3], s[0:1]
	s_cbranch_execz .LBB210_7
; %bb.6:                                ;   in Loop: Header=BB210_5 Depth=1
	v_add_u32_e32 v3, v19, v20
	v_ashrrev_i32_e32 v4, 31, v3
	v_lshlrev_b64 v[3:4], 3, v[3:4]
	v_mov_b32_e32 v1, s13
	v_add_co_u32_e32 v3, vcc, s12, v3
	v_addc_co_u32_e32 v4, vcc, v1, v4, vcc
	global_load_dwordx2 v[3:4], v[3:4], off
.LBB210_7:                              ;   in Loop: Header=BB210_5 Depth=1
	s_or_b64 exec, exec, s[2:3]
	v_mov_b32_e32 v11, 0
	v_mov_b32_e32 v9, 0
	;; [unrolled: 1-line block ×3, first 2 shown]
	s_and_saveexec_b64 s[2:3], s[0:1]
	s_cbranch_execz .LBB210_9
; %bb.8:                                ;   in Loop: Header=BB210_5 Depth=1
	v_add_u32_e32 v9, v19, v20
	v_ashrrev_i32_e32 v10, 31, v9
	v_lshlrev_b64 v[9:10], 3, v[9:10]
	v_mov_b32_e32 v1, s15
	v_add_co_u32_e32 v9, vcc, s14, v9
	v_addc_co_u32_e32 v10, vcc, v1, v10, vcc
	global_load_dwordx2 v[9:10], v[9:10], off
.LBB210_9:                              ;   in Loop: Header=BB210_5 Depth=1
	s_or_b64 exec, exec, s[2:3]
	v_mov_b32_e32 v12, 0
	s_and_saveexec_b64 s[2:3], s[0:1]
	s_cbranch_execz .LBB210_11
; %bb.10:                               ;   in Loop: Header=BB210_5 Depth=1
	v_add_u32_e32 v11, v19, v20
	v_ashrrev_i32_e32 v12, 31, v11
	v_lshlrev_b64 v[11:12], 3, v[11:12]
	v_mov_b32_e32 v1, s7
	v_add_co_u32_e32 v11, vcc, s6, v11
	v_addc_co_u32_e32 v12, vcc, v1, v12, vcc
	global_load_dwordx2 v[11:12], v[11:12], off
.LBB210_11:                             ;   in Loop: Header=BB210_5 Depth=1
	s_or_b64 exec, exec, s[2:3]
	v_cmp_gt_u32_e64 s[2:3], s26, v20
	v_mov_b32_e32 v13, 0
	v_mov_b32_e32 v14, 0
	s_and_saveexec_b64 s[4:5], s[2:3]
	s_cbranch_execz .LBB210_13
; %bb.12:                               ;   in Loop: Header=BB210_5 Depth=1
	v_add_u32_e32 v13, v21, v20
	v_ashrrev_i32_e32 v14, 31, v13
	v_lshlrev_b64 v[13:14], 3, v[13:14]
	v_mov_b32_e32 v1, s13
	v_add_co_u32_e32 v13, vcc, s12, v13
	v_addc_co_u32_e32 v14, vcc, v1, v14, vcc
	global_load_dwordx2 v[13:14], v[13:14], off
.LBB210_13:                             ;   in Loop: Header=BB210_5 Depth=1
	s_or_b64 exec, exec, s[4:5]
	v_lshlrev_b64 v[16:17], 2, v[15:16]
	v_mov_b32_e32 v1, s17
	v_add_co_u32_e32 v16, vcc, s16, v16
	v_addc_co_u32_e32 v17, vcc, v1, v17, vcc
	global_load_dword v18, v[16:17], off
	v_cmp_ne_u32_e32 vcc, s25, v20
	s_waitcnt vmcnt(1)
	v_mul_f32_e64 v24, v8, -v4
	v_mul_f32_e32 v23, v3, v8
	v_add_u32_e32 v1, s28, v15
	v_add_u32_e32 v17, s29, v15
	;; [unrolled: 1-line block ×4, first 2 shown]
	s_waitcnt vmcnt(0)
	v_cmp_ne_u32_e64 s[4:5], 1, v18
	s_and_b64 s[4:5], vcc, s[4:5]
	s_and_saveexec_b64 s[20:21], s[4:5]
	s_xor_b64 s[20:21], exec, s[20:21]
	s_cbranch_execz .LBB210_17
; %bb.14:                               ;   in Loop: Header=BB210_5 Depth=1
	v_lshlrev_b64 v[25:26], 3, v[1:2]
	v_mov_b32_e32 v18, v2
	v_mov_b32_e32 v1, s9
	v_add_co_u32_e32 v25, vcc, s8, v25
	v_lshlrev_b64 v[17:18], 3, v[17:18]
	v_addc_co_u32_e32 v26, vcc, v1, v26, vcc
	v_add_co_u32_e32 v36, vcc, s8, v17
	v_mov_b32_e32 v17, v2
	v_lshlrev_b64 v[16:17], 3, v[16:17]
	v_addc_co_u32_e32 v37, vcc, v1, v18, vcc
	v_add_co_u32_e32 v38, vcc, s8, v16
	v_add_u32_e32 v33, v19, v20
	v_addc_co_u32_e32 v39, vcc, v1, v17, vcc
	v_add_u32_e32 v1, s28, v33
	v_lshlrev_b64 v[16:17], 3, v[1:2]
	v_mov_b32_e32 v1, s9
	v_add_co_u32_e32 v40, vcc, s8, v16
	v_addc_co_u32_e32 v41, vcc, v1, v17, vcc
	v_add_u32_e32 v1, s29, v33
	v_lshlrev_b64 v[29:30], 3, v[1:2]
	v_mul_f32_e32 v35, v5, v10
	v_mul_f32_e64 v31, v10, -v6
	v_fmac_f32_e32 v35, v6, v9
	v_fmac_f32_e32 v23, v4, v7
	v_mov_b32_e32 v1, s9
	v_fmac_f32_e32 v31, v5, v9
	v_fmac_f32_e32 v24, v3, v7
	v_add_co_u32_e32 v42, vcc, s8, v29
	v_sub_f32_e32 v29, v35, v23
	v_sub_f32_e32 v60, v31, v24
	v_addc_co_u32_e32 v43, vcc, v1, v30, vcc
	v_mul_f32_e32 v30, v29, v29
	v_fmac_f32_e32 v30, v60, v60
	v_div_scale_f32 v35, s[4:5], v30, v30, 1.0
	v_div_scale_f32 v54, vcc, 1.0, v30, 1.0
	global_load_dwordx2 v[27:28], v[25:26], off
	global_load_dwordx2 v[17:18], v[40:41], off
	;; [unrolled: 1-line block ×4, first 2 shown]
	v_add_u32_e32 v1, s30, v33
	v_lshlrev_b64 v[23:24], 3, v[1:2]
	v_mov_b32_e32 v1, s9
	v_add_co_u32_e64 v46, s[4:5], s8, v23
	v_mov_b32_e32 v16, v2
	v_addc_co_u32_e64 v47, s[4:5], v1, v24, s[4:5]
	v_rcp_f32_e32 v23, v35
	v_lshlrev_b64 v[15:16], 3, v[15:16]
	global_load_dwordx2 v[48:49], v[38:39], off
	global_load_dwordx2 v[50:51], v[46:47], off
	v_mov_b32_e32 v34, s9
	v_fma_f32 v24, -v35, v23, 1.0
	v_fmac_f32_e32 v23, v24, v23
	v_mul_f32_e32 v24, v54, v23
	v_add_co_u32_e64 v52, s[4:5], s8, v15
	v_add_u32_e32 v1, s31, v33
	v_fma_f32 v33, -v35, v24, v54
	v_addc_co_u32_e64 v53, s[4:5], v34, v16, s[4:5]
	v_lshlrev_b64 v[15:16], 3, v[1:2]
	v_fmac_f32_e32 v24, v33, v23
	v_fma_f32 v33, -v35, v24, v54
	v_mov_b32_e32 v1, s9
	v_div_fmas_f32 v23, v33, v23, v24
	global_load_dwordx2 v[54:55], v[52:53], off
	v_add_co_u32_e32 v56, vcc, s8, v15
	v_addc_co_u32_e32 v57, vcc, v1, v16, vcc
	global_load_dwordx2 v[58:59], v[56:57], off
	v_fma_f32 v16, v60, 0, -v29
	v_fma_f32 v15, 0, v29, v60
	v_div_fixup_f32 v1, v23, v30, 1.0
	v_mul_f32_e32 v16, v16, v1
	v_mul_f32_e32 v15, v15, v1
	s_waitcnt vmcnt(7)
	v_mul_f32_e64 v23, v16, -v28
	v_fmac_f32_e32 v23, v27, v15
	v_mul_f32_e32 v27, v16, v27
	v_fmac_f32_e32 v27, v28, v15
	s_waitcnt vmcnt(6)
	v_mul_f32_e32 v28, v16, v17
	v_mul_f32_e64 v24, v16, -v18
	v_fmac_f32_e32 v28, v18, v15
	v_fmac_f32_e32 v24, v17, v15
	v_mul_f32_e64 v1, v27, -v10
	v_mul_f32_e32 v18, v9, v27
	v_mul_f32_e64 v17, v28, -v8
	v_mul_f32_e32 v29, v28, v7
	v_fmac_f32_e32 v1, v9, v23
	v_fmac_f32_e32 v18, v10, v23
	;; [unrolled: 1-line block ×4, first 2 shown]
	s_waitcnt vmcnt(4)
	v_mul_f32_e32 v33, v16, v31
	v_mul_f32_e32 v35, v16, v44
	v_sub_f32_e32 v17, v1, v17
	v_sub_f32_e32 v18, v18, v29
	v_mul_f32_e64 v30, v16, -v32
	v_fmac_f32_e32 v33, v32, v15
	v_mul_f32_e64 v32, v16, -v45
	v_fmac_f32_e32 v35, v45, v15
	global_store_dwordx2 v[25:26], v[17:18], off
	v_fmac_f32_e32 v30, v31, v15
	v_fmac_f32_e32 v32, v44, v15
	v_mul_f32_e64 v1, v33, -v10
	v_mul_f32_e32 v18, v9, v33
	v_mul_f32_e64 v17, v35, -v8
	v_mul_f32_e32 v25, v35, v7
	v_fmac_f32_e32 v1, v9, v30
	v_fmac_f32_e32 v18, v10, v30
	;; [unrolled: 1-line block ×4, first 2 shown]
	v_sub_f32_e32 v17, v1, v17
	v_sub_f32_e32 v18, v18, v25
	s_waitcnt vmcnt(4)
	v_mul_f32_e32 v25, v16, v48
	s_waitcnt vmcnt(3)
	v_mul_f32_e32 v26, v16, v50
	global_store_dwordx2 v[36:37], v[17:18], off
	v_mul_f32_e64 v17, v16, -v49
	v_fmac_f32_e32 v25, v49, v15
	v_mul_f32_e64 v18, v16, -v51
	v_fmac_f32_e32 v26, v51, v15
	v_fmac_f32_e32 v17, v48, v15
	;; [unrolled: 1-line block ×3, first 2 shown]
	v_mul_f32_e32 v29, v9, v25
	v_mul_f32_e32 v34, v26, v7
	v_mul_f32_e64 v1, v25, -v10
	v_fmac_f32_e32 v29, v10, v17
	v_mul_f32_e64 v31, v26, -v8
	v_fmac_f32_e32 v34, v8, v18
	v_fmac_f32_e32 v1, v9, v17
	;; [unrolled: 1-line block ×3, first 2 shown]
	v_sub_f32_e32 v37, v29, v34
	s_waitcnt vmcnt(3)
	v_mul_f32_e32 v34, v16, v54
	v_sub_f32_e32 v36, v1, v31
	v_mul_f32_e64 v29, v16, -v55
	v_fmac_f32_e32 v34, v55, v15
	global_store_dwordx2 v[38:39], v[36:37], off
	v_fmac_f32_e32 v29, v54, v15
	s_waitcnt vmcnt(3)
	v_mul_f32_e32 v36, v16, v58
	v_mul_f32_e64 v1, v34, -v10
	v_mul_f32_e64 v31, v16, -v59
	v_fmac_f32_e32 v36, v59, v15
	v_fmac_f32_e32 v1, v9, v29
	v_mul_f32_e32 v9, v9, v34
	v_fmac_f32_e32 v31, v58, v15
	v_fmac_f32_e32 v9, v10, v29
	v_mul_f32_e64 v10, v36, -v8
	v_mul_f32_e32 v37, v36, v7
	v_fmac_f32_e32 v10, v7, v31
	v_fmac_f32_e32 v37, v8, v31
	v_sub_f32_e32 v7, v1, v10
	v_sub_f32_e32 v8, v9, v37
	global_store_dwordx2 v[52:53], v[7:8], off
	v_mul_f32_e64 v7, v27, -v3
	v_mul_f32_e32 v1, v4, v27
	v_fma_f32 v8, -v4, v23, v7
	v_mul_f32_e64 v7, v28, -v6
	v_mul_f32_e32 v9, v5, v28
	v_fma_f32 v1, -v3, v23, v1
	v_fmac_f32_e32 v7, v5, v24
	v_fmac_f32_e32 v9, v6, v24
	v_add_f32_e32 v7, v1, v7
	v_add_f32_e32 v8, v8, v9
	global_store_dwordx2 v[40:41], v[7:8], off
	v_mul_f32_e64 v7, v33, -v3
	v_mul_f32_e32 v1, v4, v33
	v_fma_f32 v8, -v4, v30, v7
	v_mul_f32_e64 v7, v35, -v6
	v_mul_f32_e32 v9, v5, v35
	v_fma_f32 v1, -v3, v30, v1
	v_fmac_f32_e32 v7, v5, v32
	v_fmac_f32_e32 v9, v6, v32
	v_add_f32_e32 v7, v1, v7
	v_add_f32_e32 v8, v8, v9
	;; [unrolled: 11-line block ×3, first 2 shown]
	global_store_dwordx2 v[46:47], v[7:8], off
	v_mul_f32_e32 v1, v4, v34
	v_mul_f32_e64 v7, v34, -v3
	v_mul_f32_e64 v8, v36, -v6
	v_mul_f32_e32 v9, v5, v36
	v_fma_f32 v1, -v3, v29, v1
	v_fma_f32 v7, -v4, v29, v7
	v_fmac_f32_e32 v8, v5, v31
	v_fmac_f32_e32 v9, v6, v31
	v_add_f32_e32 v8, v1, v8
	v_add_f32_e32 v9, v7, v9
	v_mov_b32_e32 v7, 0
	v_mov_b32_e32 v1, 0
	global_store_dwordx2 v[56:57], v[8:9], off
	s_and_saveexec_b64 s[4:5], s[2:3]
	s_cbranch_execz .LBB210_16
; %bb.15:                               ;   in Loop: Header=BB210_5 Depth=1
	v_add_u32_e32 v7, v21, v20
	v_add_u32_e32 v1, s28, v7
	v_lshlrev_b64 v[8:9], 3, v[1:2]
	v_mov_b32_e32 v1, s9
	v_add_co_u32_e32 v37, vcc, s8, v8
	v_addc_co_u32_e32 v38, vcc, v1, v9, vcc
	v_add_u32_e32 v1, s29, v7
	v_lshlrev_b64 v[39:40], 3, v[1:2]
	global_load_dwordx2 v[9:10], v[37:38], off
	v_mov_b32_e32 v1, s9
	v_add_co_u32_e32 v39, vcc, s8, v39
	v_addc_co_u32_e32 v40, vcc, v1, v40, vcc
	global_load_dwordx2 v[41:42], v[39:40], off
	v_mul_f32_e32 v1, v4, v14
	v_mul_f32_e64 v8, v14, -v3
	v_mul_f32_e64 v43, v14, -v6
	v_mul_f32_e32 v44, v5, v14
	v_fma_f32 v48, -v3, v13, v1
	v_fma_f32 v49, -v4, v13, v8
	v_fmac_f32_e32 v43, v5, v13
	v_fmac_f32_e32 v44, v6, v13
	v_ashrrev_i32_e32 v8, 31, v7
	v_mul_f32_e32 v1, v49, v27
	v_mul_f32_e64 v27, v27, -v48
	v_mul_f32_e64 v50, v28, -v44
	v_mul_f32_e32 v28, v43, v28
	v_mul_f32_e32 v51, v49, v33
	v_mul_f32_e64 v52, v35, -v44
	v_lshlrev_b64 v[3:4], 3, v[7:8]
	v_mul_f32_e32 v35, v43, v35
	v_fma_f32 v8, -v48, v23, v1
	v_fma_f32 v23, -v49, v23, v27
	v_fmac_f32_e32 v50, v43, v24
	v_fmac_f32_e32 v28, v44, v24
	v_fma_f32 v24, -v48, v30, v51
	v_fmac_f32_e32 v52, v43, v32
	v_add_u32_e32 v1, s30, v7
	v_mov_b32_e32 v47, s15
	v_mul_f32_e64 v33, v33, -v48
	v_fmac_f32_e32 v35, v44, v32
	v_sub_f32_e32 v28, v23, v28
	v_sub_f32_e32 v32, v24, v52
	v_lshlrev_b64 v[23:24], 3, v[1:2]
	v_add_co_u32_e32 v3, vcc, s14, v3
	v_fma_f32 v27, -v49, v30, v33
	v_sub_f32_e32 v30, v8, v50
	v_add_u32_e32 v1, s31, v7
	v_addc_co_u32_e32 v4, vcc, v47, v4, vcc
	v_mov_b32_e32 v45, s9
	v_lshlrev_b64 v[7:8], 3, v[1:2]
	v_add_co_u32_e32 v23, vcc, s8, v23
	v_sub_f32_e32 v33, v27, v35
	v_addc_co_u32_e32 v24, vcc, v45, v24, vcc
	v_mov_b32_e32 v46, s9
	v_add_co_u32_e32 v7, vcc, s8, v7
	v_addc_co_u32_e32 v8, vcc, v46, v8, vcc
	global_load_dwordx2 v[3:4], v[3:4], off
	v_mul_f32_e64 v1, v6, -v14
	v_mul_f32_e32 v6, v6, v13
	v_fmac_f32_e32 v1, v13, v5
	v_fmac_f32_e32 v6, v14, v5
	v_mul_f32_e32 v5, v49, v25
	v_mul_f32_e64 v13, v25, -v48
	v_mul_f32_e64 v14, v26, -v44
	v_mul_f32_e32 v25, v43, v26
	v_mul_f32_e32 v26, v49, v34
	v_fma_f32 v5, -v48, v17, v5
	v_fma_f32 v13, -v49, v17, v13
	v_fmac_f32_e32 v14, v43, v18
	v_fmac_f32_e32 v25, v44, v18
	v_fma_f32 v17, -v48, v29, v26
	v_sub_f32_e32 v5, v5, v14
	s_waitcnt vmcnt(2)
	v_add_f32_e32 v9, v30, v9
	v_add_f32_e32 v10, v28, v10
	global_store_dwordx2 v[37:38], v[9:10], off
	global_load_dwordx2 v[27:28], v[23:24], off
	v_mul_f32_e64 v30, v34, -v48
	v_mul_f32_e64 v34, v12, -v6
	s_waitcnt vmcnt(3)
	v_add_f32_e32 v9, v32, v41
	v_add_f32_e32 v10, v33, v42
	global_store_dwordx2 v[39:40], v[9:10], off
	global_load_dwordx2 v[9:10], v[7:8], off
	v_mul_f32_e64 v32, v36, -v44
	v_mul_f32_e32 v33, v43, v36
	v_mul_f32_e32 v12, v12, v1
	v_fma_f32 v18, -v49, v29, v30
	v_fmac_f32_e32 v32, v43, v31
	v_fmac_f32_e32 v33, v44, v31
	;; [unrolled: 1-line block ×4, first 2 shown]
	v_sub_f32_e32 v6, v13, v25
	v_sub_f32_e32 v11, v17, v32
	;; [unrolled: 1-line block ×3, first 2 shown]
	v_mul_f32_e64 v1, v16, -v12
	v_mul_f32_e32 v14, v16, v34
	v_fmac_f32_e32 v1, v34, v15
	v_fmac_f32_e32 v14, v12, v15
	s_waitcnt vmcnt(4)
	v_sub_f32_e32 v1, v3, v1
	s_waitcnt vmcnt(2)
	v_add_f32_e32 v5, v5, v27
	v_add_f32_e32 v6, v6, v28
	global_store_dwordx2 v[23:24], v[5:6], off
	s_waitcnt vmcnt(1)
	v_add_f32_e32 v5, v11, v9
	v_add_f32_e32 v6, v13, v10
	global_store_dwordx2 v[7:8], v[5:6], off
	v_sub_f32_e32 v7, v4, v14
.LBB210_16:                             ;   in Loop: Header=BB210_5 Depth=1
	s_or_b64 exec, exec, s[4:5]
	v_mov_b32_e32 v6, v7
	v_mov_b32_e32 v5, v1
                                        ; implicit-def: $vgpr7_vgpr8
                                        ; implicit-def: $vgpr3
                                        ; implicit-def: $vgpr9
                                        ; implicit-def: $vgpr24
                                        ; implicit-def: $vgpr23
                                        ; implicit-def: $vgpr17
                                        ; implicit-def: $vgpr16
                                        ; implicit-def: $vgpr15
.LBB210_17:                             ;   in Loop: Header=BB210_5 Depth=1
	s_or_saveexec_b64 s[2:3], s[20:21]
	v_mov_b32_e32 v8, s27
	s_xor_b64 exec, exec, s[2:3]
	s_cbranch_execz .LBB210_4
; %bb.18:                               ;   in Loop: Header=BB210_5 Depth=1
	v_lshlrev_b64 v[11:12], 3, v[1:2]
	v_mov_b32_e32 v18, v2
	v_mov_b32_e32 v1, s9
	v_lshlrev_b64 v[13:14], 3, v[17:18]
	v_add_co_u32_e32 v25, vcc, s8, v11
	v_addc_co_u32_e32 v26, vcc, v1, v12, vcc
	v_mov_b32_e32 v8, s9
	v_add_co_u32_e32 v27, vcc, s8, v13
	v_mov_b32_e32 v17, v2
	v_addc_co_u32_e32 v28, vcc, v8, v14, vcc
	v_lshlrev_b64 v[13:14], 3, v[16:17]
	v_mov_b32_e32 v16, v2
	v_add_co_u32_e32 v29, vcc, s8, v13
	v_addc_co_u32_e32 v30, vcc, v1, v14, vcc
	v_lshlrev_b64 v[13:14], 3, v[15:16]
	global_load_dwordx2 v[11:12], v[25:26], off
	v_add_co_u32_e32 v35, vcc, s8, v13
	v_addc_co_u32_e32 v36, vcc, v1, v14, vcc
	global_load_dwordx2 v[31:32], v[27:28], off
	global_load_dwordx2 v[33:34], v[29:30], off
	;; [unrolled: 1-line block ×3, first 2 shown]
	v_mul_f32_e32 v1, v6, v6
	v_fmac_f32_e32 v1, v5, v5
	v_div_scale_f32 v8, s[4:5], v1, v1, 1.0
	v_div_scale_f32 v13, vcc, 1.0, v1, 1.0
	v_rcp_f32_e32 v14, v8
	v_fma_f32 v15, -v8, v14, 1.0
	v_fmac_f32_e32 v14, v15, v14
	v_mul_f32_e32 v15, v13, v14
	v_fma_f32 v16, -v8, v15, v13
	v_fmac_f32_e32 v15, v16, v14
	v_fma_f32 v8, -v8, v15, v13
	v_div_fmas_f32 v8, v8, v14, v15
	v_fma_f32 v13, 0, v6, v5
	v_fma_f32 v5, v5, 0, -v6
	v_div_fixup_f32 v1, v8, v1, 1.0
	v_mul_f32_e32 v17, v5, v1
	v_mul_f32_e32 v8, v13, v1
	s_waitcnt vmcnt(3)
	v_mul_f32_e64 v15, v17, -v12
	v_mul_f32_e32 v16, v17, v11
	v_fmac_f32_e32 v15, v11, v8
	v_fmac_f32_e32 v16, v12, v8
	s_waitcnt vmcnt(2)
	v_mul_f32_e64 v13, v17, -v32
	v_mul_f32_e32 v14, v17, v31
	s_waitcnt vmcnt(1)
	v_mul_f32_e64 v11, v17, -v34
	v_mul_f32_e32 v12, v17, v33
	;; [unrolled: 3-line block ×3, first 2 shown]
	v_fmac_f32_e32 v13, v31, v8
	v_fmac_f32_e32 v14, v32, v8
	;; [unrolled: 1-line block ×6, first 2 shown]
	global_store_dwordx2 v[25:26], v[15:16], off
	global_store_dwordx2 v[27:28], v[13:14], off
	;; [unrolled: 1-line block ×4, first 2 shown]
	s_and_saveexec_b64 s[4:5], s[0:1]
	s_cbranch_execz .LBB210_3
; %bb.19:                               ;   in Loop: Header=BB210_5 Depth=1
	v_add_u32_e32 v18, v19, v20
	v_add_u32_e32 v1, s28, v18
	v_lshlrev_b64 v[25:26], 3, v[1:2]
	v_mov_b32_e32 v1, s9
	v_add_co_u32_e32 v25, vcc, s8, v25
	v_addc_co_u32_e32 v26, vcc, v1, v26, vcc
	global_load_dwordx2 v[27:28], v[25:26], off
	s_waitcnt vmcnt(0)
	v_fma_f32 v1, -v4, v15, v28
	v_fma_f32 v27, -v3, v15, v27
	v_fma_f32 v28, -v3, v16, v1
	v_add_u32_e32 v1, s29, v18
	v_fmac_f32_e32 v27, v4, v16
	v_lshlrev_b64 v[15:16], 3, v[1:2]
	v_mov_b32_e32 v1, s9
	v_add_co_u32_e32 v15, vcc, s8, v15
	v_addc_co_u32_e32 v16, vcc, v1, v16, vcc
	global_store_dwordx2 v[25:26], v[27:28], off
	global_load_dwordx2 v[25:26], v[15:16], off
	s_waitcnt vmcnt(0)
	v_fma_f32 v1, -v4, v13, v26
	v_fma_f32 v25, -v3, v13, v25
	v_fma_f32 v26, -v3, v14, v1
	v_add_u32_e32 v1, s30, v18
	v_fmac_f32_e32 v25, v4, v14
	v_lshlrev_b64 v[13:14], 3, v[1:2]
	v_mov_b32_e32 v1, s9
	v_add_co_u32_e32 v13, vcc, s8, v13
	v_addc_co_u32_e32 v14, vcc, v1, v14, vcc
	global_store_dwordx2 v[15:16], v[25:26], off
	global_load_dwordx2 v[15:16], v[13:14], off
	s_waitcnt vmcnt(0)
	v_fma_f32 v1, -v4, v11, v16
	v_fma_f32 v15, -v3, v11, v15
	v_fma_f32 v16, -v3, v12, v1
	v_add_u32_e32 v1, s31, v18
	v_fmac_f32_e32 v15, v4, v12
	v_lshlrev_b64 v[11:12], 3, v[1:2]
	v_mov_b32_e32 v1, s9
	v_add_co_u32_e32 v11, vcc, s8, v11
	v_addc_co_u32_e32 v12, vcc, v1, v12, vcc
	global_store_dwordx2 v[13:14], v[15:16], off
	global_load_dwordx2 v[13:14], v[11:12], off
	s_waitcnt vmcnt(0)
	v_fma_f32 v13, -v3, v5, v13
	v_fma_f32 v1, -v4, v5, v14
	v_fmac_f32_e32 v13, v4, v6
	v_fma_f32 v14, -v3, v6, v1
	global_store_dwordx2 v[11:12], v[13:14], off
	s_branch .LBB210_3
.LBB210_20:
	s_or_b64 exec, exec, s[18:19]
	s_branch .LBB210_22
.LBB210_21:
	v_mov_b32_e32 v20, 0
.LBB210_22:
	v_subrev_u32_e32 v3, s22, v20
	v_add_u32_e32 v1, v3, v0
	v_ashrrev_i32_e32 v2, 31, v1
	v_lshlrev_b64 v[1:2], 2, v[1:2]
	s_waitcnt lgkmcnt(0)
	v_mov_b32_e32 v4, s17
	v_add_co_u32_e32 v1, vcc, s16, v1
	v_addc_co_u32_e32 v2, vcc, v4, v2, vcc
	s_waitcnt vmcnt(0)
	buffer_wbinvl1_vol
	global_load_dword v1, v[1:2], off
	s_waitcnt vmcnt(0)
	v_mul_lo_u32 v1, v1, s22
	v_sub_u32_e32 v7, v3, v1
	v_cmp_lt_i32_e32 vcc, -1, v7
	s_and_b64 exec, exec, vcc
	s_cbranch_execz .LBB210_29
; %bb.23:
	s_lshl_b32 s4, s24, 2
	s_add_i32 s5, s4, s23
	s_add_i32 s6, s5, s23
	;; [unrolled: 1-line block ×3, first 2 shown]
	s_lshl_b32 s12, s22, 1
	s_mov_b64 s[0:1], 0
	v_mov_b32_e32 v8, s17
	v_mov_b32_e32 v9, s11
	;; [unrolled: 1-line block ×3, first 2 shown]
	s_branch .LBB210_25
.LBB210_24:                             ;   in Loop: Header=BB210_25 Depth=1
	s_or_b64 exec, exec, s[2:3]
	v_sub_u32_e32 v7, v7, v1
	v_cmp_gt_i32_e32 vcc, 0, v7
	s_or_b64 s[0:1], vcc, s[0:1]
	s_andn2_b64 exec, exec, s[0:1]
	s_cbranch_execz .LBB210_29
.LBB210_25:                             ; =>This Inner Loop Header: Depth=1
	v_add_u32_e32 v5, v7, v0
	v_ashrrev_i32_e32 v6, 31, v5
	s_waitcnt vmcnt(0)
	v_lshlrev_b64 v[3:4], 2, v[5:6]
	v_add_co_u32_e32 v3, vcc, s16, v3
	v_addc_co_u32_e32 v4, vcc, v8, v4, vcc
	global_load_dword v1, v[3:4], off
	v_lshlrev_b64 v[3:4], 3, v[5:6]
	v_add_co_u32_e32 v3, vcc, s10, v3
	v_addc_co_u32_e32 v4, vcc, v9, v4, vcc
	global_load_dwordx2 v[3:4], v[3:4], off
	s_waitcnt vmcnt(1)
	v_cmp_ne_u32_e32 vcc, 1, v1
	s_and_saveexec_b64 s[2:3], vcc
	s_xor_b64 s[2:3], exec, s[2:3]
	s_cbranch_execz .LBB210_27
; %bb.26:                               ;   in Loop: Header=BB210_25 Depth=1
	v_add_u32_e32 v6, v19, v7
	v_add_u32_e32 v1, s4, v6
	v_lshlrev_b64 v[10:11], 3, v[1:2]
	v_mov_b32_e32 v1, s9
	v_add_co_u32_e32 v10, vcc, s8, v10
	v_addc_co_u32_e32 v11, vcc, v1, v11, vcc
	v_add_u32_e32 v1, s5, v6
	v_lshlrev_b64 v[12:13], 3, v[1:2]
	v_add_u32_e32 v1, s6, v6
	v_lshlrev_b64 v[14:15], 3, v[1:2]
	;; [unrolled: 2-line block ×4, first 2 shown]
	v_mov_b32_e32 v1, s9
	v_add_co_u32_e32 v20, vcc, s8, v20
	v_addc_co_u32_e32 v21, vcc, v1, v21, vcc
	global_load_dwordx2 v[10:11], v[10:11], off
	v_add_co_u32_e32 v12, vcc, s8, v12
	global_load_dwordx2 v[22:23], v[20:21], off
	v_addc_co_u32_e32 v13, vcc, v1, v13, vcc
	v_mov_b32_e32 v6, s9
	v_add_co_u32_e32 v14, vcc, s8, v14
	v_addc_co_u32_e32 v15, vcc, v6, v15, vcc
	v_add_u32_e32 v1, s5, v5
	v_mov_b32_e32 v18, s9
	v_add_co_u32_e32 v16, vcc, s8, v16
	v_lshlrev_b64 v[24:25], 3, v[1:2]
	v_addc_co_u32_e32 v17, vcc, v18, v17, vcc
	global_load_dwordx2 v[26:27], v[12:13], off
	global_load_dwordx2 v[28:29], v[14:15], off
	;; [unrolled: 1-line block ×3, first 2 shown]
	v_mov_b32_e32 v32, s9
	v_add_co_u32_e32 v12, vcc, s8, v24
	v_addc_co_u32_e32 v13, vcc, v32, v25, vcc
	s_waitcnt vmcnt(3)
	v_fma_f32 v14, -v3, v10, v22
	v_fma_f32 v1, -v4, v10, v23
	v_fmac_f32_e32 v14, v4, v11
	v_fma_f32 v15, -v3, v11, v1
	global_store_dwordx2 v[20:21], v[14:15], off
	global_load_dwordx2 v[14:15], v[12:13], off
	v_add_u32_e32 v1, s6, v5
	v_lshlrev_b64 v[16:17], 3, v[1:2]
	v_mov_b32_e32 v20, s9
	v_add_co_u32_e32 v16, vcc, s8, v16
	v_addc_co_u32_e32 v17, vcc, v6, v17, vcc
	s_waitcnt vmcnt(0)
	v_fma_f32 v14, -v3, v26, v14
	v_fma_f32 v1, -v4, v26, v15
	v_fmac_f32_e32 v14, v4, v27
	v_fma_f32 v15, -v3, v27, v1
	global_store_dwordx2 v[12:13], v[14:15], off
	global_load_dwordx2 v[12:13], v[16:17], off
	v_add_u32_e32 v1, s7, v5
	v_lshlrev_b64 v[5:6], 3, v[1:2]
	v_mov_b32_e32 v14, s9
	v_add_co_u32_e32 v5, vcc, s8, v5
	v_addc_co_u32_e32 v6, vcc, v14, v6, vcc
	s_waitcnt vmcnt(0)
	v_fma_f32 v12, -v3, v28, v12
	v_fma_f32 v1, -v4, v28, v13
	v_fmac_f32_e32 v12, v4, v29
	v_fma_f32 v13, -v3, v29, v1
	global_store_dwordx2 v[16:17], v[12:13], off
	global_load_dwordx2 v[12:13], v[5:6], off
	v_subrev_u32_e32 v1, s22, v7
	v_add_u32_e32 v14, v1, v0
	v_ashrrev_i32_e32 v15, 31, v14
	v_lshlrev_b64 v[15:16], 3, v[14:15]
	v_mov_b32_e32 v17, s11
	v_add_co_u32_e32 v15, vcc, s10, v15
	v_add_u32_e32 v1, s4, v14
	v_addc_co_u32_e32 v16, vcc, v17, v16, vcc
	v_lshlrev_b64 v[17:18], 3, v[1:2]
	global_load_dwordx2 v[15:16], v[15:16], off
	v_add_co_u32_e32 v17, vcc, s8, v17
	v_addc_co_u32_e32 v18, vcc, v20, v18, vcc
	s_waitcnt vmcnt(1)
	v_fma_f32 v12, -v3, v30, v12
	v_fma_f32 v1, -v4, v30, v13
	v_fmac_f32_e32 v12, v4, v31
	v_fma_f32 v13, -v3, v31, v1
	global_store_dwordx2 v[5:6], v[12:13], off
	global_load_dwordx2 v[3:4], v[17:18], off
	v_add_u32_e32 v1, s5, v14
	v_lshlrev_b64 v[5:6], 3, v[1:2]
	v_mov_b32_e32 v12, s9
	v_add_co_u32_e32 v5, vcc, s8, v5
	v_addc_co_u32_e32 v6, vcc, v12, v6, vcc
	s_waitcnt vmcnt(0)
	v_fma_f32 v3, -v15, v10, v3
	v_fma_f32 v1, -v16, v10, v4
	v_fmac_f32_e32 v3, v16, v11
	v_fma_f32 v4, -v15, v11, v1
	global_store_dwordx2 v[17:18], v[3:4], off
	global_load_dwordx2 v[3:4], v[5:6], off
	v_add_u32_e32 v1, s6, v14
	v_lshlrev_b64 v[10:11], 3, v[1:2]
	v_add_co_u32_e32 v10, vcc, s8, v10
	v_addc_co_u32_e32 v11, vcc, v12, v11, vcc
	s_waitcnt vmcnt(0)
	v_fma_f32 v3, -v15, v26, v3
	v_fma_f32 v1, -v16, v26, v4
	v_fmac_f32_e32 v3, v16, v27
	v_fma_f32 v4, -v15, v27, v1
	global_store_dwordx2 v[5:6], v[3:4], off
	global_load_dwordx2 v[3:4], v[10:11], off
	v_add_u32_e32 v1, s7, v14
	v_lshlrev_b64 v[5:6], 3, v[1:2]
	v_add_co_u32_e32 v5, vcc, s8, v5
	v_addc_co_u32_e32 v6, vcc, v12, v6, vcc
	s_waitcnt vmcnt(0)
	v_fma_f32 v3, -v15, v28, v3
	v_fma_f32 v1, -v16, v28, v4
	v_fmac_f32_e32 v3, v16, v29
	v_fma_f32 v4, -v15, v29, v1
	global_store_dwordx2 v[10:11], v[3:4], off
	global_load_dwordx2 v[3:4], v[5:6], off
	s_waitcnt vmcnt(0)
	v_fma_f32 v3, -v15, v30, v3
	v_fma_f32 v1, -v16, v30, v4
	v_fmac_f32_e32 v3, v16, v31
	v_fma_f32 v4, -v15, v31, v1
	global_store_dwordx2 v[5:6], v[3:4], off
                                        ; implicit-def: $vgpr5
                                        ; implicit-def: $vgpr3_vgpr4
.LBB210_27:                             ;   in Loop: Header=BB210_25 Depth=1
	s_or_saveexec_b64 s[2:3], s[2:3]
	v_mov_b32_e32 v1, s12
	s_xor_b64 exec, exec, s[2:3]
	s_cbranch_execz .LBB210_24
; %bb.28:                               ;   in Loop: Header=BB210_25 Depth=1
	v_add_u32_e32 v6, v19, v7
	v_add_u32_e32 v1, s4, v6
	v_lshlrev_b64 v[10:11], 3, v[1:2]
	v_mov_b32_e32 v1, s9
	v_add_co_u32_e32 v10, vcc, s8, v10
	v_addc_co_u32_e32 v11, vcc, v1, v11, vcc
	v_add_u32_e32 v1, s4, v5
	v_lshlrev_b64 v[12:13], 3, v[1:2]
	v_mov_b32_e32 v1, s9
	v_add_co_u32_e32 v12, vcc, s8, v12
	v_addc_co_u32_e32 v13, vcc, v1, v13, vcc
	global_load_dwordx2 v[14:15], v[10:11], off
	global_load_dwordx2 v[16:17], v[12:13], off
	v_add_u32_e32 v1, s5, v6
	v_lshlrev_b64 v[10:11], 3, v[1:2]
	v_add_u32_e32 v1, s5, v5
	v_mov_b32_e32 v18, s9
	v_lshlrev_b64 v[20:21], 3, v[1:2]
	v_add_co_u32_e32 v10, vcc, s8, v10
	v_addc_co_u32_e32 v11, vcc, v18, v11, vcc
	v_mov_b32_e32 v22, s9
	v_add_co_u32_e32 v20, vcc, s8, v20
	v_addc_co_u32_e32 v21, vcc, v22, v21, vcc
	s_waitcnt vmcnt(0)
	v_fma_f32 v16, -v3, v14, v16
	v_fma_f32 v1, -v4, v14, v17
	v_fmac_f32_e32 v16, v4, v15
	v_fma_f32 v17, -v3, v15, v1
	global_store_dwordx2 v[12:13], v[16:17], off
	global_load_dwordx2 v[12:13], v[10:11], off
	s_nop 0
	global_load_dwordx2 v[14:15], v[20:21], off
	v_add_u32_e32 v1, s6, v6
	v_lshlrev_b64 v[10:11], 3, v[1:2]
	v_add_u32_e32 v1, s6, v5
	v_lshlrev_b64 v[16:17], 3, v[1:2]
	v_add_co_u32_e32 v10, vcc, s8, v10
	v_addc_co_u32_e32 v11, vcc, v18, v11, vcc
	v_add_co_u32_e32 v16, vcc, s8, v16
	v_addc_co_u32_e32 v17, vcc, v22, v17, vcc
	s_waitcnt vmcnt(0)
	v_fma_f32 v14, -v3, v12, v14
	v_fma_f32 v1, -v4, v12, v15
	v_fmac_f32_e32 v14, v4, v13
	v_fma_f32 v15, -v3, v13, v1
	global_store_dwordx2 v[20:21], v[14:15], off
	global_load_dwordx2 v[12:13], v[10:11], off
	s_nop 0
	global_load_dwordx2 v[14:15], v[16:17], off
	v_add_u32_e32 v1, s7, v6
	v_lshlrev_b64 v[10:11], 3, v[1:2]
	v_add_u32_e32 v1, s7, v5
	v_lshlrev_b64 v[5:6], 3, v[1:2]
	v_add_co_u32_e32 v10, vcc, s8, v10
	v_addc_co_u32_e32 v11, vcc, v18, v11, vcc
	v_mov_b32_e32 v20, s9
	v_add_co_u32_e32 v5, vcc, s8, v5
	v_addc_co_u32_e32 v6, vcc, v20, v6, vcc
	s_waitcnt vmcnt(0)
	v_fma_f32 v14, -v3, v12, v14
	v_fma_f32 v1, -v4, v12, v15
	v_fmac_f32_e32 v14, v4, v13
	v_fma_f32 v15, -v3, v13, v1
	global_store_dwordx2 v[16:17], v[14:15], off
	global_load_dwordx2 v[12:13], v[10:11], off
	s_nop 0
	global_load_dwordx2 v[14:15], v[5:6], off
	s_waitcnt vmcnt(0)
	v_fma_f32 v10, -v3, v12, v14
	v_fma_f32 v1, -v4, v12, v15
	v_fmac_f32_e32 v10, v4, v13
	v_fma_f32 v11, -v3, v13, v1
	v_mov_b32_e32 v1, s22
	global_store_dwordx2 v[5:6], v[10:11], off
	s_branch .LBB210_24
.LBB210_29:
	s_endpgm
	.section	.rodata,"a",@progbits
	.p2align	6, 0x0
	.amdhsa_kernel _ZN9rocsparseL19gtsv_LBM_rhs_kernelILj256ELj8ELj4E21rocsparse_complex_numIfEEEviiiPKT2_S5_S5_PS3_S5_PKi
		.amdhsa_group_segment_fixed_size 0
		.amdhsa_private_segment_fixed_size 0
		.amdhsa_kernarg_size 64
		.amdhsa_user_sgpr_count 6
		.amdhsa_user_sgpr_private_segment_buffer 1
		.amdhsa_user_sgpr_dispatch_ptr 0
		.amdhsa_user_sgpr_queue_ptr 0
		.amdhsa_user_sgpr_kernarg_segment_ptr 1
		.amdhsa_user_sgpr_dispatch_id 0
		.amdhsa_user_sgpr_flat_scratch_init 0
		.amdhsa_user_sgpr_private_segment_size 0
		.amdhsa_uses_dynamic_stack 0
		.amdhsa_system_sgpr_private_segment_wavefront_offset 0
		.amdhsa_system_sgpr_workgroup_id_x 1
		.amdhsa_system_sgpr_workgroup_id_y 1
		.amdhsa_system_sgpr_workgroup_id_z 0
		.amdhsa_system_sgpr_workgroup_info 0
		.amdhsa_system_vgpr_workitem_id 0
		.amdhsa_next_free_vgpr 61
		.amdhsa_next_free_sgpr 32
		.amdhsa_reserve_vcc 1
		.amdhsa_reserve_flat_scratch 0
		.amdhsa_float_round_mode_32 0
		.amdhsa_float_round_mode_16_64 0
		.amdhsa_float_denorm_mode_32 3
		.amdhsa_float_denorm_mode_16_64 3
		.amdhsa_dx10_clamp 1
		.amdhsa_ieee_mode 1
		.amdhsa_fp16_overflow 0
		.amdhsa_exception_fp_ieee_invalid_op 0
		.amdhsa_exception_fp_denorm_src 0
		.amdhsa_exception_fp_ieee_div_zero 0
		.amdhsa_exception_fp_ieee_overflow 0
		.amdhsa_exception_fp_ieee_underflow 0
		.amdhsa_exception_fp_ieee_inexact 0
		.amdhsa_exception_int_div_zero 0
	.end_amdhsa_kernel
	.section	.text._ZN9rocsparseL19gtsv_LBM_rhs_kernelILj256ELj8ELj4E21rocsparse_complex_numIfEEEviiiPKT2_S5_S5_PS3_S5_PKi,"axG",@progbits,_ZN9rocsparseL19gtsv_LBM_rhs_kernelILj256ELj8ELj4E21rocsparse_complex_numIfEEEviiiPKT2_S5_S5_PS3_S5_PKi,comdat
.Lfunc_end210:
	.size	_ZN9rocsparseL19gtsv_LBM_rhs_kernelILj256ELj8ELj4E21rocsparse_complex_numIfEEEviiiPKT2_S5_S5_PS3_S5_PKi, .Lfunc_end210-_ZN9rocsparseL19gtsv_LBM_rhs_kernelILj256ELj8ELj4E21rocsparse_complex_numIfEEEviiiPKT2_S5_S5_PS3_S5_PKi
                                        ; -- End function
	.set _ZN9rocsparseL19gtsv_LBM_rhs_kernelILj256ELj8ELj4E21rocsparse_complex_numIfEEEviiiPKT2_S5_S5_PS3_S5_PKi.num_vgpr, 61
	.set _ZN9rocsparseL19gtsv_LBM_rhs_kernelILj256ELj8ELj4E21rocsparse_complex_numIfEEEviiiPKT2_S5_S5_PS3_S5_PKi.num_agpr, 0
	.set _ZN9rocsparseL19gtsv_LBM_rhs_kernelILj256ELj8ELj4E21rocsparse_complex_numIfEEEviiiPKT2_S5_S5_PS3_S5_PKi.numbered_sgpr, 32
	.set _ZN9rocsparseL19gtsv_LBM_rhs_kernelILj256ELj8ELj4E21rocsparse_complex_numIfEEEviiiPKT2_S5_S5_PS3_S5_PKi.num_named_barrier, 0
	.set _ZN9rocsparseL19gtsv_LBM_rhs_kernelILj256ELj8ELj4E21rocsparse_complex_numIfEEEviiiPKT2_S5_S5_PS3_S5_PKi.private_seg_size, 0
	.set _ZN9rocsparseL19gtsv_LBM_rhs_kernelILj256ELj8ELj4E21rocsparse_complex_numIfEEEviiiPKT2_S5_S5_PS3_S5_PKi.uses_vcc, 1
	.set _ZN9rocsparseL19gtsv_LBM_rhs_kernelILj256ELj8ELj4E21rocsparse_complex_numIfEEEviiiPKT2_S5_S5_PS3_S5_PKi.uses_flat_scratch, 0
	.set _ZN9rocsparseL19gtsv_LBM_rhs_kernelILj256ELj8ELj4E21rocsparse_complex_numIfEEEviiiPKT2_S5_S5_PS3_S5_PKi.has_dyn_sized_stack, 0
	.set _ZN9rocsparseL19gtsv_LBM_rhs_kernelILj256ELj8ELj4E21rocsparse_complex_numIfEEEviiiPKT2_S5_S5_PS3_S5_PKi.has_recursion, 0
	.set _ZN9rocsparseL19gtsv_LBM_rhs_kernelILj256ELj8ELj4E21rocsparse_complex_numIfEEEviiiPKT2_S5_S5_PS3_S5_PKi.has_indirect_call, 0
	.section	.AMDGPU.csdata,"",@progbits
; Kernel info:
; codeLenInByte = 4380
; TotalNumSgprs: 36
; NumVgprs: 61
; ScratchSize: 0
; MemoryBound: 0
; FloatMode: 240
; IeeeMode: 1
; LDSByteSize: 0 bytes/workgroup (compile time only)
; SGPRBlocks: 4
; VGPRBlocks: 15
; NumSGPRsForWavesPerEU: 36
; NumVGPRsForWavesPerEU: 61
; Occupancy: 4
; WaveLimiterHint : 0
; COMPUTE_PGM_RSRC2:SCRATCH_EN: 0
; COMPUTE_PGM_RSRC2:USER_SGPR: 6
; COMPUTE_PGM_RSRC2:TRAP_HANDLER: 0
; COMPUTE_PGM_RSRC2:TGID_X_EN: 1
; COMPUTE_PGM_RSRC2:TGID_Y_EN: 1
; COMPUTE_PGM_RSRC2:TGID_Z_EN: 0
; COMPUTE_PGM_RSRC2:TIDIG_COMP_CNT: 0
	.section	.text._ZN9rocsparseL19gtsv_LBM_rhs_kernelILj256ELj8ELj2E21rocsparse_complex_numIfEEEviiiPKT2_S5_S5_PS3_S5_PKi,"axG",@progbits,_ZN9rocsparseL19gtsv_LBM_rhs_kernelILj256ELj8ELj2E21rocsparse_complex_numIfEEEviiiPKT2_S5_S5_PS3_S5_PKi,comdat
	.globl	_ZN9rocsparseL19gtsv_LBM_rhs_kernelILj256ELj8ELj2E21rocsparse_complex_numIfEEEviiiPKT2_S5_S5_PS3_S5_PKi ; -- Begin function _ZN9rocsparseL19gtsv_LBM_rhs_kernelILj256ELj8ELj2E21rocsparse_complex_numIfEEEviiiPKT2_S5_S5_PS3_S5_PKi
	.p2align	8
	.type	_ZN9rocsparseL19gtsv_LBM_rhs_kernelILj256ELj8ELj2E21rocsparse_complex_numIfEEEviiiPKT2_S5_S5_PS3_S5_PKi,@function
_ZN9rocsparseL19gtsv_LBM_rhs_kernelILj256ELj8ELj2E21rocsparse_complex_numIfEEEviiiPKT2_S5_S5_PS3_S5_PKi: ; @_ZN9rocsparseL19gtsv_LBM_rhs_kernelILj256ELj8ELj2E21rocsparse_complex_numIfEEEviiiPKT2_S5_S5_PS3_S5_PKi
; %bb.0:
	s_load_dword s23, s[4:5], 0x0
	v_lshl_or_b32 v0, s6, 8, v0
	s_waitcnt lgkmcnt(0)
	s_lshr_b32 s22, s23, 3
	v_cmp_gt_i32_e32 vcc, s22, v0
	s_and_saveexec_b64 s[0:1], vcc
	s_cbranch_execz .LBB211_29
; %bb.1:
	s_load_dwordx4 s[8:11], s[4:5], 0x28
	s_load_dwordx2 s[16:17], s[4:5], 0x38
	s_cmp_lt_i32 s23, 1
	v_add_u32_e32 v17, s22, v0
	s_mul_i32 s24, s7, s23
	s_cbranch_scc1 .LBB211_21
; %bb.2:
	s_load_dwordx4 s[12:15], s[4:5], 0x10
	s_load_dwordx2 s[6:7], s[4:5], 0x20
	v_ashrrev_i32_e32 v1, 31, v0
	v_lshlrev_b64 v[1:2], 3, v[0:1]
	s_lshl_b32 s28, s24, 1
	s_waitcnt lgkmcnt(0)
	v_mov_b32_e32 v3, s15
	v_add_co_u32_e32 v1, vcc, s14, v1
	v_addc_co_u32_e32 v2, vcc, v3, v2, vcc
	global_load_dwordx2 v[5:6], v[1:2], off
	s_mul_i32 s25, s22, 7
	s_mul_i32 s26, s22, 6
	s_lshl_b32 s27, s22, 1
	v_add_u32_e32 v19, s22, v17
	s_add_i32 s29, s28, s23
	v_mov_b32_e32 v2, 0
	s_mov_b64 s[18:19], 0
	v_mov_b32_e32 v20, s7
	v_mov_b32_e32 v18, 0
	s_branch .LBB211_5
.LBB211_3:                              ;   in Loop: Header=BB211_5 Depth=1
	s_or_b64 exec, exec, s[4:5]
	v_fmac_f32_e32 v22, v3, v7
	v_fmac_f32_e32 v21, v4, v7
	v_mul_f32_e64 v1, v13, -v21
	v_mul_f32_e32 v3, v13, v22
	v_fmac_f32_e32 v1, v22, v10
	v_fmac_f32_e32 v3, v21, v10
	v_sub_f32_e32 v5, v11, v1
	v_sub_f32_e32 v6, v12, v3
	v_mov_b32_e32 v8, s22
.LBB211_4:                              ;   in Loop: Header=BB211_5 Depth=1
	s_or_b64 exec, exec, s[2:3]
	v_add_u32_e32 v18, v8, v18
	v_cmp_le_i32_e32 vcc, s23, v18
	s_or_b64 s[18:19], vcc, s[18:19]
	s_andn2_b64 exec, exec, s[18:19]
	s_cbranch_execz .LBB211_20
.LBB211_5:                              ; =>This Inner Loop Header: Depth=1
	v_add_u32_e32 v15, v18, v0
	v_ashrrev_i32_e32 v16, 31, v15
	v_lshlrev_b64 v[3:4], 3, v[15:16]
	v_cmp_gt_u32_e64 s[0:1], s25, v18
	v_add_co_u32_e32 v3, vcc, s6, v3
	v_addc_co_u32_e32 v4, vcc, v20, v4, vcc
	global_load_dwordx2 v[7:8], v[3:4], off
	v_mov_b32_e32 v3, 0
	v_mov_b32_e32 v4, 0
	s_and_saveexec_b64 s[2:3], s[0:1]
	s_cbranch_execz .LBB211_7
; %bb.6:                                ;   in Loop: Header=BB211_5 Depth=1
	v_add_u32_e32 v3, v17, v18
	v_ashrrev_i32_e32 v4, 31, v3
	v_lshlrev_b64 v[3:4], 3, v[3:4]
	v_mov_b32_e32 v1, s13
	v_add_co_u32_e32 v3, vcc, s12, v3
	v_addc_co_u32_e32 v4, vcc, v1, v4, vcc
	global_load_dwordx2 v[3:4], v[3:4], off
.LBB211_7:                              ;   in Loop: Header=BB211_5 Depth=1
	s_or_b64 exec, exec, s[2:3]
	v_mov_b32_e32 v9, 0
	v_mov_b32_e32 v11, 0
	;; [unrolled: 1-line block ×3, first 2 shown]
	s_and_saveexec_b64 s[2:3], s[0:1]
	s_cbranch_execz .LBB211_9
; %bb.8:                                ;   in Loop: Header=BB211_5 Depth=1
	v_add_u32_e32 v10, v17, v18
	v_ashrrev_i32_e32 v11, 31, v10
	v_lshlrev_b64 v[10:11], 3, v[10:11]
	v_mov_b32_e32 v1, s15
	v_add_co_u32_e32 v10, vcc, s14, v10
	v_addc_co_u32_e32 v11, vcc, v1, v11, vcc
	global_load_dwordx2 v[11:12], v[10:11], off
.LBB211_9:                              ;   in Loop: Header=BB211_5 Depth=1
	s_or_b64 exec, exec, s[2:3]
	v_mov_b32_e32 v10, 0
	s_and_saveexec_b64 s[2:3], s[0:1]
	s_cbranch_execz .LBB211_11
; %bb.10:                               ;   in Loop: Header=BB211_5 Depth=1
	v_add_u32_e32 v9, v17, v18
	v_ashrrev_i32_e32 v10, 31, v9
	v_lshlrev_b64 v[9:10], 3, v[9:10]
	v_mov_b32_e32 v1, s7
	v_add_co_u32_e32 v9, vcc, s6, v9
	v_addc_co_u32_e32 v10, vcc, v1, v10, vcc
	global_load_dwordx2 v[9:10], v[9:10], off
.LBB211_11:                             ;   in Loop: Header=BB211_5 Depth=1
	s_or_b64 exec, exec, s[2:3]
	v_cmp_gt_u32_e64 s[2:3], s26, v18
	v_mov_b32_e32 v13, 0
	v_mov_b32_e32 v14, 0
	s_and_saveexec_b64 s[4:5], s[2:3]
	s_cbranch_execz .LBB211_13
; %bb.12:                               ;   in Loop: Header=BB211_5 Depth=1
	v_add_u32_e32 v13, v19, v18
	v_ashrrev_i32_e32 v14, 31, v13
	v_lshlrev_b64 v[13:14], 3, v[13:14]
	v_mov_b32_e32 v1, s13
	v_add_co_u32_e32 v13, vcc, s12, v13
	v_addc_co_u32_e32 v14, vcc, v1, v14, vcc
	global_load_dwordx2 v[13:14], v[13:14], off
.LBB211_13:                             ;   in Loop: Header=BB211_5 Depth=1
	s_or_b64 exec, exec, s[4:5]
	v_lshlrev_b64 v[21:22], 2, v[15:16]
	v_mov_b32_e32 v1, s17
	v_add_co_u32_e32 v21, vcc, s16, v21
	v_addc_co_u32_e32 v22, vcc, v1, v22, vcc
	global_load_dword v16, v[21:22], off
	v_cmp_ne_u32_e32 vcc, s25, v18
	s_waitcnt vmcnt(1)
	v_mul_f32_e64 v22, v8, -v4
	v_mul_f32_e32 v21, v3, v8
	v_add_u32_e32 v1, s28, v15
	v_add_u32_e32 v15, s29, v15
	s_waitcnt vmcnt(0)
	v_cmp_ne_u32_e64 s[4:5], 1, v16
	s_and_b64 s[4:5], vcc, s[4:5]
	s_and_saveexec_b64 s[20:21], s[4:5]
	s_xor_b64 s[20:21], exec, s[20:21]
	s_cbranch_execz .LBB211_17
; %bb.14:                               ;   in Loop: Header=BB211_5 Depth=1
	v_lshlrev_b64 v[23:24], 3, v[1:2]
	v_mov_b32_e32 v16, v2
	v_mov_b32_e32 v1, s9
	v_add_co_u32_e32 v25, vcc, s8, v23
	v_lshlrev_b64 v[15:16], 3, v[15:16]
	v_addc_co_u32_e32 v26, vcc, v1, v24, vcc
	v_mul_f32_e32 v23, v5, v12
	v_add_co_u32_e32 v29, vcc, s8, v15
	v_mul_f32_e64 v15, v12, -v6
	v_fmac_f32_e32 v23, v6, v11
	v_fmac_f32_e32 v21, v4, v7
	;; [unrolled: 1-line block ×4, first 2 shown]
	v_sub_f32_e32 v21, v23, v21
	v_sub_f32_e32 v22, v15, v22
	v_mul_f32_e32 v23, v21, v21
	v_fmac_f32_e32 v23, v22, v22
	v_div_scale_f32 v24, s[4:5], v23, v23, 1.0
	v_addc_co_u32_e32 v30, vcc, v1, v16, vcc
	v_div_scale_f32 v35, vcc, 1.0, v23, 1.0
	v_add_u32_e32 v27, v17, v18
	v_add_u32_e32 v1, s28, v27
	v_lshlrev_b64 v[15:16], 3, v[1:2]
	v_mov_b32_e32 v1, s9
	v_add_co_u32_e64 v31, s[4:5], s8, v15
	v_addc_co_u32_e64 v32, s[4:5], v1, v16, s[4:5]
	v_add_u32_e32 v1, s29, v27
	v_lshlrev_b64 v[15:16], 3, v[1:2]
	v_rcp_f32_e32 v36, v24
	v_mov_b32_e32 v1, s9
	v_add_co_u32_e64 v33, s[4:5], s8, v15
	v_addc_co_u32_e64 v34, s[4:5], v1, v16, s[4:5]
	v_fma_f32 v1, -v24, v36, 1.0
	v_fmac_f32_e32 v36, v1, v36
	v_mul_f32_e32 v1, v35, v36
	v_fma_f32 v15, -v24, v1, v35
	v_fmac_f32_e32 v1, v15, v36
	v_fma_f32 v15, -v24, v1, v35
	global_load_dwordx2 v[27:28], v[25:26], off
	v_div_fmas_f32 v1, v15, v36, v1
	global_load_dwordx2 v[35:36], v[31:32], off
	v_fma_f32 v16, v22, 0, -v21
	v_fma_f32 v15, 0, v21, v22
	v_div_fixup_f32 v1, v1, v23, 1.0
	v_mul_f32_e32 v16, v16, v1
	v_mul_f32_e32 v15, v15, v1
	s_waitcnt vmcnt(1)
	v_mul_f32_e32 v23, v16, v27
	v_mul_f32_e64 v22, v16, -v28
	s_waitcnt vmcnt(0)
	v_mul_f32_e32 v24, v16, v35
	v_fmac_f32_e32 v23, v28, v15
	v_mul_f32_e64 v21, v16, -v36
	v_fmac_f32_e32 v24, v36, v15
	v_fmac_f32_e32 v22, v27, v15
	;; [unrolled: 1-line block ×3, first 2 shown]
	v_mul_f32_e32 v28, v11, v23
	v_mul_f32_e32 v35, v24, v7
	v_fmac_f32_e32 v28, v12, v22
	v_fmac_f32_e32 v35, v8, v21
	v_sub_f32_e32 v28, v28, v35
	global_load_dwordx2 v[35:36], v[29:30], off
	global_load_dwordx2 v[37:38], v[33:34], off
	v_mul_f32_e64 v1, v23, -v12
	v_mul_f32_e64 v27, v24, -v8
	v_fmac_f32_e32 v1, v11, v22
	v_fmac_f32_e32 v27, v7, v21
	v_sub_f32_e32 v27, v1, v27
	global_store_dwordx2 v[25:26], v[27:28], off
	s_waitcnt vmcnt(2)
	v_mul_f32_e32 v27, v16, v35
	v_mul_f32_e64 v25, v16, -v36
	v_fmac_f32_e32 v27, v36, v15
	v_fmac_f32_e32 v25, v35, v15
	s_waitcnt vmcnt(1)
	v_mul_f32_e32 v28, v16, v37
	v_mul_f32_e64 v1, v27, -v12
	v_mul_f32_e64 v26, v16, -v38
	v_fmac_f32_e32 v28, v38, v15
	v_fmac_f32_e32 v1, v11, v25
	v_mul_f32_e32 v11, v11, v27
	v_fmac_f32_e32 v26, v37, v15
	v_fmac_f32_e32 v11, v12, v25
	v_mul_f32_e64 v12, v28, -v8
	v_mul_f32_e32 v35, v28, v7
	v_fmac_f32_e32 v12, v7, v26
	v_fmac_f32_e32 v35, v8, v26
	v_sub_f32_e32 v7, v1, v12
	v_sub_f32_e32 v8, v11, v35
	global_store_dwordx2 v[29:30], v[7:8], off
	v_mul_f32_e64 v7, v23, -v3
	v_mul_f32_e32 v1, v4, v23
	v_fma_f32 v8, -v4, v22, v7
	v_mul_f32_e64 v7, v24, -v6
	v_mul_f32_e32 v11, v5, v24
	v_fma_f32 v1, -v3, v22, v1
	v_fmac_f32_e32 v7, v5, v21
	v_fmac_f32_e32 v11, v6, v21
	v_add_f32_e32 v7, v1, v7
	v_add_f32_e32 v8, v8, v11
	global_store_dwordx2 v[31:32], v[7:8], off
	v_mul_f32_e32 v1, v4, v27
	v_mul_f32_e64 v7, v27, -v3
	v_mul_f32_e64 v8, v28, -v6
	v_mul_f32_e32 v12, v5, v28
	v_fma_f32 v1, -v3, v25, v1
	v_fma_f32 v7, -v4, v25, v7
	v_fmac_f32_e32 v8, v5, v26
	v_fmac_f32_e32 v12, v6, v26
	v_add_f32_e32 v11, v1, v8
	v_add_f32_e32 v12, v7, v12
	v_mov_b32_e32 v7, 0
	v_mov_b32_e32 v1, 0
	global_store_dwordx2 v[33:34], v[11:12], off
	s_and_saveexec_b64 s[4:5], s[2:3]
	s_cbranch_execz .LBB211_16
; %bb.15:                               ;   in Loop: Header=BB211_5 Depth=1
	v_add_u32_e32 v7, v19, v18
	v_add_u32_e32 v1, s28, v7
	v_lshlrev_b64 v[11:12], 3, v[1:2]
	v_mov_b32_e32 v1, s9
	v_add_co_u32_e32 v11, vcc, s8, v11
	v_ashrrev_i32_e32 v8, 31, v7
	v_addc_co_u32_e32 v12, vcc, v1, v12, vcc
	v_add_u32_e32 v1, s29, v7
	v_lshlrev_b64 v[7:8], 3, v[7:8]
	v_mov_b32_e32 v29, s15
	v_add_co_u32_e32 v7, vcc, s14, v7
	v_addc_co_u32_e32 v8, vcc, v29, v8, vcc
	v_lshlrev_b64 v[29:30], 3, v[1:2]
	v_mov_b32_e32 v1, s9
	global_load_dwordx2 v[31:32], v[11:12], off
	global_load_dwordx2 v[33:34], v[7:8], off
	v_add_co_u32_e32 v7, vcc, s8, v29
	v_addc_co_u32_e32 v8, vcc, v1, v30, vcc
	global_load_dwordx2 v[29:30], v[7:8], off
	v_mul_f32_e32 v1, v4, v14
	v_mul_f32_e64 v35, v14, -v3
	v_mul_f32_e64 v36, v14, -v6
	v_mul_f32_e32 v37, v5, v14
	v_fma_f32 v1, -v3, v13, v1
	v_fma_f32 v3, -v4, v13, v35
	v_mul_f32_e64 v4, v6, -v14
	v_mul_f32_e32 v35, v6, v13
	v_fmac_f32_e32 v36, v5, v13
	v_fmac_f32_e32 v37, v6, v13
	;; [unrolled: 1-line block ×4, first 2 shown]
	v_mul_f32_e32 v5, v3, v23
	v_mul_f32_e64 v6, v23, -v1
	v_mul_f32_e64 v23, v24, -v37
	v_mul_f32_e32 v24, v36, v24
	v_mul_f32_e32 v13, v3, v27
	v_mul_f32_e64 v14, v27, -v1
	v_mul_f32_e64 v27, v28, -v37
	v_mul_f32_e32 v28, v36, v28
	v_fma_f32 v5, -v1, v22, v5
	v_fma_f32 v6, -v3, v22, v6
	v_mul_f32_e64 v22, v10, -v35
	v_mul_f32_e32 v10, v10, v4
	v_fmac_f32_e32 v23, v36, v21
	v_fmac_f32_e32 v24, v37, v21
	v_fma_f32 v1, -v1, v25, v13
	v_fma_f32 v3, -v3, v25, v14
	v_fmac_f32_e32 v27, v36, v26
	v_fmac_f32_e32 v28, v37, v26
	;; [unrolled: 1-line block ×4, first 2 shown]
	v_sub_f32_e32 v4, v5, v23
	v_sub_f32_e32 v5, v6, v24
	;; [unrolled: 1-line block ×4, first 2 shown]
	v_mul_f32_e64 v1, v16, -v10
	v_mul_f32_e32 v13, v16, v22
	v_fmac_f32_e32 v1, v22, v15
	v_fmac_f32_e32 v13, v10, v15
	s_waitcnt vmcnt(2)
	v_add_f32_e32 v3, v4, v31
	v_add_f32_e32 v4, v5, v32
	global_store_dwordx2 v[11:12], v[3:4], off
	s_waitcnt vmcnt(2)
	v_sub_f32_e32 v1, v33, v1
	s_waitcnt vmcnt(1)
	v_add_f32_e32 v3, v6, v29
	v_add_f32_e32 v4, v9, v30
	global_store_dwordx2 v[7:8], v[3:4], off
	v_sub_f32_e32 v7, v34, v13
.LBB211_16:                             ;   in Loop: Header=BB211_5 Depth=1
	s_or_b64 exec, exec, s[4:5]
	v_mov_b32_e32 v6, v7
	v_mov_b32_e32 v5, v1
                                        ; implicit-def: $vgpr7_vgpr8
                                        ; implicit-def: $vgpr3
                                        ; implicit-def: $vgpr11
                                        ; implicit-def: $vgpr22
                                        ; implicit-def: $vgpr21
                                        ; implicit-def: $vgpr15
.LBB211_17:                             ;   in Loop: Header=BB211_5 Depth=1
	s_or_saveexec_b64 s[2:3], s[20:21]
	v_mov_b32_e32 v8, s27
	s_xor_b64 exec, exec, s[2:3]
	s_cbranch_execz .LBB211_4
; %bb.18:                               ;   in Loop: Header=BB211_5 Depth=1
	v_mul_f32_e32 v8, v6, v6
	v_fmac_f32_e32 v8, v5, v5
	v_div_scale_f32 v9, s[4:5], v8, v8, 1.0
	v_rcp_f32_e32 v10, v9
	v_fma_f32 v13, -v9, v10, 1.0
	v_fmac_f32_e32 v10, v13, v10
	v_div_scale_f32 v13, vcc, 1.0, v8, 1.0
	v_mul_f32_e32 v14, v13, v10
	v_fma_f32 v16, -v9, v14, v13
	v_fmac_f32_e32 v14, v16, v10
	v_fma_f32 v9, -v9, v14, v13
	v_div_fmas_f32 v9, v9, v10, v14
	v_mov_b32_e32 v16, v2
	v_div_fixup_f32 v8, v9, v8, 1.0
	v_fma_f32 v9, 0, v6, v5
	v_fma_f32 v5, v5, 0, -v6
	v_mul_f32_e32 v13, v5, v8
	v_lshlrev_b64 v[5:6], 3, v[1:2]
	v_mov_b32_e32 v1, s9
	v_add_co_u32_e32 v23, vcc, s8, v5
	v_addc_co_u32_e32 v24, vcc, v1, v6, vcc
	v_mul_f32_e32 v10, v9, v8
	global_load_dwordx2 v[8:9], v[23:24], off
	s_waitcnt vmcnt(0)
	v_mul_f32_e64 v5, v13, -v9
	v_mul_f32_e32 v6, v13, v8
	v_fmac_f32_e32 v5, v8, v10
	v_fmac_f32_e32 v6, v9, v10
	v_lshlrev_b64 v[8:9], 3, v[15:16]
	v_add_co_u32_e32 v14, vcc, s8, v8
	v_addc_co_u32_e32 v15, vcc, v1, v9, vcc
	global_load_dwordx2 v[25:26], v[14:15], off
	s_waitcnt vmcnt(0)
	v_mul_f32_e64 v8, v13, -v26
	v_mul_f32_e32 v9, v13, v25
	v_fmac_f32_e32 v8, v25, v10
	v_fmac_f32_e32 v9, v26, v10
	global_store_dwordx2 v[23:24], v[5:6], off
	global_store_dwordx2 v[14:15], v[8:9], off
	s_and_saveexec_b64 s[4:5], s[0:1]
	s_cbranch_execz .LBB211_3
; %bb.19:                               ;   in Loop: Header=BB211_5 Depth=1
	v_add_u32_e32 v16, v17, v18
	v_add_u32_e32 v1, s28, v16
	v_lshlrev_b64 v[14:15], 3, v[1:2]
	v_mov_b32_e32 v1, s9
	v_add_co_u32_e32 v14, vcc, s8, v14
	v_addc_co_u32_e32 v15, vcc, v1, v15, vcc
	v_add_u32_e32 v1, s29, v16
	v_lshlrev_b64 v[25:26], 3, v[1:2]
	v_mov_b32_e32 v1, s9
	v_add_co_u32_e32 v25, vcc, s8, v25
	global_load_dwordx2 v[23:24], v[14:15], off
	v_addc_co_u32_e32 v26, vcc, v1, v26, vcc
	global_load_dwordx2 v[27:28], v[25:26], off
	s_waitcnt vmcnt(1)
	v_fma_f32 v1, -v4, v5, v24
	v_fma_f32 v23, -v3, v5, v23
	;; [unrolled: 1-line block ×3, first 2 shown]
	s_waitcnt vmcnt(0)
	v_fma_f32 v5, -v3, v8, v27
	v_fma_f32 v1, -v4, v8, v28
	v_fmac_f32_e32 v23, v4, v6
	v_fmac_f32_e32 v5, v4, v9
	v_fma_f32 v6, -v3, v9, v1
	global_store_dwordx2 v[14:15], v[23:24], off
	global_store_dwordx2 v[25:26], v[5:6], off
	s_branch .LBB211_3
.LBB211_20:
	s_or_b64 exec, exec, s[18:19]
	s_branch .LBB211_22
.LBB211_21:
	v_mov_b32_e32 v18, 0
.LBB211_22:
	v_subrev_u32_e32 v3, s22, v18
	v_add_u32_e32 v1, v3, v0
	v_ashrrev_i32_e32 v2, 31, v1
	v_lshlrev_b64 v[1:2], 2, v[1:2]
	s_waitcnt lgkmcnt(0)
	v_mov_b32_e32 v4, s17
	v_add_co_u32_e32 v1, vcc, s16, v1
	v_addc_co_u32_e32 v2, vcc, v4, v2, vcc
	s_waitcnt vmcnt(0)
	buffer_wbinvl1_vol
	global_load_dword v1, v[1:2], off
	s_waitcnt vmcnt(0)
	v_mul_lo_u32 v1, v1, s22
	v_sub_u32_e32 v7, v3, v1
	v_cmp_lt_i32_e32 vcc, -1, v7
	s_and_b64 exec, exec, vcc
	s_cbranch_execz .LBB211_29
; %bb.23:
	s_lshl_b32 s4, s24, 1
	s_add_i32 s5, s4, s23
	s_lshl_b32 s6, s22, 1
	s_mov_b64 s[0:1], 0
	v_mov_b32_e32 v8, s17
	v_mov_b32_e32 v9, s11
	v_mov_b32_e32 v2, 0
	s_branch .LBB211_25
.LBB211_24:                             ;   in Loop: Header=BB211_25 Depth=1
	s_or_b64 exec, exec, s[2:3]
	v_sub_u32_e32 v7, v7, v1
	v_cmp_gt_i32_e32 vcc, 0, v7
	s_or_b64 s[0:1], vcc, s[0:1]
	s_andn2_b64 exec, exec, s[0:1]
	s_cbranch_execz .LBB211_29
.LBB211_25:                             ; =>This Inner Loop Header: Depth=1
	v_add_u32_e32 v5, v7, v0
	v_ashrrev_i32_e32 v6, 31, v5
	s_waitcnt vmcnt(0)
	v_lshlrev_b64 v[3:4], 2, v[5:6]
	v_add_co_u32_e32 v3, vcc, s16, v3
	v_addc_co_u32_e32 v4, vcc, v8, v4, vcc
	global_load_dword v1, v[3:4], off
	v_lshlrev_b64 v[3:4], 3, v[5:6]
	v_add_co_u32_e32 v3, vcc, s10, v3
	v_addc_co_u32_e32 v4, vcc, v9, v4, vcc
	global_load_dwordx2 v[3:4], v[3:4], off
	s_waitcnt vmcnt(1)
	v_cmp_ne_u32_e32 vcc, 1, v1
	s_and_saveexec_b64 s[2:3], vcc
	s_xor_b64 s[2:3], exec, s[2:3]
	s_cbranch_execz .LBB211_27
; %bb.26:                               ;   in Loop: Header=BB211_25 Depth=1
	v_add_u32_e32 v6, v17, v7
	v_add_u32_e32 v1, s4, v6
	v_lshlrev_b64 v[10:11], 3, v[1:2]
	v_mov_b32_e32 v1, s9
	v_add_co_u32_e32 v10, vcc, s8, v10
	v_addc_co_u32_e32 v11, vcc, v1, v11, vcc
	v_add_u32_e32 v1, s5, v6
	v_lshlrev_b64 v[12:13], 3, v[1:2]
	v_add_u32_e32 v1, s4, v5
	v_lshlrev_b64 v[14:15], 3, v[1:2]
	v_mov_b32_e32 v1, s9
	v_add_co_u32_e32 v14, vcc, s8, v14
	v_addc_co_u32_e32 v15, vcc, v1, v15, vcc
	global_load_dwordx2 v[18:19], v[10:11], off
	global_load_dwordx2 v[20:21], v[14:15], off
	v_add_co_u32_e32 v10, vcc, s8, v12
	v_addc_co_u32_e32 v11, vcc, v1, v13, vcc
	v_add_u32_e32 v1, s5, v5
	v_lshlrev_b64 v[5:6], 3, v[1:2]
	v_mov_b32_e32 v12, s9
	v_add_co_u32_e32 v5, vcc, s8, v5
	v_addc_co_u32_e32 v6, vcc, v12, v6, vcc
	global_load_dwordx2 v[10:11], v[10:11], off
	v_mov_b32_e32 v22, s9
	s_waitcnt vmcnt(1)
	v_fma_f32 v12, -v3, v18, v20
	v_fma_f32 v1, -v4, v18, v21
	v_fmac_f32_e32 v12, v4, v19
	v_fma_f32 v13, -v3, v19, v1
	global_store_dwordx2 v[14:15], v[12:13], off
	global_load_dwordx2 v[12:13], v[5:6], off
	v_subrev_u32_e32 v1, s22, v7
	v_add_u32_e32 v14, v1, v0
	v_ashrrev_i32_e32 v15, 31, v14
	v_lshlrev_b64 v[15:16], 3, v[14:15]
	v_mov_b32_e32 v20, s11
	v_add_co_u32_e32 v15, vcc, s10, v15
	v_add_u32_e32 v1, s4, v14
	v_addc_co_u32_e32 v16, vcc, v20, v16, vcc
	v_lshlrev_b64 v[20:21], 3, v[1:2]
	global_load_dwordx2 v[15:16], v[15:16], off
	v_add_co_u32_e32 v20, vcc, s8, v20
	v_addc_co_u32_e32 v21, vcc, v22, v21, vcc
	s_waitcnt vmcnt(1)
	v_fma_f32 v12, -v3, v10, v12
	v_fma_f32 v1, -v4, v10, v13
	v_fmac_f32_e32 v12, v4, v11
	v_fma_f32 v13, -v3, v11, v1
	global_store_dwordx2 v[5:6], v[12:13], off
	global_load_dwordx2 v[3:4], v[20:21], off
	v_add_u32_e32 v1, s5, v14
	v_lshlrev_b64 v[5:6], 3, v[1:2]
	v_mov_b32_e32 v12, s9
	v_add_co_u32_e32 v5, vcc, s8, v5
	v_addc_co_u32_e32 v6, vcc, v12, v6, vcc
	s_waitcnt vmcnt(0)
	v_fma_f32 v3, -v15, v18, v3
	v_fma_f32 v1, -v16, v18, v4
	v_fmac_f32_e32 v3, v16, v19
	v_fma_f32 v4, -v15, v19, v1
	global_store_dwordx2 v[20:21], v[3:4], off
	global_load_dwordx2 v[3:4], v[5:6], off
	s_waitcnt vmcnt(0)
	v_fma_f32 v3, -v15, v10, v3
	v_fma_f32 v1, -v16, v10, v4
	v_fmac_f32_e32 v3, v16, v11
	v_fma_f32 v4, -v15, v11, v1
	global_store_dwordx2 v[5:6], v[3:4], off
                                        ; implicit-def: $vgpr5
                                        ; implicit-def: $vgpr3_vgpr4
.LBB211_27:                             ;   in Loop: Header=BB211_25 Depth=1
	s_or_saveexec_b64 s[2:3], s[2:3]
	v_mov_b32_e32 v1, s6
	s_xor_b64 exec, exec, s[2:3]
	s_cbranch_execz .LBB211_24
; %bb.28:                               ;   in Loop: Header=BB211_25 Depth=1
	v_add_u32_e32 v6, v17, v7
	v_add_u32_e32 v1, s4, v6
	v_lshlrev_b64 v[10:11], 3, v[1:2]
	v_mov_b32_e32 v1, s9
	v_add_co_u32_e32 v10, vcc, s8, v10
	v_addc_co_u32_e32 v11, vcc, v1, v11, vcc
	v_add_u32_e32 v1, s4, v5
	v_lshlrev_b64 v[12:13], 3, v[1:2]
	v_mov_b32_e32 v1, s9
	v_add_co_u32_e32 v12, vcc, s8, v12
	v_addc_co_u32_e32 v13, vcc, v1, v13, vcc
	global_load_dwordx2 v[14:15], v[10:11], off
	global_load_dwordx2 v[18:19], v[12:13], off
	v_add_u32_e32 v1, s5, v6
	v_lshlrev_b64 v[10:11], 3, v[1:2]
	v_add_u32_e32 v1, s5, v5
	v_mov_b32_e32 v16, s9
	v_lshlrev_b64 v[5:6], 3, v[1:2]
	v_add_co_u32_e32 v10, vcc, s8, v10
	v_addc_co_u32_e32 v11, vcc, v16, v11, vcc
	v_mov_b32_e32 v20, s9
	v_add_co_u32_e32 v5, vcc, s8, v5
	v_addc_co_u32_e32 v6, vcc, v20, v6, vcc
	s_waitcnt vmcnt(0)
	v_fma_f32 v18, -v3, v14, v18
	v_fma_f32 v1, -v4, v14, v19
	v_fmac_f32_e32 v18, v4, v15
	v_fma_f32 v19, -v3, v15, v1
	global_store_dwordx2 v[12:13], v[18:19], off
	global_load_dwordx2 v[12:13], v[10:11], off
	s_nop 0
	global_load_dwordx2 v[14:15], v[5:6], off
	s_waitcnt vmcnt(0)
	v_fma_f32 v10, -v3, v12, v14
	v_fma_f32 v1, -v4, v12, v15
	v_fmac_f32_e32 v10, v4, v13
	v_fma_f32 v11, -v3, v13, v1
	v_mov_b32_e32 v1, s22
	global_store_dwordx2 v[5:6], v[10:11], off
	s_branch .LBB211_24
.LBB211_29:
	s_endpgm
	.section	.rodata,"a",@progbits
	.p2align	6, 0x0
	.amdhsa_kernel _ZN9rocsparseL19gtsv_LBM_rhs_kernelILj256ELj8ELj2E21rocsparse_complex_numIfEEEviiiPKT2_S5_S5_PS3_S5_PKi
		.amdhsa_group_segment_fixed_size 0
		.amdhsa_private_segment_fixed_size 0
		.amdhsa_kernarg_size 64
		.amdhsa_user_sgpr_count 6
		.amdhsa_user_sgpr_private_segment_buffer 1
		.amdhsa_user_sgpr_dispatch_ptr 0
		.amdhsa_user_sgpr_queue_ptr 0
		.amdhsa_user_sgpr_kernarg_segment_ptr 1
		.amdhsa_user_sgpr_dispatch_id 0
		.amdhsa_user_sgpr_flat_scratch_init 0
		.amdhsa_user_sgpr_private_segment_size 0
		.amdhsa_uses_dynamic_stack 0
		.amdhsa_system_sgpr_private_segment_wavefront_offset 0
		.amdhsa_system_sgpr_workgroup_id_x 1
		.amdhsa_system_sgpr_workgroup_id_y 1
		.amdhsa_system_sgpr_workgroup_id_z 0
		.amdhsa_system_sgpr_workgroup_info 0
		.amdhsa_system_vgpr_workitem_id 0
		.amdhsa_next_free_vgpr 39
		.amdhsa_next_free_sgpr 30
		.amdhsa_reserve_vcc 1
		.amdhsa_reserve_flat_scratch 0
		.amdhsa_float_round_mode_32 0
		.amdhsa_float_round_mode_16_64 0
		.amdhsa_float_denorm_mode_32 3
		.amdhsa_float_denorm_mode_16_64 3
		.amdhsa_dx10_clamp 1
		.amdhsa_ieee_mode 1
		.amdhsa_fp16_overflow 0
		.amdhsa_exception_fp_ieee_invalid_op 0
		.amdhsa_exception_fp_denorm_src 0
		.amdhsa_exception_fp_ieee_div_zero 0
		.amdhsa_exception_fp_ieee_overflow 0
		.amdhsa_exception_fp_ieee_underflow 0
		.amdhsa_exception_fp_ieee_inexact 0
		.amdhsa_exception_int_div_zero 0
	.end_amdhsa_kernel
	.section	.text._ZN9rocsparseL19gtsv_LBM_rhs_kernelILj256ELj8ELj2E21rocsparse_complex_numIfEEEviiiPKT2_S5_S5_PS3_S5_PKi,"axG",@progbits,_ZN9rocsparseL19gtsv_LBM_rhs_kernelILj256ELj8ELj2E21rocsparse_complex_numIfEEEviiiPKT2_S5_S5_PS3_S5_PKi,comdat
.Lfunc_end211:
	.size	_ZN9rocsparseL19gtsv_LBM_rhs_kernelILj256ELj8ELj2E21rocsparse_complex_numIfEEEviiiPKT2_S5_S5_PS3_S5_PKi, .Lfunc_end211-_ZN9rocsparseL19gtsv_LBM_rhs_kernelILj256ELj8ELj2E21rocsparse_complex_numIfEEEviiiPKT2_S5_S5_PS3_S5_PKi
                                        ; -- End function
	.set _ZN9rocsparseL19gtsv_LBM_rhs_kernelILj256ELj8ELj2E21rocsparse_complex_numIfEEEviiiPKT2_S5_S5_PS3_S5_PKi.num_vgpr, 39
	.set _ZN9rocsparseL19gtsv_LBM_rhs_kernelILj256ELj8ELj2E21rocsparse_complex_numIfEEEviiiPKT2_S5_S5_PS3_S5_PKi.num_agpr, 0
	.set _ZN9rocsparseL19gtsv_LBM_rhs_kernelILj256ELj8ELj2E21rocsparse_complex_numIfEEEviiiPKT2_S5_S5_PS3_S5_PKi.numbered_sgpr, 30
	.set _ZN9rocsparseL19gtsv_LBM_rhs_kernelILj256ELj8ELj2E21rocsparse_complex_numIfEEEviiiPKT2_S5_S5_PS3_S5_PKi.num_named_barrier, 0
	.set _ZN9rocsparseL19gtsv_LBM_rhs_kernelILj256ELj8ELj2E21rocsparse_complex_numIfEEEviiiPKT2_S5_S5_PS3_S5_PKi.private_seg_size, 0
	.set _ZN9rocsparseL19gtsv_LBM_rhs_kernelILj256ELj8ELj2E21rocsparse_complex_numIfEEEviiiPKT2_S5_S5_PS3_S5_PKi.uses_vcc, 1
	.set _ZN9rocsparseL19gtsv_LBM_rhs_kernelILj256ELj8ELj2E21rocsparse_complex_numIfEEEviiiPKT2_S5_S5_PS3_S5_PKi.uses_flat_scratch, 0
	.set _ZN9rocsparseL19gtsv_LBM_rhs_kernelILj256ELj8ELj2E21rocsparse_complex_numIfEEEviiiPKT2_S5_S5_PS3_S5_PKi.has_dyn_sized_stack, 0
	.set _ZN9rocsparseL19gtsv_LBM_rhs_kernelILj256ELj8ELj2E21rocsparse_complex_numIfEEEviiiPKT2_S5_S5_PS3_S5_PKi.has_recursion, 0
	.set _ZN9rocsparseL19gtsv_LBM_rhs_kernelILj256ELj8ELj2E21rocsparse_complex_numIfEEEviiiPKT2_S5_S5_PS3_S5_PKi.has_indirect_call, 0
	.section	.AMDGPU.csdata,"",@progbits
; Kernel info:
; codeLenInByte = 2872
; TotalNumSgprs: 34
; NumVgprs: 39
; ScratchSize: 0
; MemoryBound: 0
; FloatMode: 240
; IeeeMode: 1
; LDSByteSize: 0 bytes/workgroup (compile time only)
; SGPRBlocks: 4
; VGPRBlocks: 9
; NumSGPRsForWavesPerEU: 34
; NumVGPRsForWavesPerEU: 39
; Occupancy: 6
; WaveLimiterHint : 0
; COMPUTE_PGM_RSRC2:SCRATCH_EN: 0
; COMPUTE_PGM_RSRC2:USER_SGPR: 6
; COMPUTE_PGM_RSRC2:TRAP_HANDLER: 0
; COMPUTE_PGM_RSRC2:TGID_X_EN: 1
; COMPUTE_PGM_RSRC2:TGID_Y_EN: 1
; COMPUTE_PGM_RSRC2:TGID_Z_EN: 0
; COMPUTE_PGM_RSRC2:TIDIG_COMP_CNT: 0
	.section	.text._ZN9rocsparseL19gtsv_LBM_rhs_kernelILj256ELj8ELj1E21rocsparse_complex_numIfEEEviiiPKT2_S5_S5_PS3_S5_PKi,"axG",@progbits,_ZN9rocsparseL19gtsv_LBM_rhs_kernelILj256ELj8ELj1E21rocsparse_complex_numIfEEEviiiPKT2_S5_S5_PS3_S5_PKi,comdat
	.globl	_ZN9rocsparseL19gtsv_LBM_rhs_kernelILj256ELj8ELj1E21rocsparse_complex_numIfEEEviiiPKT2_S5_S5_PS3_S5_PKi ; -- Begin function _ZN9rocsparseL19gtsv_LBM_rhs_kernelILj256ELj8ELj1E21rocsparse_complex_numIfEEEviiiPKT2_S5_S5_PS3_S5_PKi
	.p2align	8
	.type	_ZN9rocsparseL19gtsv_LBM_rhs_kernelILj256ELj8ELj1E21rocsparse_complex_numIfEEEviiiPKT2_S5_S5_PS3_S5_PKi,@function
_ZN9rocsparseL19gtsv_LBM_rhs_kernelILj256ELj8ELj1E21rocsparse_complex_numIfEEEviiiPKT2_S5_S5_PS3_S5_PKi: ; @_ZN9rocsparseL19gtsv_LBM_rhs_kernelILj256ELj8ELj1E21rocsparse_complex_numIfEEEviiiPKT2_S5_S5_PS3_S5_PKi
; %bb.0:
	s_load_dword s24, s[4:5], 0x0
	v_lshl_or_b32 v0, s6, 8, v0
	s_waitcnt lgkmcnt(0)
	s_lshr_b32 s22, s24, 3
	v_cmp_gt_i32_e32 vcc, s22, v0
	s_and_saveexec_b64 s[0:1], vcc
	s_cbranch_execz .LBB212_29
; %bb.1:
	s_load_dwordx4 s[8:11], s[4:5], 0x28
	s_load_dwordx2 s[16:17], s[4:5], 0x38
	s_cmp_lt_i32 s24, 1
	s_mul_i32 s23, s24, s7
	s_cbranch_scc1 .LBB212_21
; %bb.2:
	s_load_dwordx4 s[12:15], s[4:5], 0x10
	s_load_dwordx2 s[6:7], s[4:5], 0x20
	v_ashrrev_i32_e32 v1, 31, v0
	v_lshlrev_b64 v[1:2], 3, v[0:1]
	v_add_u32_e32 v18, s22, v0
	s_waitcnt lgkmcnt(0)
	v_mov_b32_e32 v3, s15
	v_add_co_u32_e32 v1, vcc, s14, v1
	v_addc_co_u32_e32 v2, vcc, v3, v2, vcc
	global_load_dwordx2 v[5:6], v[1:2], off
	s_mul_i32 s25, s22, 7
	s_mul_i32 s26, s22, 6
	s_lshl_b32 s27, s22, 1
	v_add_u32_e32 v19, s22, v18
	v_add_u32_e32 v20, s23, v18
	v_mov_b32_e32 v2, 0
	s_mov_b64 s[18:19], 0
	v_mov_b32_e32 v21, s7
	v_mov_b32_e32 v17, 0
	s_branch .LBB212_5
.LBB212_3:                              ;   in Loop: Header=BB212_5 Depth=1
	s_or_b64 exec, exec, s[4:5]
	v_fmac_f32_e32 v22, v3, v9
	v_fmac_f32_e32 v16, v4, v9
	v_mul_f32_e64 v1, v8, -v16
	v_mul_f32_e32 v3, v8, v22
	v_fmac_f32_e32 v1, v22, v7
	v_fmac_f32_e32 v3, v16, v7
	v_sub_f32_e32 v5, v11, v1
	v_sub_f32_e32 v6, v12, v3
	v_mov_b32_e32 v7, s22
.LBB212_4:                              ;   in Loop: Header=BB212_5 Depth=1
	s_or_b64 exec, exec, s[2:3]
	v_add_u32_e32 v17, v7, v17
	v_cmp_le_i32_e32 vcc, s24, v17
	s_or_b64 s[18:19], vcc, s[18:19]
	s_andn2_b64 exec, exec, s[18:19]
	s_cbranch_execz .LBB212_20
.LBB212_5:                              ; =>This Inner Loop Header: Depth=1
	v_add_u32_e32 v15, v17, v0
	v_ashrrev_i32_e32 v16, 31, v15
	v_lshlrev_b64 v[3:4], 3, v[15:16]
	v_cmp_gt_u32_e64 s[0:1], s25, v17
	v_add_co_u32_e32 v3, vcc, s6, v3
	v_addc_co_u32_e32 v4, vcc, v21, v4, vcc
	global_load_dwordx2 v[9:10], v[3:4], off
	v_add_u32_e32 v13, v18, v17
	v_mov_b32_e32 v3, 0
	v_mov_b32_e32 v4, 0
	s_and_saveexec_b64 s[2:3], s[0:1]
	s_cbranch_execz .LBB212_7
; %bb.6:                                ;   in Loop: Header=BB212_5 Depth=1
	v_ashrrev_i32_e32 v14, 31, v13
	v_lshlrev_b64 v[3:4], 3, v[13:14]
	v_mov_b32_e32 v1, s13
	v_add_co_u32_e32 v3, vcc, s12, v3
	v_addc_co_u32_e32 v4, vcc, v1, v4, vcc
	global_load_dwordx2 v[3:4], v[3:4], off
.LBB212_7:                              ;   in Loop: Header=BB212_5 Depth=1
	s_or_b64 exec, exec, s[2:3]
	v_mov_b32_e32 v7, 0
	v_mov_b32_e32 v11, 0
	;; [unrolled: 1-line block ×3, first 2 shown]
	s_and_saveexec_b64 s[2:3], s[0:1]
	s_cbranch_execz .LBB212_9
; %bb.8:                                ;   in Loop: Header=BB212_5 Depth=1
	v_ashrrev_i32_e32 v14, 31, v13
	v_lshlrev_b64 v[11:12], 3, v[13:14]
	v_mov_b32_e32 v1, s15
	v_add_co_u32_e32 v11, vcc, s14, v11
	v_addc_co_u32_e32 v12, vcc, v1, v12, vcc
	global_load_dwordx2 v[11:12], v[11:12], off
.LBB212_9:                              ;   in Loop: Header=BB212_5 Depth=1
	s_or_b64 exec, exec, s[2:3]
	v_mov_b32_e32 v8, 0
	s_and_saveexec_b64 s[2:3], s[0:1]
	s_cbranch_execz .LBB212_11
; %bb.10:                               ;   in Loop: Header=BB212_5 Depth=1
	v_ashrrev_i32_e32 v14, 31, v13
	v_lshlrev_b64 v[7:8], 3, v[13:14]
	v_mov_b32_e32 v1, s7
	v_add_co_u32_e32 v7, vcc, s6, v7
	v_addc_co_u32_e32 v8, vcc, v1, v8, vcc
	global_load_dwordx2 v[7:8], v[7:8], off
.LBB212_11:                             ;   in Loop: Header=BB212_5 Depth=1
	s_or_b64 exec, exec, s[2:3]
	v_cmp_gt_u32_e64 s[2:3], s26, v17
	v_mov_b32_e32 v13, 0
	v_mov_b32_e32 v14, 0
	s_and_saveexec_b64 s[4:5], s[2:3]
	s_cbranch_execz .LBB212_13
; %bb.12:                               ;   in Loop: Header=BB212_5 Depth=1
	v_add_u32_e32 v13, v19, v17
	v_ashrrev_i32_e32 v14, 31, v13
	v_lshlrev_b64 v[13:14], 3, v[13:14]
	v_mov_b32_e32 v1, s13
	v_add_co_u32_e32 v13, vcc, s12, v13
	v_addc_co_u32_e32 v14, vcc, v1, v14, vcc
	global_load_dwordx2 v[13:14], v[13:14], off
.LBB212_13:                             ;   in Loop: Header=BB212_5 Depth=1
	s_or_b64 exec, exec, s[4:5]
	v_lshlrev_b64 v[22:23], 2, v[15:16]
	v_mov_b32_e32 v1, s17
	v_add_co_u32_e32 v22, vcc, s16, v22
	v_addc_co_u32_e32 v23, vcc, v1, v23, vcc
	global_load_dword v1, v[22:23], off
	v_cmp_ne_u32_e32 vcc, s25, v17
	s_waitcnt vmcnt(1)
	v_mul_f32_e64 v22, v10, -v4
	v_mul_f32_e32 v16, v3, v10
	s_waitcnt vmcnt(0)
	v_cmp_ne_u32_e64 s[4:5], 1, v1
	s_and_b64 s[4:5], vcc, s[4:5]
	v_add_u32_e32 v1, s23, v15
	s_and_saveexec_b64 s[20:21], s[4:5]
	s_xor_b64 s[4:5], exec, s[20:21]
	s_cbranch_execz .LBB212_17
; %bb.14:                               ;   in Loop: Header=BB212_5 Depth=1
	v_lshlrev_b64 v[23:24], 3, v[1:2]
	v_mov_b32_e32 v1, s9
	v_add_co_u32_e32 v26, vcc, s8, v23
	v_addc_co_u32_e32 v27, vcc, v1, v24, vcc
	v_add_u32_e32 v1, v20, v17
	v_lshlrev_b64 v[23:24], 3, v[1:2]
	v_mov_b32_e32 v15, s9
	v_add_co_u32_e32 v28, vcc, s8, v23
	v_addc_co_u32_e32 v29, vcc, v15, v24, vcc
	v_mul_f32_e32 v15, v5, v12
	v_mul_f32_e64 v1, v12, -v6
	v_fmac_f32_e32 v15, v6, v11
	v_fmac_f32_e32 v16, v4, v9
	;; [unrolled: 1-line block ×4, first 2 shown]
	v_sub_f32_e32 v15, v15, v16
	v_sub_f32_e32 v1, v1, v22
	v_mul_f32_e32 v16, v15, v15
	v_fmac_f32_e32 v16, v1, v1
	v_div_scale_f32 v22, s[20:21], v16, v16, 1.0
	v_rcp_f32_e32 v23, v22
	v_fma_f32 v24, -v22, v23, 1.0
	v_fmac_f32_e32 v23, v24, v23
	v_div_scale_f32 v24, vcc, 1.0, v16, 1.0
	v_mul_f32_e32 v25, v24, v23
	v_fma_f32 v30, -v22, v25, v24
	v_fmac_f32_e32 v25, v30, v23
	v_fma_f32 v22, -v22, v25, v24
	v_div_fmas_f32 v22, v22, v23, v25
	v_fma_f32 v23, 0, v15, v1
	v_fma_f32 v1, v1, 0, -v15
	global_load_dwordx2 v[30:31], v[28:29], off
	v_div_fixup_f32 v16, v22, v16, 1.0
	v_mul_f32_e32 v15, v23, v16
	global_load_dwordx2 v[23:24], v[26:27], off
	v_mul_f32_e32 v16, v1, v16
	s_waitcnt vmcnt(1)
	v_mul_f32_e32 v25, v16, v30
	v_fmac_f32_e32 v25, v31, v15
	s_waitcnt vmcnt(0)
	v_mul_f32_e64 v22, v16, -v24
	v_fmac_f32_e32 v22, v23, v15
	v_mul_f32_e32 v23, v16, v23
	v_fmac_f32_e32 v23, v24, v15
	v_mul_f32_e64 v1, v23, -v12
	v_mul_f32_e64 v24, v16, -v31
	v_fmac_f32_e32 v1, v11, v22
	v_mul_f32_e32 v11, v11, v23
	v_fmac_f32_e32 v24, v30, v15
	v_fmac_f32_e32 v11, v12, v22
	v_mul_f32_e64 v12, v25, -v10
	v_mul_f32_e32 v30, v25, v9
	v_fmac_f32_e32 v12, v9, v24
	v_fmac_f32_e32 v30, v10, v24
	v_sub_f32_e32 v9, v1, v12
	v_sub_f32_e32 v10, v11, v30
	global_store_dwordx2 v[26:27], v[9:10], off
	v_mul_f32_e64 v9, v23, -v3
	v_mul_f32_e32 v1, v4, v23
	v_fma_f32 v10, -v4, v22, v9
	v_mul_f32_e64 v9, v25, -v6
	v_mul_f32_e32 v11, v5, v25
	v_fma_f32 v1, -v3, v22, v1
	v_fmac_f32_e32 v9, v5, v24
	v_fmac_f32_e32 v11, v6, v24
	v_add_f32_e32 v9, v1, v9
	v_add_f32_e32 v10, v10, v11
	global_store_dwordx2 v[28:29], v[9:10], off
	v_mov_b32_e32 v1, 0
	v_mov_b32_e32 v9, 0
	s_and_saveexec_b64 s[20:21], s[2:3]
	s_cbranch_execz .LBB212_16
; %bb.15:                               ;   in Loop: Header=BB212_5 Depth=1
	v_add_u32_e32 v9, v19, v17
	v_add_u32_e32 v1, s23, v9
	v_lshlrev_b64 v[10:11], 3, v[1:2]
	v_mov_b32_e32 v1, s9
	v_add_co_u32_e32 v26, vcc, s8, v10
	v_ashrrev_i32_e32 v10, 31, v9
	v_lshlrev_b64 v[9:10], 3, v[9:10]
	v_addc_co_u32_e32 v27, vcc, v1, v11, vcc
	v_mov_b32_e32 v1, s15
	v_add_co_u32_e32 v9, vcc, s14, v9
	v_addc_co_u32_e32 v10, vcc, v1, v10, vcc
	global_load_dwordx2 v[11:12], v[26:27], off
	v_mul_f32_e32 v1, v4, v14
	global_load_dwordx2 v[9:10], v[9:10], off
	v_mul_f32_e64 v28, v14, -v3
	v_fma_f32 v1, -v3, v13, v1
	v_fma_f32 v3, -v4, v13, v28
	v_mul_f32_e64 v4, v6, -v14
	v_mul_f32_e32 v28, v6, v13
	v_mul_f32_e64 v29, v14, -v6
	v_mul_f32_e32 v30, v5, v14
	v_fmac_f32_e32 v4, v13, v5
	v_fmac_f32_e32 v28, v14, v5
	;; [unrolled: 1-line block ×4, first 2 shown]
	v_mul_f32_e32 v5, v3, v23
	v_mul_f32_e64 v6, v23, -v1
	v_mul_f32_e64 v23, v8, -v28
	v_mul_f32_e32 v8, v8, v4
	v_mul_f32_e64 v13, v25, -v30
	v_mul_f32_e32 v14, v29, v25
	v_fmac_f32_e32 v23, v4, v7
	v_fmac_f32_e32 v8, v28, v7
	v_fma_f32 v1, -v1, v22, v5
	v_fma_f32 v3, -v3, v22, v6
	v_fmac_f32_e32 v13, v29, v24
	v_fmac_f32_e32 v14, v30, v24
	v_mul_f32_e64 v5, v16, -v8
	v_mul_f32_e32 v6, v16, v23
	v_sub_f32_e32 v1, v1, v13
	v_sub_f32_e32 v4, v3, v14
	v_fmac_f32_e32 v5, v23, v15
	v_fmac_f32_e32 v6, v8, v15
	s_waitcnt vmcnt(1)
	v_add_f32_e32 v3, v1, v11
	v_add_f32_e32 v4, v4, v12
	s_waitcnt vmcnt(0)
	v_sub_f32_e32 v9, v9, v5
	v_sub_f32_e32 v1, v10, v6
	global_store_dwordx2 v[26:27], v[3:4], off
.LBB212_16:                             ;   in Loop: Header=BB212_5 Depth=1
	s_or_b64 exec, exec, s[20:21]
	v_mov_b32_e32 v6, v1
	v_mov_b32_e32 v5, v9
                                        ; implicit-def: $vgpr9_vgpr10
                                        ; implicit-def: $vgpr3
                                        ; implicit-def: $vgpr11
                                        ; implicit-def: $vgpr22
                                        ; implicit-def: $vgpr16
.LBB212_17:                             ;   in Loop: Header=BB212_5 Depth=1
	s_or_saveexec_b64 s[2:3], s[4:5]
	v_mov_b32_e32 v7, s27
	s_xor_b64 exec, exec, s[2:3]
	s_cbranch_execz .LBB212_4
; %bb.18:                               ;   in Loop: Header=BB212_5 Depth=1
	v_mul_f32_e32 v7, v6, v6
	v_fmac_f32_e32 v7, v5, v5
	v_div_scale_f32 v8, s[4:5], v7, v7, 1.0
	v_rcp_f32_e32 v10, v8
	v_fma_f32 v13, -v8, v10, 1.0
	v_fmac_f32_e32 v10, v13, v10
	v_div_scale_f32 v13, vcc, 1.0, v7, 1.0
	v_mul_f32_e32 v14, v13, v10
	v_fma_f32 v15, -v8, v14, v13
	v_fmac_f32_e32 v14, v15, v10
	v_fma_f32 v8, -v8, v14, v13
	v_div_fmas_f32 v8, v8, v10, v14
	v_div_fixup_f32 v8, v8, v7, 1.0
	v_fma_f32 v7, 0, v6, v5
	v_fma_f32 v5, v5, 0, -v6
	v_mul_f32_e32 v7, v7, v8
	v_mul_f32_e32 v8, v5, v8
	v_lshlrev_b64 v[5:6], 3, v[1:2]
	v_mov_b32_e32 v1, s9
	v_add_co_u32_e32 v13, vcc, s8, v5
	v_addc_co_u32_e32 v14, vcc, v1, v6, vcc
	global_load_dwordx2 v[23:24], v[13:14], off
	s_waitcnt vmcnt(0)
	v_mul_f32_e64 v5, v8, -v24
	v_mul_f32_e32 v6, v8, v23
	v_fmac_f32_e32 v5, v23, v7
	v_fmac_f32_e32 v6, v24, v7
	global_store_dwordx2 v[13:14], v[5:6], off
	s_and_saveexec_b64 s[4:5], s[0:1]
	s_cbranch_execz .LBB212_3
; %bb.19:                               ;   in Loop: Header=BB212_5 Depth=1
	v_add_u32_e32 v1, v20, v17
	v_lshlrev_b64 v[13:14], 3, v[1:2]
	v_mov_b32_e32 v1, s9
	v_add_co_u32_e32 v13, vcc, s8, v13
	v_addc_co_u32_e32 v14, vcc, v1, v14, vcc
	global_load_dwordx2 v[23:24], v[13:14], off
	s_waitcnt vmcnt(0)
	v_fma_f32 v23, -v3, v5, v23
	v_fma_f32 v1, -v4, v5, v24
	v_fmac_f32_e32 v23, v4, v6
	v_fma_f32 v24, -v3, v6, v1
	global_store_dwordx2 v[13:14], v[23:24], off
	s_branch .LBB212_3
.LBB212_20:
	s_or_b64 exec, exec, s[18:19]
	s_branch .LBB212_22
.LBB212_21:
	v_mov_b32_e32 v17, 0
.LBB212_22:
	v_subrev_u32_e32 v3, s22, v17
	v_add_u32_e32 v1, v3, v0
	v_ashrrev_i32_e32 v2, 31, v1
	v_lshlrev_b64 v[1:2], 2, v[1:2]
	s_waitcnt lgkmcnt(0)
	v_mov_b32_e32 v4, s17
	v_add_co_u32_e32 v1, vcc, s16, v1
	v_addc_co_u32_e32 v2, vcc, v4, v2, vcc
	s_waitcnt vmcnt(0)
	buffer_wbinvl1_vol
	global_load_dword v1, v[1:2], off
	s_waitcnt vmcnt(0)
	v_mul_lo_u32 v1, v1, s22
	v_sub_u32_e32 v7, v3, v1
	v_cmp_lt_i32_e32 vcc, -1, v7
	s_and_b64 exec, exec, vcc
	s_cbranch_execz .LBB212_29
; %bb.23:
	s_add_i32 s0, s23, s22
	v_add_u32_e32 v8, s0, v0
	s_lshl_b32 s4, s22, 1
	s_mov_b64 s[0:1], 0
	v_mov_b32_e32 v9, s17
	v_mov_b32_e32 v10, s11
	;; [unrolled: 1-line block ×3, first 2 shown]
	s_branch .LBB212_25
.LBB212_24:                             ;   in Loop: Header=BB212_25 Depth=1
	s_or_b64 exec, exec, s[2:3]
	v_sub_u32_e32 v7, v7, v1
	v_cmp_gt_i32_e32 vcc, 0, v7
	s_or_b64 s[0:1], vcc, s[0:1]
	s_andn2_b64 exec, exec, s[0:1]
	s_cbranch_execz .LBB212_29
.LBB212_25:                             ; =>This Inner Loop Header: Depth=1
	v_add_u32_e32 v5, v7, v0
	v_ashrrev_i32_e32 v6, 31, v5
	s_waitcnt vmcnt(0)
	v_lshlrev_b64 v[3:4], 2, v[5:6]
	v_add_co_u32_e32 v3, vcc, s16, v3
	v_addc_co_u32_e32 v4, vcc, v9, v4, vcc
	global_load_dword v1, v[3:4], off
	v_lshlrev_b64 v[3:4], 3, v[5:6]
	v_add_co_u32_e32 v3, vcc, s10, v3
	v_addc_co_u32_e32 v4, vcc, v10, v4, vcc
	global_load_dwordx2 v[3:4], v[3:4], off
	s_waitcnt vmcnt(1)
	v_cmp_ne_u32_e32 vcc, 1, v1
	s_and_saveexec_b64 s[2:3], vcc
	s_xor_b64 s[2:3], exec, s[2:3]
	s_cbranch_execz .LBB212_27
; %bb.26:                               ;   in Loop: Header=BB212_25 Depth=1
	v_add_u32_e32 v1, v8, v7
	v_lshlrev_b64 v[11:12], 3, v[1:2]
	v_mov_b32_e32 v1, s9
	v_add_co_u32_e32 v11, vcc, s8, v11
	v_addc_co_u32_e32 v12, vcc, v1, v12, vcc
	v_add_u32_e32 v1, s23, v5
	v_lshlrev_b64 v[5:6], 3, v[1:2]
	v_mov_b32_e32 v1, s9
	v_add_co_u32_e32 v5, vcc, s8, v5
	v_addc_co_u32_e32 v6, vcc, v1, v6, vcc
	global_load_dwordx2 v[13:14], v[11:12], off
	global_load_dwordx2 v[15:16], v[5:6], off
	v_subrev_u32_e32 v1, s22, v7
	v_add_u32_e32 v11, v1, v0
	v_ashrrev_i32_e32 v12, 31, v11
	v_add_u32_e32 v1, s23, v11
	v_lshlrev_b64 v[11:12], 3, v[11:12]
	v_mov_b32_e32 v19, s11
	v_lshlrev_b64 v[17:18], 3, v[1:2]
	v_add_co_u32_e32 v11, vcc, s10, v11
	v_addc_co_u32_e32 v12, vcc, v19, v12, vcc
	v_mov_b32_e32 v20, s9
	v_add_co_u32_e32 v17, vcc, s8, v17
	v_addc_co_u32_e32 v18, vcc, v20, v18, vcc
	global_load_dwordx2 v[11:12], v[11:12], off
	s_waitcnt vmcnt(1)
	v_fma_f32 v15, -v3, v13, v15
	v_fma_f32 v1, -v4, v13, v16
	v_fmac_f32_e32 v15, v4, v14
	v_fma_f32 v16, -v3, v14, v1
	global_store_dwordx2 v[5:6], v[15:16], off
	global_load_dwordx2 v[3:4], v[17:18], off
                                        ; implicit-def: $vgpr5
	s_waitcnt vmcnt(0)
	v_fma_f32 v3, -v11, v13, v3
	v_fma_f32 v1, -v12, v13, v4
	v_fmac_f32_e32 v3, v12, v14
	v_fma_f32 v4, -v11, v14, v1
	global_store_dwordx2 v[17:18], v[3:4], off
                                        ; implicit-def: $vgpr3_vgpr4
.LBB212_27:                             ;   in Loop: Header=BB212_25 Depth=1
	s_or_saveexec_b64 s[2:3], s[2:3]
	v_mov_b32_e32 v1, s4
	s_xor_b64 exec, exec, s[2:3]
	s_cbranch_execz .LBB212_24
; %bb.28:                               ;   in Loop: Header=BB212_25 Depth=1
	v_add_u32_e32 v1, v8, v7
	v_lshlrev_b64 v[11:12], 3, v[1:2]
	v_mov_b32_e32 v1, s9
	v_add_co_u32_e32 v11, vcc, s8, v11
	v_addc_co_u32_e32 v12, vcc, v1, v12, vcc
	v_add_u32_e32 v1, s23, v5
	v_lshlrev_b64 v[5:6], 3, v[1:2]
	v_mov_b32_e32 v1, s9
	v_add_co_u32_e32 v5, vcc, s8, v5
	v_addc_co_u32_e32 v6, vcc, v1, v6, vcc
	global_load_dwordx2 v[13:14], v[11:12], off
	global_load_dwordx2 v[15:16], v[5:6], off
	s_waitcnt vmcnt(0)
	v_fma_f32 v11, -v3, v13, v15
	v_fma_f32 v1, -v4, v13, v16
	v_fmac_f32_e32 v11, v4, v14
	v_fma_f32 v12, -v3, v14, v1
	v_mov_b32_e32 v1, s22
	global_store_dwordx2 v[5:6], v[11:12], off
	s_branch .LBB212_24
.LBB212_29:
	s_endpgm
	.section	.rodata,"a",@progbits
	.p2align	6, 0x0
	.amdhsa_kernel _ZN9rocsparseL19gtsv_LBM_rhs_kernelILj256ELj8ELj1E21rocsparse_complex_numIfEEEviiiPKT2_S5_S5_PS3_S5_PKi
		.amdhsa_group_segment_fixed_size 0
		.amdhsa_private_segment_fixed_size 0
		.amdhsa_kernarg_size 64
		.amdhsa_user_sgpr_count 6
		.amdhsa_user_sgpr_private_segment_buffer 1
		.amdhsa_user_sgpr_dispatch_ptr 0
		.amdhsa_user_sgpr_queue_ptr 0
		.amdhsa_user_sgpr_kernarg_segment_ptr 1
		.amdhsa_user_sgpr_dispatch_id 0
		.amdhsa_user_sgpr_flat_scratch_init 0
		.amdhsa_user_sgpr_private_segment_size 0
		.amdhsa_uses_dynamic_stack 0
		.amdhsa_system_sgpr_private_segment_wavefront_offset 0
		.amdhsa_system_sgpr_workgroup_id_x 1
		.amdhsa_system_sgpr_workgroup_id_y 1
		.amdhsa_system_sgpr_workgroup_id_z 0
		.amdhsa_system_sgpr_workgroup_info 0
		.amdhsa_system_vgpr_workitem_id 0
		.amdhsa_next_free_vgpr 32
		.amdhsa_next_free_sgpr 28
		.amdhsa_reserve_vcc 1
		.amdhsa_reserve_flat_scratch 0
		.amdhsa_float_round_mode_32 0
		.amdhsa_float_round_mode_16_64 0
		.amdhsa_float_denorm_mode_32 3
		.amdhsa_float_denorm_mode_16_64 3
		.amdhsa_dx10_clamp 1
		.amdhsa_ieee_mode 1
		.amdhsa_fp16_overflow 0
		.amdhsa_exception_fp_ieee_invalid_op 0
		.amdhsa_exception_fp_denorm_src 0
		.amdhsa_exception_fp_ieee_div_zero 0
		.amdhsa_exception_fp_ieee_overflow 0
		.amdhsa_exception_fp_ieee_underflow 0
		.amdhsa_exception_fp_ieee_inexact 0
		.amdhsa_exception_int_div_zero 0
	.end_amdhsa_kernel
	.section	.text._ZN9rocsparseL19gtsv_LBM_rhs_kernelILj256ELj8ELj1E21rocsparse_complex_numIfEEEviiiPKT2_S5_S5_PS3_S5_PKi,"axG",@progbits,_ZN9rocsparseL19gtsv_LBM_rhs_kernelILj256ELj8ELj1E21rocsparse_complex_numIfEEEviiiPKT2_S5_S5_PS3_S5_PKi,comdat
.Lfunc_end212:
	.size	_ZN9rocsparseL19gtsv_LBM_rhs_kernelILj256ELj8ELj1E21rocsparse_complex_numIfEEEviiiPKT2_S5_S5_PS3_S5_PKi, .Lfunc_end212-_ZN9rocsparseL19gtsv_LBM_rhs_kernelILj256ELj8ELj1E21rocsparse_complex_numIfEEEviiiPKT2_S5_S5_PS3_S5_PKi
                                        ; -- End function
	.set _ZN9rocsparseL19gtsv_LBM_rhs_kernelILj256ELj8ELj1E21rocsparse_complex_numIfEEEviiiPKT2_S5_S5_PS3_S5_PKi.num_vgpr, 32
	.set _ZN9rocsparseL19gtsv_LBM_rhs_kernelILj256ELj8ELj1E21rocsparse_complex_numIfEEEviiiPKT2_S5_S5_PS3_S5_PKi.num_agpr, 0
	.set _ZN9rocsparseL19gtsv_LBM_rhs_kernelILj256ELj8ELj1E21rocsparse_complex_numIfEEEviiiPKT2_S5_S5_PS3_S5_PKi.numbered_sgpr, 28
	.set _ZN9rocsparseL19gtsv_LBM_rhs_kernelILj256ELj8ELj1E21rocsparse_complex_numIfEEEviiiPKT2_S5_S5_PS3_S5_PKi.num_named_barrier, 0
	.set _ZN9rocsparseL19gtsv_LBM_rhs_kernelILj256ELj8ELj1E21rocsparse_complex_numIfEEEviiiPKT2_S5_S5_PS3_S5_PKi.private_seg_size, 0
	.set _ZN9rocsparseL19gtsv_LBM_rhs_kernelILj256ELj8ELj1E21rocsparse_complex_numIfEEEviiiPKT2_S5_S5_PS3_S5_PKi.uses_vcc, 1
	.set _ZN9rocsparseL19gtsv_LBM_rhs_kernelILj256ELj8ELj1E21rocsparse_complex_numIfEEEviiiPKT2_S5_S5_PS3_S5_PKi.uses_flat_scratch, 0
	.set _ZN9rocsparseL19gtsv_LBM_rhs_kernelILj256ELj8ELj1E21rocsparse_complex_numIfEEEviiiPKT2_S5_S5_PS3_S5_PKi.has_dyn_sized_stack, 0
	.set _ZN9rocsparseL19gtsv_LBM_rhs_kernelILj256ELj8ELj1E21rocsparse_complex_numIfEEEviiiPKT2_S5_S5_PS3_S5_PKi.has_recursion, 0
	.set _ZN9rocsparseL19gtsv_LBM_rhs_kernelILj256ELj8ELj1E21rocsparse_complex_numIfEEEviiiPKT2_S5_S5_PS3_S5_PKi.has_indirect_call, 0
	.section	.AMDGPU.csdata,"",@progbits
; Kernel info:
; codeLenInByte = 2076
; TotalNumSgprs: 32
; NumVgprs: 32
; ScratchSize: 0
; MemoryBound: 0
; FloatMode: 240
; IeeeMode: 1
; LDSByteSize: 0 bytes/workgroup (compile time only)
; SGPRBlocks: 3
; VGPRBlocks: 7
; NumSGPRsForWavesPerEU: 32
; NumVGPRsForWavesPerEU: 32
; Occupancy: 8
; WaveLimiterHint : 0
; COMPUTE_PGM_RSRC2:SCRATCH_EN: 0
; COMPUTE_PGM_RSRC2:USER_SGPR: 6
; COMPUTE_PGM_RSRC2:TRAP_HANDLER: 0
; COMPUTE_PGM_RSRC2:TGID_X_EN: 1
; COMPUTE_PGM_RSRC2:TGID_Y_EN: 1
; COMPUTE_PGM_RSRC2:TGID_Z_EN: 0
; COMPUTE_PGM_RSRC2:TIDIG_COMP_CNT: 0
	.section	.text._ZN9rocsparseL29gtsv_spike_block_level_kernelILj256ELj8E21rocsparse_complex_numIfEEEviiiPT1_PKS3_S6_S4_S4_S4_S4_S4_,"axG",@progbits,_ZN9rocsparseL29gtsv_spike_block_level_kernelILj256ELj8E21rocsparse_complex_numIfEEEviiiPT1_PKS3_S6_S4_S4_S4_S4_S4_,comdat
	.globl	_ZN9rocsparseL29gtsv_spike_block_level_kernelILj256ELj8E21rocsparse_complex_numIfEEEviiiPT1_PKS3_S6_S4_S4_S4_S4_S4_ ; -- Begin function _ZN9rocsparseL29gtsv_spike_block_level_kernelILj256ELj8E21rocsparse_complex_numIfEEEviiiPT1_PKS3_S6_S4_S4_S4_S4_S4_
	.p2align	8
	.type	_ZN9rocsparseL29gtsv_spike_block_level_kernelILj256ELj8E21rocsparse_complex_numIfEEEviiiPT1_PKS3_S6_S4_S4_S4_S4_S4_,@function
_ZN9rocsparseL29gtsv_spike_block_level_kernelILj256ELj8E21rocsparse_complex_numIfEEEviiiPT1_PKS3_S6_S4_S4_S4_S4_S4_: ; @_ZN9rocsparseL29gtsv_spike_block_level_kernelILj256ELj8E21rocsparse_complex_numIfEEEviiiPT1_PKS3_S6_S4_S4_S4_S4_S4_
; %bb.0:
	s_load_dword s12, s[4:5], 0x0
	s_load_dwordx2 s[8:9], s[4:5], 0x18
	v_lshl_or_b32 v1, s6, 8, v0
	v_mov_b32_e32 v3, 0
	v_mov_b32_e32 v4, 0
	s_waitcnt lgkmcnt(0)
	s_lshr_b32 s20, s12, 3
	v_cmp_gt_i32_e64 s[0:1], s20, v1
	v_mov_b32_e32 v5, 0
	s_and_saveexec_b64 s[2:3], s[0:1]
	s_cbranch_execz .LBB213_2
; %bb.1:
	v_ashrrev_i32_e32 v2, 31, v1
	v_lshlrev_b64 v[4:5], 3, v[1:2]
	v_mov_b32_e32 v2, s9
	v_add_co_u32_e32 v4, vcc, s8, v4
	v_addc_co_u32_e32 v5, vcc, v2, v5, vcc
	global_load_dwordx2 v[4:5], v[4:5], off
.LBB213_2:
	s_or_b64 exec, exec, s[2:3]
	s_load_dwordx2 s[2:3], s[4:5], 0x20
	v_lshlrev_b32_e32 v8, 3, v0
	v_or_b32_e32 v9, 0x1000, v8
	s_waitcnt vmcnt(0)
	ds_write_b64 v8, v[4:5] offset:4096
	v_mov_b32_e32 v4, 0
	s_and_saveexec_b64 s[10:11], s[0:1]
	s_cbranch_execz .LBB213_4
; %bb.3:
	v_mad_u64_u32 v[2:3], s[14:15], s20, 7, v[1:2]
	v_mov_b32_e32 v3, 0
	v_mov_b32_e32 v4, s9
	v_lshlrev_b64 v[2:3], 3, v[2:3]
	v_add_co_u32_e32 v2, vcc, s8, v2
	v_addc_co_u32_e32 v3, vcc, v4, v3, vcc
	global_load_dwordx2 v[3:4], v[2:3], off
.LBB213_4:
	s_or_b64 exec, exec, s[10:11]
	s_waitcnt vmcnt(0)
	ds_write_b64 v9, v[3:4] offset:2048
	v_mov_b32_e32 v3, 0
	v_mov_b32_e32 v4, 0
	;; [unrolled: 1-line block ×3, first 2 shown]
	s_and_saveexec_b64 s[8:9], s[0:1]
	s_cbranch_execz .LBB213_6
; %bb.5:
	v_ashrrev_i32_e32 v2, 31, v1
	v_lshlrev_b64 v[4:5], 3, v[1:2]
	s_waitcnt lgkmcnt(0)
	v_mov_b32_e32 v2, s3
	v_add_co_u32_e32 v4, vcc, s2, v4
	v_addc_co_u32_e32 v5, vcc, v2, v5, vcc
	global_load_dwordx2 v[4:5], v[4:5], off
.LBB213_6:
	s_or_b64 exec, exec, s[8:9]
	s_load_dwordx2 s[16:17], s[4:5], 0x10
	s_waitcnt vmcnt(0)
	ds_write_b64 v8, v[4:5]
	v_mov_b32_e32 v4, 0
	s_and_saveexec_b64 s[8:9], s[0:1]
	s_cbranch_execz .LBB213_8
; %bb.7:
	v_mad_u64_u32 v[2:3], s[10:11], s20, 7, v[1:2]
	v_mov_b32_e32 v3, 0
	s_waitcnt lgkmcnt(0)
	v_mov_b32_e32 v4, s3
	v_lshlrev_b64 v[2:3], 3, v[2:3]
	v_add_co_u32_e32 v2, vcc, s2, v2
	v_addc_co_u32_e32 v3, vcc, v4, v3, vcc
	global_load_dwordx2 v[3:4], v[2:3], off
.LBB213_8:
	s_or_b64 exec, exec, s[8:9]
	s_mul_i32 s22, s12, s7
	s_waitcnt vmcnt(0)
	ds_write_b64 v8, v[3:4] offset:2048
	v_mov_b32_e32 v5, 0
	v_add_u32_e32 v3, s22, v1
	v_mov_b32_e32 v6, 0
	v_mov_b32_e32 v7, 0
	s_waitcnt lgkmcnt(0)
	s_and_saveexec_b64 s[2:3], s[0:1]
	s_cbranch_execz .LBB213_10
; %bb.9:
	v_ashrrev_i32_e32 v4, 31, v3
	v_lshlrev_b64 v[6:7], 3, v[3:4]
	v_mov_b32_e32 v2, s17
	v_add_co_u32_e32 v6, vcc, s16, v6
	v_addc_co_u32_e32 v7, vcc, v2, v7, vcc
	global_load_dwordx2 v[6:7], v[6:7], off
.LBB213_10:
	s_or_b64 exec, exec, s[2:3]
	s_load_dwordx2 s[2:3], s[4:5], 0x48
	s_load_dwordx8 s[8:15], s[4:5], 0x28
	v_or_b32_e32 v10, 0x2000, v8
	s_waitcnt vmcnt(0)
	ds_write_b64 v8, v[6:7] offset:8192
	s_mul_i32 s21, s20, 7
	v_mov_b32_e32 v6, 0
	s_and_saveexec_b64 s[18:19], s[0:1]
	s_cbranch_execz .LBB213_12
; %bb.11:
	s_mul_i32 s23, s20, 7
	s_add_i32 s23, s23, s22
	v_add_u32_e32 v4, s23, v1
	v_mov_b32_e32 v5, 0
	v_lshlrev_b64 v[4:5], 3, v[4:5]
	v_mov_b32_e32 v2, s17
	v_add_co_u32_e32 v4, vcc, s16, v4
	v_addc_co_u32_e32 v5, vcc, v2, v5, vcc
	global_load_dwordx2 v[5:6], v[4:5], off
.LBB213_12:
	s_or_b64 exec, exec, s[18:19]
	s_mov_b32 s22, 2
	s_waitcnt vmcnt(0)
	ds_write_b64 v10, v[5:6] offset:2048
	s_waitcnt lgkmcnt(0)
	s_barrier
	s_branch .LBB213_14
.LBB213_13:                             ;   in Loop: Header=BB213_14 Depth=1
	s_or_b64 exec, exec, s[18:19]
	s_lshl_b32 s18, s22, 1
	s_cmpk_lt_u32 s22, 0x81
	s_mov_b32 s22, s18
	s_waitcnt lgkmcnt(0)
	s_barrier
	s_cbranch_scc0 .LBB213_16
.LBB213_14:                             ; =>This Inner Loop Header: Depth=1
	s_ff1_i32_b32 s18, s22
	s_lshr_b32 s18, 0x100, s18
	v_cmp_gt_u32_e32 vcc, s18, v0
	s_and_saveexec_b64 s[18:19], vcc
	s_cbranch_execz .LBB213_13
; %bb.15:                               ;   in Loop: Header=BB213_14 Depth=1
	v_mul_lo_u32 v2, s22, v0
	s_lshr_b32 s23, s22, 1
	v_add_u32_e32 v15, s23, v2
	v_lshlrev_b32_e32 v23, 3, v15
	v_add_u32_e32 v24, 0x1000, v23
	ds_read2_b64 v[4:7], v23 offset1:255
	ds_read2_b64 v[11:14], v24 offset1:255
	v_add_u32_e32 v30, 0x2000, v23
	v_add_lshl_u32 v29, v15, s23, 3
	v_lshlrev_b32_e32 v2, 3, v2
	ds_read_b64 v[19:20], v2
	s_waitcnt lgkmcnt(1)
	v_mul_f32_e64 v16, v7, -v12
	v_mul_f32_e32 v21, v7, v11
	v_fmac_f32_e32 v16, v11, v6
	v_fmac_f32_e32 v21, v12, v6
	v_sub_f32_e32 v22, 1.0, v16
	v_mul_f32_e64 v25, -v21, -v21
	v_fmac_f32_e32 v25, v22, v22
	v_div_scale_f32 v26, s[24:25], v25, v25, 1.0
	v_div_scale_f32 v27, vcc, 1.0, v25, 1.0
	ds_read2_b64 v[15:18], v30 offset1:255
	v_sub_f32_e32 v21, 0, v21
	v_rcp_f32_e32 v28, v26
	v_fma_f32 v31, -v26, v28, 1.0
	v_fmac_f32_e32 v28, v31, v28
	v_mul_f32_e32 v31, v27, v28
	v_fma_f32 v32, -v26, v31, v27
	v_fmac_f32_e32 v31, v32, v28
	v_fma_f32 v26, -v26, v31, v27
	v_div_fmas_f32 v26, v26, v28, v31
	s_waitcnt lgkmcnt(0)
	v_mul_f32_e64 v27, v16, -v7
	v_mul_f32_e32 v32, v12, v17
	v_mul_f32_e32 v28, v16, v6
	v_mul_f32_e64 v31, v12, -v18
	v_fmac_f32_e32 v27, v6, v15
	v_fmac_f32_e32 v32, v18, v11
	;; [unrolled: 1-line block ×4, first 2 shown]
	v_sub_f32_e32 v27, v17, v27
	v_sub_f32_e32 v32, v16, v32
	v_fma_f32 v16, v22, 0, -v21
	v_sub_f32_e32 v28, v18, v28
	v_sub_f32_e32 v31, v15, v31
	v_fma_f32 v15, 0, v21, v22
	v_div_fixup_f32 v17, v26, v25, 1.0
	v_mul_f32_e32 v26, v16, v17
	v_mul_f32_e32 v25, v15, v17
	v_mul_f32_e64 v15, v26, -v28
	v_mul_f32_e32 v16, v26, v27
	v_mul_f32_e64 v17, v26, -v32
	v_mul_f32_e32 v18, v26, v31
	v_fmac_f32_e32 v15, v27, v25
	v_fmac_f32_e32 v16, v28, v25
	;; [unrolled: 1-line block ×4, first 2 shown]
	ds_write2_b64 v30, v[17:18], v[15:16] offset1:255
	v_mul_f32_e64 v27, v18, -v20
	v_mul_f32_e32 v28, v18, v19
	v_mul_f32_e32 v18, v5, v6
	v_fmac_f32_e32 v27, v19, v17
	v_fmac_f32_e32 v28, v20, v17
	v_mul_f32_e64 v17, v5, -v7
	v_fmac_f32_e32 v18, v7, v4
	v_fmac_f32_e32 v17, v6, v4
	v_mul_f32_e32 v6, v26, v18
	v_mul_f32_e64 v7, v18, -v25
	v_fma_f32 v6, -v25, v17, v6
	v_fma_f32 v7, -v26, v17, v7
	v_mul_f32_e64 v17, v5, -v26
	v_mul_f32_e32 v18, v25, v5
	v_mul_f32_e32 v5, v12, v13
	v_fmac_f32_e32 v17, v25, v4
	v_fmac_f32_e32 v18, v26, v4
	v_mul_f32_e64 v4, v12, -v14
	v_fmac_f32_e32 v5, v14, v11
	ds_read_b64 v[15:16], v2 offset:8192
	ds_read_b64 v[21:22], v29 offset:6136
	ds_write2_b64 v23, v[17:18], v[6:7] offset1:255
	v_fmac_f32_e32 v4, v13, v11
	v_mul_f32_e32 v6, v26, v5
	v_mul_f32_e64 v5, v5, -v25
	v_fma_f32 v11, -v25, v4, v6
	v_fma_f32 v12, -v26, v4, v5
	v_mul_f32_e64 v4, v14, -v26
	v_mul_f32_e32 v5, v25, v14
	v_fmac_f32_e32 v4, v25, v13
	v_fmac_f32_e32 v5, v26, v13
	ds_write2_b64 v24, v[11:12], v[4:5] offset1:255
	ds_read2st64_b64 v[4:7], v2 offset1:8
	s_waitcnt lgkmcnt(4)
	v_sub_f32_e32 v13, v15, v27
	v_sub_f32_e32 v14, v16, v28
	ds_write_b64 v2, v[13:14] offset:8192
	ds_read_b64 v[13:14], v23 offset:10232
	s_waitcnt lgkmcnt(2)
	v_mul_f32_e64 v15, v12, -v5
	v_mul_f32_e32 v12, v12, v4
	v_fmac_f32_e32 v15, v4, v11
	v_fmac_f32_e32 v12, v5, v11
	v_mul_f32_e32 v11, v18, v5
	v_fma_f32 v11, -v4, v17, v11
	v_mul_f32_e64 v4, v18, -v4
	v_sub_f32_e32 v6, v6, v15
	v_sub_f32_e32 v7, v7, v12
	v_fma_f32 v12, -v5, v17, v4
	ds_write2st64_b64 v2, v[11:12], v[6:7] offset1:8
	ds_read_b64 v[4:5], v23 offset:2040
	ds_read_b64 v[6:7], v29 offset:2040
	;; [unrolled: 1-line block ×5, first 2 shown]
	s_waitcnt lgkmcnt(6)
	v_mul_f32_e64 v2, v14, -v22
	v_fmac_f32_e32 v2, v21, v13
	v_mul_f32_e32 v14, v14, v21
	v_fmac_f32_e32 v14, v22, v13
	s_waitcnt lgkmcnt(1)
	v_sub_f32_e32 v13, v15, v2
	s_waitcnt lgkmcnt(0)
	v_mul_f32_e64 v2, v18, -v5
	v_sub_f32_e32 v14, v16, v14
	v_fmac_f32_e32 v2, v4, v17
	ds_write_b64 v29, v[13:14] offset:10232
	v_mul_f32_e32 v13, v18, v4
	v_sub_f32_e32 v4, v6, v2
	v_mul_f32_e32 v2, v18, v12
	v_fmac_f32_e32 v13, v5, v17
	v_fma_f32 v6, -v17, v11, v2
	v_mul_f32_e64 v2, v12, -v17
	v_sub_f32_e32 v5, v7, v13
	v_fma_f32 v7, -v18, v11, v2
	v_add_u32_e32 v2, 0x1f8, v29
	ds_write2st64_b64 v2, v[4:5], v[6:7] offset0:3 offset1:11
	s_branch .LBB213_13
.LBB213_16:
	s_and_saveexec_b64 s[18:19], s[0:1]
	s_cbranch_execnz .LBB213_19
; %bb.17:
	s_or_b64 exec, exec, s[18:19]
	v_cmp_eq_u32_e32 vcc, 0, v0
	s_and_saveexec_b64 s[0:1], vcc
	s_cbranch_execnz .LBB213_23
.LBB213_18:
	s_endpgm
.LBB213_19:
	s_cmp_eq_u32 s7, 0
	s_cbranch_scc1 .LBB213_27
; %bb.20:
	s_mul_i32 s20, s20, 7
	s_cbranch_execnz .LBB213_22
.LBB213_21:
	v_ashrrev_i32_e32 v2, 31, v1
	v_lshlrev_b64 v[11:12], 3, v[1:2]
	ds_read2st64_b64 v[4:7], v9 offset1:4
	v_mov_b32_e32 v2, s9
	v_add_co_u32_e32 v13, vcc, s8, v11
	v_addc_co_u32_e32 v14, vcc, v2, v12, vcc
	v_add_u32_e32 v1, s21, v1
	v_mov_b32_e32 v2, 0
	v_lshlrev_b64 v[1:2], 3, v[1:2]
	s_waitcnt lgkmcnt(0)
	global_store_dwordx2 v[13:14], v[4:5], off
	v_mov_b32_e32 v5, s9
	v_add_co_u32_e32 v4, vcc, s8, v1
	v_addc_co_u32_e32 v5, vcc, v5, v2, vcc
	global_store_dwordx2 v[4:5], v[6:7], off
	ds_read2st64_b64 v[4:7], v8 offset1:4
	v_mov_b32_e32 v9, s11
	v_add_co_u32_e32 v8, vcc, s10, v11
	v_addc_co_u32_e32 v9, vcc, v9, v12, vcc
	s_waitcnt lgkmcnt(0)
	global_store_dwordx2 v[8:9], v[4:5], off
	v_mov_b32_e32 v4, s11
	v_add_co_u32_e32 v1, vcc, s10, v1
	v_addc_co_u32_e32 v2, vcc, v4, v2, vcc
	s_mov_b32 s20, s21
	global_store_dwordx2 v[1:2], v[6:7], off
.LBB213_22:
	v_ashrrev_i32_e32 v4, 31, v3
	v_lshlrev_b64 v[1:2], 3, v[3:4]
	ds_read2st64_b64 v[4:7], v10 offset1:4
	v_mov_b32_e32 v8, s17
	v_add_co_u32_e32 v1, vcc, s16, v1
	v_addc_co_u32_e32 v2, vcc, v8, v2, vcc
	s_waitcnt lgkmcnt(0)
	global_store_dwordx2 v[1:2], v[4:5], off
	v_add_u32_e32 v1, s20, v3
	v_mov_b32_e32 v2, 0
	v_lshlrev_b64 v[1:2], 3, v[1:2]
	v_mov_b32_e32 v3, s17
	v_add_co_u32_e32 v1, vcc, s16, v1
	v_addc_co_u32_e32 v2, vcc, v3, v2, vcc
	global_store_dwordx2 v[1:2], v[6:7], off
	s_or_b64 exec, exec, s[18:19]
	v_cmp_eq_u32_e32 vcc, 0, v0
	s_and_saveexec_b64 s[0:1], vcc
	s_cbranch_execz .LBB213_18
.LBB213_23:
	s_cmp_eq_u32 s7, 0
	s_cbranch_scc1 .LBB213_28
; %bb.24:
	s_load_dword s8, s[4:5], 0x50
	s_cbranch_execnz .LBB213_26
.LBB213_25:
	v_mov_b32_e32 v0, 0xff8
	ds_read2_b64 v[0:3], v0 offset1:1
	s_mov_b32 s0, s7
	s_ashr_i32 s7, s6, 31
	s_waitcnt lgkmcnt(0)
	s_load_dword s8, s[4:5], 0x50
	s_lshl_b64 s[10:11], s[6:7], 3
	s_mov_b32 s7, s0
	s_add_u32 s0, s14, s10
	s_addc_u32 s1, s15, s11
	v_mov_b32_e32 v6, 0
	ds_read_b64 v[4:5], v6
	global_store_dwordx2 v6, v[2:3], s[0:1]
	ds_read_b64 v[2:3], v6 offset:8184
	s_waitcnt lgkmcnt(0)
	s_add_i32 s0, s8, s6
	s_mov_b32 s1, 0
	s_lshl_b64 s[0:1], s[0:1], 3
	s_add_u32 s4, s14, s0
	s_addc_u32 s5, s15, s1
	global_store_dwordx2 v6, v[2:3], s[4:5]
	s_add_u32 s4, s2, s10
	s_addc_u32 s5, s3, s11
	s_add_u32 s0, s2, s0
	s_addc_u32 s1, s3, s1
	global_store_dwordx2 v6, v[4:5], s[4:5]
	global_store_dwordx2 v6, v[0:1], s[0:1]
.LBB213_26:
	s_waitcnt lgkmcnt(0)
	s_mul_i32 s0, s8, s7
	s_lshl_b32 s0, s0, 1
	s_add_i32 s0, s0, s6
	s_mov_b32 s1, 0
	v_mov_b32_e32 v4, 0
	s_lshl_b64 s[2:3], s[0:1], 3
	ds_read_b64 v[0:1], v4 offset:8192
	ds_read_b64 v[2:3], v4 offset:12280
	s_add_u32 s2, s12, s2
	s_addc_u32 s3, s13, s3
	s_add_i32 s0, s0, s8
	s_lshl_b64 s[0:1], s[0:1], 3
	s_add_u32 s0, s12, s0
	s_addc_u32 s1, s13, s1
	s_waitcnt lgkmcnt(1)
	global_store_dwordx2 v4, v[0:1], s[2:3]
	s_waitcnt lgkmcnt(0)
	global_store_dwordx2 v4, v[2:3], s[0:1]
	s_endpgm
.LBB213_27:
                                        ; implicit-def: $sgpr20
	s_branch .LBB213_21
.LBB213_28:
                                        ; implicit-def: $sgpr8
	s_branch .LBB213_25
	.section	.rodata,"a",@progbits
	.p2align	6, 0x0
	.amdhsa_kernel _ZN9rocsparseL29gtsv_spike_block_level_kernelILj256ELj8E21rocsparse_complex_numIfEEEviiiPT1_PKS3_S6_S4_S4_S4_S4_S4_
		.amdhsa_group_segment_fixed_size 12288
		.amdhsa_private_segment_fixed_size 0
		.amdhsa_kernarg_size 336
		.amdhsa_user_sgpr_count 6
		.amdhsa_user_sgpr_private_segment_buffer 1
		.amdhsa_user_sgpr_dispatch_ptr 0
		.amdhsa_user_sgpr_queue_ptr 0
		.amdhsa_user_sgpr_kernarg_segment_ptr 1
		.amdhsa_user_sgpr_dispatch_id 0
		.amdhsa_user_sgpr_flat_scratch_init 0
		.amdhsa_user_sgpr_private_segment_size 0
		.amdhsa_uses_dynamic_stack 0
		.amdhsa_system_sgpr_private_segment_wavefront_offset 0
		.amdhsa_system_sgpr_workgroup_id_x 1
		.amdhsa_system_sgpr_workgroup_id_y 1
		.amdhsa_system_sgpr_workgroup_id_z 0
		.amdhsa_system_sgpr_workgroup_info 0
		.amdhsa_system_vgpr_workitem_id 0
		.amdhsa_next_free_vgpr 41
		.amdhsa_next_free_sgpr 98
		.amdhsa_reserve_vcc 1
		.amdhsa_reserve_flat_scratch 0
		.amdhsa_float_round_mode_32 0
		.amdhsa_float_round_mode_16_64 0
		.amdhsa_float_denorm_mode_32 3
		.amdhsa_float_denorm_mode_16_64 3
		.amdhsa_dx10_clamp 1
		.amdhsa_ieee_mode 1
		.amdhsa_fp16_overflow 0
		.amdhsa_exception_fp_ieee_invalid_op 0
		.amdhsa_exception_fp_denorm_src 0
		.amdhsa_exception_fp_ieee_div_zero 0
		.amdhsa_exception_fp_ieee_overflow 0
		.amdhsa_exception_fp_ieee_underflow 0
		.amdhsa_exception_fp_ieee_inexact 0
		.amdhsa_exception_int_div_zero 0
	.end_amdhsa_kernel
	.section	.text._ZN9rocsparseL29gtsv_spike_block_level_kernelILj256ELj8E21rocsparse_complex_numIfEEEviiiPT1_PKS3_S6_S4_S4_S4_S4_S4_,"axG",@progbits,_ZN9rocsparseL29gtsv_spike_block_level_kernelILj256ELj8E21rocsparse_complex_numIfEEEviiiPT1_PKS3_S6_S4_S4_S4_S4_S4_,comdat
.Lfunc_end213:
	.size	_ZN9rocsparseL29gtsv_spike_block_level_kernelILj256ELj8E21rocsparse_complex_numIfEEEviiiPT1_PKS3_S6_S4_S4_S4_S4_S4_, .Lfunc_end213-_ZN9rocsparseL29gtsv_spike_block_level_kernelILj256ELj8E21rocsparse_complex_numIfEEEviiiPT1_PKS3_S6_S4_S4_S4_S4_S4_
                                        ; -- End function
	.set _ZN9rocsparseL29gtsv_spike_block_level_kernelILj256ELj8E21rocsparse_complex_numIfEEEviiiPT1_PKS3_S6_S4_S4_S4_S4_S4_.num_vgpr, 33
	.set _ZN9rocsparseL29gtsv_spike_block_level_kernelILj256ELj8E21rocsparse_complex_numIfEEEviiiPT1_PKS3_S6_S4_S4_S4_S4_S4_.num_agpr, 0
	.set _ZN9rocsparseL29gtsv_spike_block_level_kernelILj256ELj8E21rocsparse_complex_numIfEEEviiiPT1_PKS3_S6_S4_S4_S4_S4_S4_.numbered_sgpr, 26
	.set _ZN9rocsparseL29gtsv_spike_block_level_kernelILj256ELj8E21rocsparse_complex_numIfEEEviiiPT1_PKS3_S6_S4_S4_S4_S4_S4_.num_named_barrier, 0
	.set _ZN9rocsparseL29gtsv_spike_block_level_kernelILj256ELj8E21rocsparse_complex_numIfEEEviiiPT1_PKS3_S6_S4_S4_S4_S4_S4_.private_seg_size, 0
	.set _ZN9rocsparseL29gtsv_spike_block_level_kernelILj256ELj8E21rocsparse_complex_numIfEEEviiiPT1_PKS3_S6_S4_S4_S4_S4_S4_.uses_vcc, 1
	.set _ZN9rocsparseL29gtsv_spike_block_level_kernelILj256ELj8E21rocsparse_complex_numIfEEEviiiPT1_PKS3_S6_S4_S4_S4_S4_S4_.uses_flat_scratch, 0
	.set _ZN9rocsparseL29gtsv_spike_block_level_kernelILj256ELj8E21rocsparse_complex_numIfEEEviiiPT1_PKS3_S6_S4_S4_S4_S4_S4_.has_dyn_sized_stack, 0
	.set _ZN9rocsparseL29gtsv_spike_block_level_kernelILj256ELj8E21rocsparse_complex_numIfEEEviiiPT1_PKS3_S6_S4_S4_S4_S4_S4_.has_recursion, 0
	.set _ZN9rocsparseL29gtsv_spike_block_level_kernelILj256ELj8E21rocsparse_complex_numIfEEEviiiPT1_PKS3_S6_S4_S4_S4_S4_S4_.has_indirect_call, 0
	.section	.AMDGPU.csdata,"",@progbits
; Kernel info:
; codeLenInByte = 1924
; TotalNumSgprs: 30
; NumVgprs: 33
; ScratchSize: 0
; MemoryBound: 0
; FloatMode: 240
; IeeeMode: 1
; LDSByteSize: 12288 bytes/workgroup (compile time only)
; SGPRBlocks: 12
; VGPRBlocks: 10
; NumSGPRsForWavesPerEU: 102
; NumVGPRsForWavesPerEU: 41
; Occupancy: 5
; WaveLimiterHint : 0
; COMPUTE_PGM_RSRC2:SCRATCH_EN: 0
; COMPUTE_PGM_RSRC2:USER_SGPR: 6
; COMPUTE_PGM_RSRC2:TRAP_HANDLER: 0
; COMPUTE_PGM_RSRC2:TGID_X_EN: 1
; COMPUTE_PGM_RSRC2:TGID_Y_EN: 1
; COMPUTE_PGM_RSRC2:TGID_Z_EN: 0
; COMPUTE_PGM_RSRC2:TIDIG_COMP_CNT: 0
	.section	.text._ZN9rocsparseL33gtsv_solve_spike_propagate_kernelILj256ELj8E21rocsparse_complex_numIfEEEviiiPT1_PKS3_S6_S6_,"axG",@progbits,_ZN9rocsparseL33gtsv_solve_spike_propagate_kernelILj256ELj8E21rocsparse_complex_numIfEEEviiiPT1_PKS3_S6_S6_,comdat
	.globl	_ZN9rocsparseL33gtsv_solve_spike_propagate_kernelILj256ELj8E21rocsparse_complex_numIfEEEviiiPT1_PKS3_S6_S6_ ; -- Begin function _ZN9rocsparseL33gtsv_solve_spike_propagate_kernelILj256ELj8E21rocsparse_complex_numIfEEEviiiPT1_PKS3_S6_S6_
	.p2align	8
	.type	_ZN9rocsparseL33gtsv_solve_spike_propagate_kernelILj256ELj8E21rocsparse_complex_numIfEEEviiiPT1_PKS3_S6_S6_,@function
_ZN9rocsparseL33gtsv_solve_spike_propagate_kernelILj256ELj8E21rocsparse_complex_numIfEEEviiiPT1_PKS3_S6_S6_: ; @_ZN9rocsparseL33gtsv_solve_spike_propagate_kernelILj256ELj8E21rocsparse_complex_numIfEEEviiiPT1_PKS3_S6_S6_
; %bb.0:
	s_load_dword s10, s[4:5], 0x0
	v_lshl_or_b32 v1, s6, 8, v0
	v_lshlrev_b32_e32 v6, 3, v0
	s_waitcnt lgkmcnt(0)
	s_lshr_b32 s14, s10, 3
	v_cmp_gt_i32_e32 vcc, s14, v1
	v_cmp_le_i32_e64 s[0:1], s14, v1
	s_and_saveexec_b64 s[2:3], s[0:1]
	s_xor_b64 s[2:3], exec, s[2:3]
; %bb.1:
	v_mov_b32_e32 v2, 0
	v_mov_b32_e32 v3, v2
	ds_write_b64 v6, v[2:3] offset:8208
; %bb.2:
	s_or_saveexec_b64 s[8:9], s[2:3]
	v_mov_b32_e32 v3, 0
	v_ashrrev_i32_e32 v2, 31, v1
	v_mov_b32_e32 v4, 0
	s_xor_b64 exec, exec, s[8:9]
	s_cbranch_execz .LBB214_4
; %bb.3:
	s_load_dwordx2 s[12:13], s[4:5], 0x18
	v_mad_u64_u32 v[7:8], s[2:3], s14, 7, v[1:2]
	v_lshlrev_b64 v[3:4], 3, v[1:2]
	v_mov_b32_e32 v8, 0
	s_waitcnt lgkmcnt(0)
	v_mov_b32_e32 v5, s13
	v_add_co_u32_e64 v9, s[2:3], s12, v3
	v_addc_co_u32_e64 v10, s[2:3], v5, v4, s[2:3]
	v_lshlrev_b64 v[3:4], 3, v[7:8]
	v_add_co_u32_e64 v7, s[2:3], s12, v3
	v_addc_co_u32_e64 v8, s[2:3], v5, v4, s[2:3]
	global_load_dwordx2 v[11:12], v[9:10], off
	global_load_dwordx2 v[3:4], v[7:8], off
	s_waitcnt vmcnt(1)
	ds_write_b64 v6, v[11:12] offset:8208
.LBB214_4:
	s_or_b64 exec, exec, s[8:9]
	s_load_dwordx2 s[2:3], s[4:5], 0x10
	s_waitcnt vmcnt(0)
	ds_write_b64 v6, v[3:4] offset:10256
	s_and_saveexec_b64 s[8:9], s[0:1]
	s_xor_b64 s[0:1], exec, s[8:9]
	s_cbranch_execz .LBB214_6
; %bb.5:
	s_mov_b32 s8, 0
	s_mov_b32 s9, s8
	v_mov_b32_e32 v2, s8
	v_mov_b32_e32 v3, s9
	v_add_u32_e32 v4, 16, v6
	ds_write2st64_b64 v4, v[2:3], v[2:3] offset0:8 offset1:12
.LBB214_6:
	s_or_saveexec_b64 s[8:9], s[0:1]
	v_mov_b32_e32 v3, 0
	s_mul_i32 s10, s10, s7
	v_mov_b32_e32 v5, 0
	v_mov_b32_e32 v4, 0
	s_xor_b64 exec, exec, s[8:9]
	s_cbranch_execz .LBB214_8
; %bb.7:
	s_load_dwordx2 s[12:13], s[4:5], 0x20
	v_mad_u64_u32 v[7:8], s[0:1], s14, 7, v[1:2]
	v_lshlrev_b64 v[4:5], 3, v[1:2]
	v_mov_b32_e32 v8, 0
	s_waitcnt lgkmcnt(0)
	v_mov_b32_e32 v2, s13
	v_add_co_u32_e64 v4, s[0:1], s12, v4
	v_lshlrev_b64 v[9:10], 3, v[7:8]
	v_addc_co_u32_e64 v5, s[0:1], v2, v5, s[0:1]
	v_add_co_u32_e64 v9, s[0:1], s12, v9
	v_add_u32_e32 v7, s10, v7
	v_addc_co_u32_e64 v10, s[0:1], v2, v10, s[0:1]
	global_load_dwordx2 v[11:12], v[4:5], off
	global_load_dwordx2 v[13:14], v[9:10], off
	v_lshlrev_b64 v[4:5], 3, v[7:8]
	v_mov_b32_e32 v2, s3
	v_add_co_u32_e64 v4, s[0:1], s2, v4
	v_addc_co_u32_e64 v5, s[0:1], v2, v5, s[0:1]
	global_load_dwordx2 v[4:5], v[4:5], off
	v_add_u32_e32 v2, 16, v6
	s_waitcnt vmcnt(1)
	ds_write2st64_b64 v2, v[11:12], v[13:14] offset0:8 offset1:12
.LBB214_8:
	s_or_b64 exec, exec, s[8:9]
	v_add_u32_e32 v1, s10, v1
	v_mov_b32_e32 v2, 0
	s_waitcnt vmcnt(0)
	ds_write_b64 v6, v[4:5] offset:8
	s_and_saveexec_b64 s[8:9], vcc
	s_cbranch_execz .LBB214_10
; %bb.9:
	v_ashrrev_i32_e32 v2, 31, v1
	v_lshlrev_b64 v[2:3], 3, v[1:2]
	s_waitcnt lgkmcnt(0)
	v_mov_b32_e32 v4, s3
	v_add_co_u32_e64 v2, s[0:1], s2, v2
	v_addc_co_u32_e64 v3, s[0:1], v4, v3, s[0:1]
	global_load_dwordx2 v[2:3], v[2:3], off
.LBB214_10:
	s_or_b64 exec, exec, s[8:9]
	s_mov_b32 s13, 0
	v_cmp_eq_u32_e64 s[0:1], 0, v0
	s_waitcnt vmcnt(0)
	ds_write_b64 v6, v[2:3] offset:2056
	s_waitcnt lgkmcnt(0)
	s_barrier
	s_and_saveexec_b64 s[8:9], s[0:1]
	s_cbranch_execz .LBB214_16
; %bb.11:
	s_load_dword s15, s[4:5], 0x30
	s_load_dwordx2 s[10:11], s[4:5], 0x28
	s_cmp_lt_i32 s6, 1
	s_mov_b32 s12, 0
	s_waitcnt lgkmcnt(0)
	s_mul_i32 s7, s7, s15
	s_cbranch_scc1 .LBB214_13
; %bb.12:
	s_lshl_b32 s4, s7, 1
	s_add_i32 s5, s6, s15
	s_add_i32 s4, s5, s4
	s_add_i32 s4, s4, -1
	s_mov_b32 s5, 0
	s_lshl_b64 s[4:5], s[4:5], 3
	s_add_u32 s4, s10, s4
	s_addc_u32 s5, s11, s5
	s_load_dwordx2 s[12:13], s[4:5], 0x0
.LBB214_13:
	s_add_i32 s4, s15, -1
	s_waitcnt lgkmcnt(0)
	v_mov_b32_e32 v3, s12
	v_mov_b32_e32 v4, s13
	;; [unrolled: 1-line block ×3, first 2 shown]
	s_mov_b32 s5, 0
	s_cmp_ge_u32 s6, s4
	s_mov_b32 s13, 0
	s_mov_b32 s12, 0
	ds_write_b64 v2, v[3:4]
	s_cbranch_scc1 .LBB214_15
; %bb.14:
	s_lshl_b32 s4, s7, 1
	s_add_i32 s4, s6, s4
	s_add_i32 s12, s4, 1
	s_lshl_b64 s[12:13], s[12:13], 3
	s_add_u32 s16, s10, s12
	s_addc_u32 s17, s11, s13
	s_load_dwordx2 s[12:13], s[16:17], 0x0
.LBB214_15:
	s_lshl_b32 s4, s7, 1
	s_add_i32 s4, s4, s6
	s_lshl_b64 s[6:7], s[4:5], 3
	s_add_u32 s6, s10, s6
	s_addc_u32 s7, s11, s7
	s_add_i32 s4, s4, s15
	s_lshl_b64 s[4:5], s[4:5], 3
	s_add_u32 s4, s10, s4
	s_addc_u32 s5, s11, s5
	s_load_dwordx2 s[10:11], s[4:5], 0x0
	s_load_dwordx2 s[16:17], s[6:7], 0x0
	s_waitcnt lgkmcnt(0)
	v_mov_b32_e32 v3, s12
	v_mov_b32_e32 v4, s13
	ds_write_b64 v2, v[3:4] offset:4104
	v_mov_b32_e32 v7, s10
	v_mov_b32_e32 v8, s11
	;; [unrolled: 1-line block ×4, first 2 shown]
	ds_write_b128 v2, v[7:10] offset:2048
.LBB214_16:
	s_or_b64 exec, exec, s[8:9]
	s_waitcnt lgkmcnt(0)
	s_barrier
	s_and_saveexec_b64 s[4:5], s[0:1]
	s_cbranch_execz .LBB214_18
; %bb.17:
	s_movk_i32 s0, 0x1410
	v_add_u32_e64 v7, s0, 0
	v_add_u32_e64 v2, 8, 0
	ds_read2st64_b64 v[2:5], v2 offset0:6 offset1:8
	ds_read2_b64 v[7:10], v7 offset1:255
	s_movk_i32 s0, 0x2410
	v_mov_b32_e32 v19, 0
	v_add_u32_e64 v15, s0, 0
	ds_read2st64_b64 v[11:14], v19 offset1:2
	ds_read2_b64 v[15:18], v15 offset1:255
	s_waitcnt lgkmcnt(2)
	v_mul_f32_e64 v20, v5, -v10
	v_fmac_f32_e32 v20, v9, v4
	v_mul_f32_e32 v9, v5, v9
	v_fmac_f32_e32 v9, v10, v4
	s_waitcnt lgkmcnt(1)
	v_sub_f32_e32 v10, v13, v20
	v_sub_f32_e32 v13, v14, v9
	s_waitcnt lgkmcnt(0)
	v_mul_f32_e64 v9, v12, -v18
	v_mul_f32_e32 v14, v12, v17
	v_fmac_f32_e32 v9, v17, v11
	v_fmac_f32_e32 v14, v18, v11
	v_sub_f32_e32 v9, v10, v9
	v_sub_f32_e32 v10, v13, v14
	ds_write_b64 v19, v[9:10] offset:1024
	v_mul_f32_e64 v9, v5, -v8
	v_mul_f32_e32 v5, v5, v7
	v_fmac_f32_e32 v5, v8, v4
	v_fmac_f32_e32 v9, v7, v4
	v_sub_f32_e32 v3, v3, v5
	v_mul_f32_e64 v4, v12, -v16
	v_mul_f32_e32 v5, v12, v15
	v_sub_f32_e32 v2, v2, v9
	v_fmac_f32_e32 v4, v15, v11
	v_fmac_f32_e32 v5, v16, v11
	v_sub_f32_e32 v2, v2, v4
	v_sub_f32_e32 v3, v3, v5
	ds_write_b64 v19, v[2:3] offset:3080
.LBB214_18:
	s_or_b64 exec, exec, s[4:5]
	v_cmp_gt_u32_e64 s[0:1], 2, v0
	s_waitcnt lgkmcnt(0)
	s_barrier
	s_and_saveexec_b64 s[4:5], s[0:1]
	s_cbranch_execz .LBB214_20
; %bb.19:
	v_lshlrev_b32_e32 v19, 10, v0
	v_add_u32_e32 v2, 0x1210, v19
	ds_read2_b64 v[2:5], v2 offset1:255
	v_add_u32_e32 v7, 8, v19
	ds_read2st64_b64 v[7:10], v7 offset0:5 offset1:6
	ds_read2st64_b64 v[11:14], v19 offset1:1
	v_add_u32_e32 v15, 0x2210, v19
	ds_read2_b64 v[15:18], v15 offset1:255
	s_waitcnt lgkmcnt(2)
	v_mul_f32_e64 v20, v10, -v5
	v_fmac_f32_e32 v20, v4, v9
	v_mul_f32_e32 v4, v10, v4
	v_fmac_f32_e32 v4, v5, v9
	s_waitcnt lgkmcnt(1)
	v_sub_f32_e32 v5, v13, v20
	v_sub_f32_e32 v13, v14, v4
	s_waitcnt lgkmcnt(0)
	v_mul_f32_e64 v4, v12, -v18
	v_mul_f32_e32 v14, v12, v17
	v_fmac_f32_e32 v4, v17, v11
	v_fmac_f32_e32 v14, v18, v11
	v_sub_f32_e32 v4, v5, v4
	v_sub_f32_e32 v5, v13, v14
	ds_write_b64 v19, v[4:5] offset:512
	v_mul_f32_e64 v4, v10, -v3
	v_fmac_f32_e32 v4, v2, v9
	v_mul_f32_e32 v2, v10, v2
	v_fmac_f32_e32 v2, v3, v9
	v_sub_f32_e32 v3, v7, v4
	v_sub_f32_e32 v4, v8, v2
	v_mul_f32_e64 v2, v12, -v16
	v_mul_f32_e32 v5, v12, v15
	v_fmac_f32_e32 v2, v15, v11
	v_fmac_f32_e32 v5, v16, v11
	v_sub_f32_e32 v2, v3, v2
	v_sub_f32_e32 v3, v4, v5
	ds_write_b64 v19, v[2:3] offset:2568
.LBB214_20:
	s_or_b64 exec, exec, s[4:5]
	v_cmp_gt_u32_e64 s[0:1], 4, v0
	s_waitcnt lgkmcnt(0)
	s_barrier
	s_and_saveexec_b64 s[4:5], s[0:1]
	s_cbranch_execz .LBB214_22
; %bb.21:
	v_lshlrev_b32_e32 v19, 9, v0
	v_add_u32_e32 v2, 0x1110, v19
	ds_read2_b64 v[2:5], v2 offset1:255
	v_add_u32_e32 v7, 0x800, v19
	ds_read2_b64 v[7:10], v7 offset0:33 offset1:65
	ds_read2_b64 v[11:14], v19 offset1:32
	v_add_u32_e32 v15, 0x2110, v19
	ds_read2_b64 v[15:18], v15 offset1:255
	s_waitcnt lgkmcnt(2)
	v_mul_f32_e64 v20, v10, -v5
	v_fmac_f32_e32 v20, v4, v9
	v_mul_f32_e32 v4, v10, v4
	v_fmac_f32_e32 v4, v5, v9
	s_waitcnt lgkmcnt(1)
	v_sub_f32_e32 v5, v13, v20
	v_sub_f32_e32 v13, v14, v4
	s_waitcnt lgkmcnt(0)
	v_mul_f32_e64 v4, v12, -v18
	v_mul_f32_e32 v14, v12, v17
	v_fmac_f32_e32 v4, v17, v11
	v_fmac_f32_e32 v14, v18, v11
	v_sub_f32_e32 v4, v5, v4
	v_sub_f32_e32 v5, v13, v14
	ds_write_b64 v19, v[4:5] offset:256
	v_mul_f32_e64 v4, v10, -v3
	v_fmac_f32_e32 v4, v2, v9
	v_mul_f32_e32 v2, v10, v2
	v_fmac_f32_e32 v2, v3, v9
	v_sub_f32_e32 v3, v7, v4
	v_sub_f32_e32 v4, v8, v2
	v_mul_f32_e64 v2, v12, -v16
	v_mul_f32_e32 v5, v12, v15
	v_fmac_f32_e32 v2, v15, v11
	v_fmac_f32_e32 v5, v16, v11
	v_sub_f32_e32 v2, v3, v2
	v_sub_f32_e32 v3, v4, v5
	ds_write_b64 v19, v[2:3] offset:2312
.LBB214_22:
	s_or_b64 exec, exec, s[4:5]
	v_cmp_gt_u32_e64 s[0:1], 8, v0
	s_waitcnt lgkmcnt(0)
	s_barrier
	s_and_saveexec_b64 s[4:5], s[0:1]
	s_cbranch_execz .LBB214_24
; %bb.23:
	v_lshlrev_b32_e32 v19, 8, v0
	v_add_u32_e32 v2, 0x1090, v19
	ds_read2_b64 v[2:5], v2 offset1:255
	v_add_u32_e32 v7, 0x800, v19
	ds_read2_b64 v[7:10], v7 offset0:17 offset1:33
	ds_read2_b64 v[11:14], v19 offset1:16
	v_add_u32_e32 v15, 0x2090, v19
	ds_read2_b64 v[15:18], v15 offset1:255
	s_waitcnt lgkmcnt(2)
	v_mul_f32_e64 v20, v10, -v5
	v_fmac_f32_e32 v20, v4, v9
	v_mul_f32_e32 v4, v10, v4
	v_fmac_f32_e32 v4, v5, v9
	s_waitcnt lgkmcnt(1)
	v_sub_f32_e32 v5, v13, v20
	v_sub_f32_e32 v13, v14, v4
	s_waitcnt lgkmcnt(0)
	v_mul_f32_e64 v4, v12, -v18
	v_mul_f32_e32 v14, v12, v17
	v_fmac_f32_e32 v4, v17, v11
	v_fmac_f32_e32 v14, v18, v11
	v_sub_f32_e32 v4, v5, v4
	v_sub_f32_e32 v5, v13, v14
	ds_write_b64 v19, v[4:5] offset:128
	v_mul_f32_e64 v4, v10, -v3
	v_fmac_f32_e32 v4, v2, v9
	v_mul_f32_e32 v2, v10, v2
	v_fmac_f32_e32 v2, v3, v9
	v_sub_f32_e32 v3, v7, v4
	v_sub_f32_e32 v4, v8, v2
	v_mul_f32_e64 v2, v12, -v16
	v_mul_f32_e32 v5, v12, v15
	v_fmac_f32_e32 v2, v15, v11
	v_fmac_f32_e32 v5, v16, v11
	v_sub_f32_e32 v2, v3, v2
	v_sub_f32_e32 v3, v4, v5
	ds_write_b64 v19, v[2:3] offset:2184
.LBB214_24:
	;; [unrolled: 45-line block ×5, first 2 shown]
	s_or_b64 exec, exec, s[4:5]
	s_movk_i32 s0, 0x80
	v_cmp_gt_u32_e64 s[0:1], s0, v0
	s_waitcnt lgkmcnt(0)
	s_barrier
	s_and_saveexec_b64 s[4:5], s[0:1]
	s_cbranch_execz .LBB214_32
; %bb.31:
	v_lshlrev_b32_e32 v0, 4, v0
	v_add_u32_e32 v2, 0x1018, v0
	ds_read2_b64 v[2:5], v2 offset1:255
	v_add_u32_e32 v7, 0x800, v0
	ds_read2_b64 v[7:10], v7 offset0:2 offset1:3
	ds_read2_b64 v[11:14], v0 offset1:1
	v_add_u32_e32 v15, 0x2018, v0
	ds_read2_b64 v[15:18], v15 offset1:255
	s_waitcnt lgkmcnt(2)
	v_mul_f32_e64 v19, v10, -v5
	v_fmac_f32_e32 v19, v4, v9
	v_mul_f32_e32 v4, v10, v4
	v_fmac_f32_e32 v4, v5, v9
	s_waitcnt lgkmcnt(1)
	v_sub_f32_e32 v5, v13, v19
	v_sub_f32_e32 v13, v14, v4
	s_waitcnt lgkmcnt(0)
	v_mul_f32_e64 v4, v12, -v18
	v_mul_f32_e32 v14, v12, v17
	v_fmac_f32_e32 v4, v17, v11
	v_fmac_f32_e32 v14, v18, v11
	v_sub_f32_e32 v4, v5, v4
	v_sub_f32_e32 v5, v13, v14
	ds_write_b64 v0, v[4:5] offset:8
	v_mul_f32_e64 v4, v10, -v3
	v_fmac_f32_e32 v4, v2, v9
	v_mul_f32_e32 v2, v10, v2
	v_fmac_f32_e32 v2, v3, v9
	v_sub_f32_e32 v3, v7, v4
	v_sub_f32_e32 v4, v8, v2
	v_mul_f32_e64 v2, v12, -v16
	v_mul_f32_e32 v5, v12, v15
	v_fmac_f32_e32 v2, v15, v11
	v_fmac_f32_e32 v5, v16, v11
	v_sub_f32_e32 v2, v3, v2
	v_sub_f32_e32 v3, v4, v5
	ds_write_b64 v0, v[2:3] offset:2064
.LBB214_32:
	s_or_b64 exec, exec, s[4:5]
	s_waitcnt lgkmcnt(0)
	s_barrier
	s_and_saveexec_b64 s[0:1], vcc
	s_cbranch_execz .LBB214_34
; %bb.33:
	v_ashrrev_i32_e32 v2, 31, v1
	v_add_u32_e32 v0, 8, v6
	v_lshlrev_b64 v[7:8], 3, v[1:2]
	ds_read2st64_b64 v[2:5], v0 offset1:4
	v_mov_b32_e32 v9, s3
	v_add_co_u32_e32 v6, vcc, s2, v7
	v_addc_co_u32_e32 v7, vcc, v9, v8, vcc
	s_waitcnt lgkmcnt(0)
	v_mad_u64_u32 v[0:1], s[0:1], s14, 7, v[1:2]
	v_mov_b32_e32 v1, 0
	global_store_dwordx2 v[6:7], v[4:5], off
	v_lshlrev_b64 v[0:1], 3, v[0:1]
	v_mov_b32_e32 v4, s3
	v_add_co_u32_e32 v0, vcc, s2, v0
	v_addc_co_u32_e32 v1, vcc, v4, v1, vcc
	global_store_dwordx2 v[0:1], v[2:3], off
.LBB214_34:
	s_endpgm
	.section	.rodata,"a",@progbits
	.p2align	6, 0x0
	.amdhsa_kernel _ZN9rocsparseL33gtsv_solve_spike_propagate_kernelILj256ELj8E21rocsparse_complex_numIfEEEviiiPT1_PKS3_S6_S6_
		.amdhsa_group_segment_fixed_size 12304
		.amdhsa_private_segment_fixed_size 0
		.amdhsa_kernarg_size 304
		.amdhsa_user_sgpr_count 6
		.amdhsa_user_sgpr_private_segment_buffer 1
		.amdhsa_user_sgpr_dispatch_ptr 0
		.amdhsa_user_sgpr_queue_ptr 0
		.amdhsa_user_sgpr_kernarg_segment_ptr 1
		.amdhsa_user_sgpr_dispatch_id 0
		.amdhsa_user_sgpr_flat_scratch_init 0
		.amdhsa_user_sgpr_private_segment_size 0
		.amdhsa_uses_dynamic_stack 0
		.amdhsa_system_sgpr_private_segment_wavefront_offset 0
		.amdhsa_system_sgpr_workgroup_id_x 1
		.amdhsa_system_sgpr_workgroup_id_y 1
		.amdhsa_system_sgpr_workgroup_id_z 0
		.amdhsa_system_sgpr_workgroup_info 0
		.amdhsa_system_vgpr_workitem_id 0
		.amdhsa_next_free_vgpr 41
		.amdhsa_next_free_sgpr 98
		.amdhsa_reserve_vcc 1
		.amdhsa_reserve_flat_scratch 0
		.amdhsa_float_round_mode_32 0
		.amdhsa_float_round_mode_16_64 0
		.amdhsa_float_denorm_mode_32 3
		.amdhsa_float_denorm_mode_16_64 3
		.amdhsa_dx10_clamp 1
		.amdhsa_ieee_mode 1
		.amdhsa_fp16_overflow 0
		.amdhsa_exception_fp_ieee_invalid_op 0
		.amdhsa_exception_fp_denorm_src 0
		.amdhsa_exception_fp_ieee_div_zero 0
		.amdhsa_exception_fp_ieee_overflow 0
		.amdhsa_exception_fp_ieee_underflow 0
		.amdhsa_exception_fp_ieee_inexact 0
		.amdhsa_exception_int_div_zero 0
	.end_amdhsa_kernel
	.section	.text._ZN9rocsparseL33gtsv_solve_spike_propagate_kernelILj256ELj8E21rocsparse_complex_numIfEEEviiiPT1_PKS3_S6_S6_,"axG",@progbits,_ZN9rocsparseL33gtsv_solve_spike_propagate_kernelILj256ELj8E21rocsparse_complex_numIfEEEviiiPT1_PKS3_S6_S6_,comdat
.Lfunc_end214:
	.size	_ZN9rocsparseL33gtsv_solve_spike_propagate_kernelILj256ELj8E21rocsparse_complex_numIfEEEviiiPT1_PKS3_S6_S6_, .Lfunc_end214-_ZN9rocsparseL33gtsv_solve_spike_propagate_kernelILj256ELj8E21rocsparse_complex_numIfEEEviiiPT1_PKS3_S6_S6_
                                        ; -- End function
	.set _ZN9rocsparseL33gtsv_solve_spike_propagate_kernelILj256ELj8E21rocsparse_complex_numIfEEEviiiPT1_PKS3_S6_S6_.num_vgpr, 21
	.set _ZN9rocsparseL33gtsv_solve_spike_propagate_kernelILj256ELj8E21rocsparse_complex_numIfEEEviiiPT1_PKS3_S6_S6_.num_agpr, 0
	.set _ZN9rocsparseL33gtsv_solve_spike_propagate_kernelILj256ELj8E21rocsparse_complex_numIfEEEviiiPT1_PKS3_S6_S6_.numbered_sgpr, 18
	.set _ZN9rocsparseL33gtsv_solve_spike_propagate_kernelILj256ELj8E21rocsparse_complex_numIfEEEviiiPT1_PKS3_S6_S6_.num_named_barrier, 0
	.set _ZN9rocsparseL33gtsv_solve_spike_propagate_kernelILj256ELj8E21rocsparse_complex_numIfEEEviiiPT1_PKS3_S6_S6_.private_seg_size, 0
	.set _ZN9rocsparseL33gtsv_solve_spike_propagate_kernelILj256ELj8E21rocsparse_complex_numIfEEEviiiPT1_PKS3_S6_S6_.uses_vcc, 1
	.set _ZN9rocsparseL33gtsv_solve_spike_propagate_kernelILj256ELj8E21rocsparse_complex_numIfEEEviiiPT1_PKS3_S6_S6_.uses_flat_scratch, 0
	.set _ZN9rocsparseL33gtsv_solve_spike_propagate_kernelILj256ELj8E21rocsparse_complex_numIfEEEviiiPT1_PKS3_S6_S6_.has_dyn_sized_stack, 0
	.set _ZN9rocsparseL33gtsv_solve_spike_propagate_kernelILj256ELj8E21rocsparse_complex_numIfEEEviiiPT1_PKS3_S6_S6_.has_recursion, 0
	.set _ZN9rocsparseL33gtsv_solve_spike_propagate_kernelILj256ELj8E21rocsparse_complex_numIfEEEviiiPT1_PKS3_S6_S6_.has_indirect_call, 0
	.section	.AMDGPU.csdata,"",@progbits
; Kernel info:
; codeLenInByte = 2740
; TotalNumSgprs: 22
; NumVgprs: 21
; ScratchSize: 0
; MemoryBound: 0
; FloatMode: 240
; IeeeMode: 1
; LDSByteSize: 12304 bytes/workgroup (compile time only)
; SGPRBlocks: 12
; VGPRBlocks: 10
; NumSGPRsForWavesPerEU: 102
; NumVGPRsForWavesPerEU: 41
; Occupancy: 5
; WaveLimiterHint : 0
; COMPUTE_PGM_RSRC2:SCRATCH_EN: 0
; COMPUTE_PGM_RSRC2:USER_SGPR: 6
; COMPUTE_PGM_RSRC2:TRAP_HANDLER: 0
; COMPUTE_PGM_RSRC2:TGID_X_EN: 1
; COMPUTE_PGM_RSRC2:TGID_Y_EN: 1
; COMPUTE_PGM_RSRC2:TGID_Z_EN: 0
; COMPUTE_PGM_RSRC2:TIDIG_COMP_CNT: 0
	.section	.text._ZN9rocsparseL39gtsv_spike_backward_substitution_kernelILj256ELj8E21rocsparse_complex_numIfEEEviiiPT1_PKS3_S6_,"axG",@progbits,_ZN9rocsparseL39gtsv_spike_backward_substitution_kernelILj256ELj8E21rocsparse_complex_numIfEEEviiiPT1_PKS3_S6_,comdat
	.globl	_ZN9rocsparseL39gtsv_spike_backward_substitution_kernelILj256ELj8E21rocsparse_complex_numIfEEEviiiPT1_PKS3_S6_ ; -- Begin function _ZN9rocsparseL39gtsv_spike_backward_substitution_kernelILj256ELj8E21rocsparse_complex_numIfEEEviiiPT1_PKS3_S6_
	.p2align	8
	.type	_ZN9rocsparseL39gtsv_spike_backward_substitution_kernelILj256ELj8E21rocsparse_complex_numIfEEEviiiPT1_PKS3_S6_,@function
_ZN9rocsparseL39gtsv_spike_backward_substitution_kernelILj256ELj8E21rocsparse_complex_numIfEEEviiiPT1_PKS3_S6_: ; @_ZN9rocsparseL39gtsv_spike_backward_substitution_kernelILj256ELj8E21rocsparse_complex_numIfEEEviiiPT1_PKS3_S6_
; %bb.0:
	s_load_dword s11, s[4:5], 0x0
	v_lshl_or_b32 v5, s6, 8, v0
	s_waitcnt lgkmcnt(0)
	s_lshr_b32 s6, s11, 3
	v_cmp_gt_i32_e32 vcc, s6, v5
	s_and_saveexec_b64 s[0:1], vcc
	s_cbranch_execz .LBB215_6
; %bb.1:
	s_load_dwordx2 s[8:9], s[4:5], 0x10
	v_cmp_lt_i32_e32 vcc, 0, v5
	v_mov_b32_e32 v2, 0
	s_mul_i32 s10, s11, s7
	v_mov_b32_e32 v3, 0
	s_and_saveexec_b64 s[0:1], vcc
	s_cbranch_execz .LBB215_3
; %bb.2:
	s_mul_i32 s2, s6, 7
	s_mul_i32 s3, s11, s7
	s_add_i32 s2, s2, s3
	v_add3_u32 v0, v5, s2, -1
	v_mov_b32_e32 v1, 0
	v_lshlrev_b64 v[0:1], 3, v[0:1]
	s_waitcnt lgkmcnt(0)
	v_mov_b32_e32 v2, s9
	v_add_co_u32_e32 v0, vcc, s8, v0
	v_addc_co_u32_e32 v1, vcc, v2, v1, vcc
	global_load_dwordx2 v[2:3], v[0:1], off
.LBB215_3:
	s_or_b64 exec, exec, s[0:1]
	s_load_dwordx4 s[0:3], s[4:5], 0x18
	v_add_u32_e32 v0, 8, v5
	v_cmp_le_u32_e32 vcc, s11, v0
	s_and_saveexec_b64 s[4:5], vcc
	s_xor_b64 s[4:5], exec, s[4:5]
	s_or_saveexec_b64 s[4:5], s[4:5]
	v_mov_b32_e32 v0, 0
	v_mov_b32_e32 v4, s10
	;; [unrolled: 1-line block ×3, first 2 shown]
	s_xor_b64 exec, exec, s[4:5]
	s_cbranch_execz .LBB215_5
; %bb.4:
	s_ashr_i32 s7, s10, 31
	v_ashrrev_i32_e32 v1, 31, v5
	v_mov_b32_e32 v4, s7
	v_add_co_u32_e32 v0, vcc, s10, v5
	v_addc_co_u32_e32 v1, vcc, v1, v4, vcc
	v_lshlrev_b64 v[0:1], 3, v[0:1]
	s_waitcnt lgkmcnt(0)
	v_mov_b32_e32 v4, s9
	v_add_co_u32_e32 v0, vcc, s8, v0
	v_addc_co_u32_e32 v1, vcc, v4, v1, vcc
	global_load_dwordx2 v[0:1], v[0:1], off offset:8
	v_mov_b32_e32 v4, s10
.LBB215_5:
	s_or_b64 exec, exec, s[4:5]
	v_add_u32_e32 v5, s6, v5
	v_add_u32_e32 v6, v5, v4
	v_ashrrev_i32_e32 v7, 31, v6
	v_lshlrev_b64 v[6:7], 3, v[6:7]
	s_waitcnt lgkmcnt(0)
	v_mov_b32_e32 v11, s1
	v_add_co_u32_e32 v8, vcc, s8, v6
	v_mov_b32_e32 v6, s9
	v_addc_co_u32_e32 v9, vcc, v6, v7, vcc
	v_ashrrev_i32_e32 v6, 31, v5
	v_lshlrev_b64 v[6:7], 3, v[5:6]
	v_add_u32_e32 v5, s6, v5
	v_add_co_u32_e32 v10, vcc, s0, v6
	v_addc_co_u32_e32 v11, vcc, v11, v7, vcc
	global_load_dwordx2 v[10:11], v[10:11], off
	v_add_co_u32_e32 v6, vcc, s2, v6
	s_waitcnt vmcnt(0)
	v_mul_f32_e64 v12, v3, -v11
	v_mul_f32_e32 v13, v3, v10
	v_fmac_f32_e32 v12, v10, v2
	v_fmac_f32_e32 v13, v11, v2
	global_load_dwordx2 v[10:11], v[8:9], off
	s_waitcnt vmcnt(0)
	v_sub_f32_e32 v10, v10, v12
	v_sub_f32_e32 v11, v11, v13
	global_store_dwordx2 v[8:9], v[10:11], off
	v_mov_b32_e32 v10, s3
	v_addc_co_u32_e32 v7, vcc, v10, v7, vcc
	global_load_dwordx2 v[6:7], v[6:7], off
	s_waitcnt vmcnt(0)
	v_mul_f32_e64 v10, v1, -v7
	v_mul_f32_e32 v11, v1, v6
	v_fmac_f32_e32 v10, v6, v0
	v_fmac_f32_e32 v11, v7, v0
	global_load_dwordx2 v[6:7], v[8:9], off
	s_waitcnt vmcnt(0)
	v_sub_f32_e32 v6, v6, v10
	v_sub_f32_e32 v7, v7, v11
	global_store_dwordx2 v[8:9], v[6:7], off
	v_add_u32_e32 v6, v5, v4
	v_ashrrev_i32_e32 v7, 31, v6
	v_lshlrev_b64 v[6:7], 3, v[6:7]
	v_mov_b32_e32 v11, s1
	v_add_co_u32_e32 v8, vcc, s8, v6
	v_mov_b32_e32 v6, s9
	v_addc_co_u32_e32 v9, vcc, v6, v7, vcc
	v_ashrrev_i32_e32 v6, 31, v5
	v_lshlrev_b64 v[6:7], 3, v[5:6]
	v_add_u32_e32 v5, s6, v5
	v_add_co_u32_e32 v10, vcc, s0, v6
	v_addc_co_u32_e32 v11, vcc, v11, v7, vcc
	global_load_dwordx2 v[10:11], v[10:11], off
	v_add_co_u32_e32 v6, vcc, s2, v6
	s_waitcnt vmcnt(0)
	v_mul_f32_e64 v12, v3, -v11
	v_mul_f32_e32 v13, v3, v10
	v_fmac_f32_e32 v12, v10, v2
	v_fmac_f32_e32 v13, v11, v2
	global_load_dwordx2 v[10:11], v[8:9], off
	s_waitcnt vmcnt(0)
	v_sub_f32_e32 v10, v10, v12
	v_mov_b32_e32 v12, s3
	v_addc_co_u32_e32 v7, vcc, v12, v7, vcc
	global_load_dwordx2 v[6:7], v[6:7], off
	v_sub_f32_e32 v11, v11, v13
	s_waitcnt vmcnt(0)
	v_mul_f32_e64 v12, v1, -v7
	v_mul_f32_e32 v13, v1, v6
	v_fmac_f32_e32 v12, v6, v0
	v_fmac_f32_e32 v13, v7, v0
	v_sub_f32_e32 v6, v10, v12
	v_sub_f32_e32 v7, v11, v13
	global_store_dwordx2 v[8:9], v[6:7], off
	v_add_u32_e32 v6, v5, v4
	v_ashrrev_i32_e32 v7, 31, v6
	v_lshlrev_b64 v[6:7], 3, v[6:7]
	v_mov_b32_e32 v11, s1
	v_add_co_u32_e32 v8, vcc, s8, v6
	v_mov_b32_e32 v6, s9
	v_addc_co_u32_e32 v9, vcc, v6, v7, vcc
	v_ashrrev_i32_e32 v6, 31, v5
	v_lshlrev_b64 v[6:7], 3, v[5:6]
	v_add_u32_e32 v5, s6, v5
	v_add_co_u32_e32 v10, vcc, s0, v6
	v_addc_co_u32_e32 v11, vcc, v11, v7, vcc
	global_load_dwordx2 v[10:11], v[10:11], off
	v_add_co_u32_e32 v6, vcc, s2, v6
	s_waitcnt vmcnt(0)
	v_mul_f32_e64 v12, v3, -v11
	v_mul_f32_e32 v13, v3, v10
	v_fmac_f32_e32 v12, v10, v2
	v_fmac_f32_e32 v13, v11, v2
	global_load_dwordx2 v[10:11], v[8:9], off
	s_waitcnt vmcnt(0)
	v_sub_f32_e32 v10, v10, v12
	v_mov_b32_e32 v12, s3
	v_addc_co_u32_e32 v7, vcc, v12, v7, vcc
	global_load_dwordx2 v[6:7], v[6:7], off
	v_sub_f32_e32 v11, v11, v13
	s_waitcnt vmcnt(0)
	v_mul_f32_e64 v12, v1, -v7
	v_mul_f32_e32 v13, v1, v6
	v_fmac_f32_e32 v12, v6, v0
	v_fmac_f32_e32 v13, v7, v0
	v_sub_f32_e32 v6, v10, v12
	v_sub_f32_e32 v7, v11, v13
	global_store_dwordx2 v[8:9], v[6:7], off
	v_add_u32_e32 v6, v5, v4
	v_ashrrev_i32_e32 v7, 31, v6
	v_lshlrev_b64 v[6:7], 3, v[6:7]
	v_mov_b32_e32 v11, s1
	v_add_co_u32_e32 v8, vcc, s8, v6
	v_mov_b32_e32 v6, s9
	v_addc_co_u32_e32 v9, vcc, v6, v7, vcc
	v_ashrrev_i32_e32 v6, 31, v5
	v_lshlrev_b64 v[6:7], 3, v[5:6]
	v_add_u32_e32 v5, s6, v5
	v_add_co_u32_e32 v10, vcc, s0, v6
	v_addc_co_u32_e32 v11, vcc, v11, v7, vcc
	global_load_dwordx2 v[10:11], v[10:11], off
	v_add_co_u32_e32 v6, vcc, s2, v6
	s_waitcnt vmcnt(0)
	v_mul_f32_e64 v12, v3, -v11
	v_mul_f32_e32 v13, v3, v10
	v_fmac_f32_e32 v12, v10, v2
	v_fmac_f32_e32 v13, v11, v2
	global_load_dwordx2 v[10:11], v[8:9], off
	s_waitcnt vmcnt(0)
	v_sub_f32_e32 v10, v10, v12
	v_mov_b32_e32 v12, s3
	v_addc_co_u32_e32 v7, vcc, v12, v7, vcc
	global_load_dwordx2 v[6:7], v[6:7], off
	v_sub_f32_e32 v11, v11, v13
	global_store_dwordx2 v[8:9], v[10:11], off
	s_waitcnt vmcnt(1)
	v_mul_f32_e64 v12, v1, -v7
	v_mul_f32_e32 v13, v1, v6
	v_fmac_f32_e32 v12, v6, v0
	v_fmac_f32_e32 v13, v7, v0
	v_sub_f32_e32 v6, v10, v12
	v_sub_f32_e32 v7, v11, v13
	global_store_dwordx2 v[8:9], v[6:7], off
	v_add_u32_e32 v6, v5, v4
	v_ashrrev_i32_e32 v7, 31, v6
	v_lshlrev_b64 v[6:7], 3, v[6:7]
	v_mov_b32_e32 v11, s1
	v_add_co_u32_e32 v8, vcc, s8, v6
	v_mov_b32_e32 v6, s9
	v_addc_co_u32_e32 v9, vcc, v6, v7, vcc
	v_ashrrev_i32_e32 v6, 31, v5
	v_lshlrev_b64 v[6:7], 3, v[5:6]
	v_add_u32_e32 v5, s6, v5
	v_add_co_u32_e32 v10, vcc, s0, v6
	v_addc_co_u32_e32 v11, vcc, v11, v7, vcc
	global_load_dwordx2 v[10:11], v[10:11], off
	v_add_co_u32_e32 v6, vcc, s2, v6
	s_waitcnt vmcnt(0)
	v_mul_f32_e64 v12, v3, -v11
	v_mul_f32_e32 v13, v3, v10
	v_fmac_f32_e32 v12, v10, v2
	v_fmac_f32_e32 v13, v11, v2
	global_load_dwordx2 v[10:11], v[8:9], off
	s_waitcnt vmcnt(0)
	v_sub_f32_e32 v10, v10, v12
	v_mov_b32_e32 v12, s3
	v_addc_co_u32_e32 v7, vcc, v12, v7, vcc
	global_load_dwordx2 v[6:7], v[6:7], off
	v_sub_f32_e32 v11, v11, v13
	global_store_dwordx2 v[8:9], v[10:11], off
	s_waitcnt vmcnt(1)
	v_mul_f32_e64 v12, v1, -v7
	v_mul_f32_e32 v13, v1, v6
	v_fmac_f32_e32 v12, v6, v0
	v_fmac_f32_e32 v13, v7, v0
	v_sub_f32_e32 v6, v10, v12
	v_sub_f32_e32 v7, v11, v13
	global_store_dwordx2 v[8:9], v[6:7], off
	v_add_u32_e32 v6, v5, v4
	v_ashrrev_i32_e32 v7, 31, v6
	v_lshlrev_b64 v[6:7], 3, v[6:7]
	v_mov_b32_e32 v4, s9
	v_add_co_u32_e32 v8, vcc, s8, v6
	v_ashrrev_i32_e32 v6, 31, v5
	v_addc_co_u32_e32 v9, vcc, v4, v7, vcc
	v_lshlrev_b64 v[4:5], 3, v[5:6]
	v_mov_b32_e32 v7, s1
	v_add_co_u32_e32 v6, vcc, s0, v4
	v_addc_co_u32_e32 v7, vcc, v7, v5, vcc
	global_load_dwordx2 v[6:7], v[6:7], off
	v_add_co_u32_e32 v4, vcc, s2, v4
	s_waitcnt vmcnt(0)
	v_mul_f32_e64 v10, v3, -v7
	v_fmac_f32_e32 v10, v6, v2
	v_mul_f32_e32 v6, v3, v6
	v_fmac_f32_e32 v6, v7, v2
	global_load_dwordx2 v[2:3], v[8:9], off
	s_waitcnt vmcnt(0)
	v_sub_f32_e32 v3, v3, v6
	v_mov_b32_e32 v6, s3
	v_addc_co_u32_e32 v5, vcc, v6, v5, vcc
	global_load_dwordx2 v[4:5], v[4:5], off
	v_sub_f32_e32 v2, v2, v10
	global_store_dwordx2 v[8:9], v[2:3], off
	s_waitcnt vmcnt(1)
	v_mul_f32_e64 v6, v1, -v5
	v_mul_f32_e32 v1, v1, v4
	v_fmac_f32_e32 v6, v4, v0
	v_fmac_f32_e32 v1, v5, v0
	v_sub_f32_e32 v0, v2, v6
	v_sub_f32_e32 v1, v3, v1
	global_store_dwordx2 v[8:9], v[0:1], off
.LBB215_6:
	s_endpgm
	.section	.rodata,"a",@progbits
	.p2align	6, 0x0
	.amdhsa_kernel _ZN9rocsparseL39gtsv_spike_backward_substitution_kernelILj256ELj8E21rocsparse_complex_numIfEEEviiiPT1_PKS3_S6_
		.amdhsa_group_segment_fixed_size 0
		.amdhsa_private_segment_fixed_size 0
		.amdhsa_kernarg_size 40
		.amdhsa_user_sgpr_count 6
		.amdhsa_user_sgpr_private_segment_buffer 1
		.amdhsa_user_sgpr_dispatch_ptr 0
		.amdhsa_user_sgpr_queue_ptr 0
		.amdhsa_user_sgpr_kernarg_segment_ptr 1
		.amdhsa_user_sgpr_dispatch_id 0
		.amdhsa_user_sgpr_flat_scratch_init 0
		.amdhsa_user_sgpr_private_segment_size 0
		.amdhsa_uses_dynamic_stack 0
		.amdhsa_system_sgpr_private_segment_wavefront_offset 0
		.amdhsa_system_sgpr_workgroup_id_x 1
		.amdhsa_system_sgpr_workgroup_id_y 1
		.amdhsa_system_sgpr_workgroup_id_z 0
		.amdhsa_system_sgpr_workgroup_info 0
		.amdhsa_system_vgpr_workitem_id 0
		.amdhsa_next_free_vgpr 14
		.amdhsa_next_free_sgpr 12
		.amdhsa_reserve_vcc 1
		.amdhsa_reserve_flat_scratch 0
		.amdhsa_float_round_mode_32 0
		.amdhsa_float_round_mode_16_64 0
		.amdhsa_float_denorm_mode_32 3
		.amdhsa_float_denorm_mode_16_64 3
		.amdhsa_dx10_clamp 1
		.amdhsa_ieee_mode 1
		.amdhsa_fp16_overflow 0
		.amdhsa_exception_fp_ieee_invalid_op 0
		.amdhsa_exception_fp_denorm_src 0
		.amdhsa_exception_fp_ieee_div_zero 0
		.amdhsa_exception_fp_ieee_overflow 0
		.amdhsa_exception_fp_ieee_underflow 0
		.amdhsa_exception_fp_ieee_inexact 0
		.amdhsa_exception_int_div_zero 0
	.end_amdhsa_kernel
	.section	.text._ZN9rocsparseL39gtsv_spike_backward_substitution_kernelILj256ELj8E21rocsparse_complex_numIfEEEviiiPT1_PKS3_S6_,"axG",@progbits,_ZN9rocsparseL39gtsv_spike_backward_substitution_kernelILj256ELj8E21rocsparse_complex_numIfEEEviiiPT1_PKS3_S6_,comdat
.Lfunc_end215:
	.size	_ZN9rocsparseL39gtsv_spike_backward_substitution_kernelILj256ELj8E21rocsparse_complex_numIfEEEviiiPT1_PKS3_S6_, .Lfunc_end215-_ZN9rocsparseL39gtsv_spike_backward_substitution_kernelILj256ELj8E21rocsparse_complex_numIfEEEviiiPT1_PKS3_S6_
                                        ; -- End function
	.set _ZN9rocsparseL39gtsv_spike_backward_substitution_kernelILj256ELj8E21rocsparse_complex_numIfEEEviiiPT1_PKS3_S6_.num_vgpr, 14
	.set _ZN9rocsparseL39gtsv_spike_backward_substitution_kernelILj256ELj8E21rocsparse_complex_numIfEEEviiiPT1_PKS3_S6_.num_agpr, 0
	.set _ZN9rocsparseL39gtsv_spike_backward_substitution_kernelILj256ELj8E21rocsparse_complex_numIfEEEviiiPT1_PKS3_S6_.numbered_sgpr, 12
	.set _ZN9rocsparseL39gtsv_spike_backward_substitution_kernelILj256ELj8E21rocsparse_complex_numIfEEEviiiPT1_PKS3_S6_.num_named_barrier, 0
	.set _ZN9rocsparseL39gtsv_spike_backward_substitution_kernelILj256ELj8E21rocsparse_complex_numIfEEEviiiPT1_PKS3_S6_.private_seg_size, 0
	.set _ZN9rocsparseL39gtsv_spike_backward_substitution_kernelILj256ELj8E21rocsparse_complex_numIfEEEviiiPT1_PKS3_S6_.uses_vcc, 1
	.set _ZN9rocsparseL39gtsv_spike_backward_substitution_kernelILj256ELj8E21rocsparse_complex_numIfEEEviiiPT1_PKS3_S6_.uses_flat_scratch, 0
	.set _ZN9rocsparseL39gtsv_spike_backward_substitution_kernelILj256ELj8E21rocsparse_complex_numIfEEEviiiPT1_PKS3_S6_.has_dyn_sized_stack, 0
	.set _ZN9rocsparseL39gtsv_spike_backward_substitution_kernelILj256ELj8E21rocsparse_complex_numIfEEEviiiPT1_PKS3_S6_.has_recursion, 0
	.set _ZN9rocsparseL39gtsv_spike_backward_substitution_kernelILj256ELj8E21rocsparse_complex_numIfEEEviiiPT1_PKS3_S6_.has_indirect_call, 0
	.section	.AMDGPU.csdata,"",@progbits
; Kernel info:
; codeLenInByte = 1296
; TotalNumSgprs: 16
; NumVgprs: 14
; ScratchSize: 0
; MemoryBound: 0
; FloatMode: 240
; IeeeMode: 1
; LDSByteSize: 0 bytes/workgroup (compile time only)
; SGPRBlocks: 1
; VGPRBlocks: 3
; NumSGPRsForWavesPerEU: 16
; NumVGPRsForWavesPerEU: 14
; Occupancy: 10
; WaveLimiterHint : 0
; COMPUTE_PGM_RSRC2:SCRATCH_EN: 0
; COMPUTE_PGM_RSRC2:USER_SGPR: 6
; COMPUTE_PGM_RSRC2:TRAP_HANDLER: 0
; COMPUTE_PGM_RSRC2:TGID_X_EN: 1
; COMPUTE_PGM_RSRC2:TGID_Y_EN: 1
; COMPUTE_PGM_RSRC2:TGID_Z_EN: 0
; COMPUTE_PGM_RSRC2:TIDIG_COMP_CNT: 0
	.section	.text._ZN9rocsparseL32gtsv_transpose_back_array_kernelILj256ELj8E21rocsparse_complex_numIfEEEviiiPKT1_PS3_,"axG",@progbits,_ZN9rocsparseL32gtsv_transpose_back_array_kernelILj256ELj8E21rocsparse_complex_numIfEEEviiiPKT1_PS3_,comdat
	.globl	_ZN9rocsparseL32gtsv_transpose_back_array_kernelILj256ELj8E21rocsparse_complex_numIfEEEviiiPKT1_PS3_ ; -- Begin function _ZN9rocsparseL32gtsv_transpose_back_array_kernelILj256ELj8E21rocsparse_complex_numIfEEEviiiPKT1_PS3_
	.p2align	8
	.type	_ZN9rocsparseL32gtsv_transpose_back_array_kernelILj256ELj8E21rocsparse_complex_numIfEEEviiiPKT1_PS3_,@function
_ZN9rocsparseL32gtsv_transpose_back_array_kernelILj256ELj8E21rocsparse_complex_numIfEEEviiiPKT1_PS3_: ; @_ZN9rocsparseL32gtsv_transpose_back_array_kernelILj256ELj8E21rocsparse_complex_numIfEEEviiiPKT1_PS3_
; %bb.0:
	s_load_dwordx4 s[0:3], s[4:5], 0x0
	s_waitcnt lgkmcnt(0)
	v_cvt_f32_u32_e32 v1, s1
	s_sub_i32 s3, 0, s1
	v_rcp_iflag_f32_e32 v1, v1
	v_mul_f32_e32 v1, 0x4f7ffffe, v1
	v_cvt_u32_f32_e32 v2, v1
	v_mul_lo_u32 v1, s3, v2
	v_mul_hi_u32 v3, v2, v1
	v_lshl_or_b32 v1, s6, 8, v0
	v_lshlrev_b32_e32 v0, 3, v1
	v_add_u32_e32 v2, v2, v3
	v_mul_hi_u32 v2, v0, v2
	v_mul_lo_u32 v3, v2, s1
	v_add_u32_e32 v4, 1, v2
	v_sub_u32_e32 v3, v0, v3
	v_cmp_le_u32_e32 vcc, s1, v3
	v_cndmask_b32_e32 v2, v2, v4, vcc
	v_subrev_u32_e32 v4, s1, v3
	v_cndmask_b32_e32 v3, v3, v4, vcc
	v_add_u32_e32 v4, 1, v2
	v_cmp_le_u32_e32 vcc, s1, v3
	v_cndmask_b32_e32 v2, v2, v4, vcc
	v_mul_lo_u32 v3, v2, s1
	v_sub_u32_e32 v0, v0, v3
	v_add_u32_e32 v0, v2, v0
	v_cmp_gt_i32_e32 vcc, s0, v0
	s_and_saveexec_b64 s[8:9], vcc
	s_cbranch_execz .LBB216_2
; %bb.1:
	s_load_dwordx4 s[8:11], s[4:5], 0x10
	s_mul_i32 s0, s1, s7
	v_add_u32_e32 v1, s0, v1
	v_ashrrev_i32_e32 v2, 31, v1
	v_lshlrev_b64 v[1:2], 3, v[1:2]
	s_waitcnt lgkmcnt(0)
	v_mov_b32_e32 v3, s9
	v_add_co_u32_e32 v1, vcc, s8, v1
	v_addc_co_u32_e32 v2, vcc, v3, v2, vcc
	global_load_dwordx2 v[1:2], v[1:2], off
	s_mul_i32 s0, s2, s7
	v_add_u32_e32 v3, s0, v0
	v_ashrrev_i32_e32 v4, 31, v3
	v_lshlrev_b64 v[3:4], 3, v[3:4]
	v_mov_b32_e32 v0, s11
	v_add_co_u32_e32 v3, vcc, s10, v3
	v_addc_co_u32_e32 v4, vcc, v0, v4, vcc
	s_waitcnt vmcnt(0)
	global_store_dwordx2 v[3:4], v[1:2], off
.LBB216_2:
	s_endpgm
	.section	.rodata,"a",@progbits
	.p2align	6, 0x0
	.amdhsa_kernel _ZN9rocsparseL32gtsv_transpose_back_array_kernelILj256ELj8E21rocsparse_complex_numIfEEEviiiPKT1_PS3_
		.amdhsa_group_segment_fixed_size 0
		.amdhsa_private_segment_fixed_size 0
		.amdhsa_kernarg_size 32
		.amdhsa_user_sgpr_count 6
		.amdhsa_user_sgpr_private_segment_buffer 1
		.amdhsa_user_sgpr_dispatch_ptr 0
		.amdhsa_user_sgpr_queue_ptr 0
		.amdhsa_user_sgpr_kernarg_segment_ptr 1
		.amdhsa_user_sgpr_dispatch_id 0
		.amdhsa_user_sgpr_flat_scratch_init 0
		.amdhsa_user_sgpr_private_segment_size 0
		.amdhsa_uses_dynamic_stack 0
		.amdhsa_system_sgpr_private_segment_wavefront_offset 0
		.amdhsa_system_sgpr_workgroup_id_x 1
		.amdhsa_system_sgpr_workgroup_id_y 1
		.amdhsa_system_sgpr_workgroup_id_z 0
		.amdhsa_system_sgpr_workgroup_info 0
		.amdhsa_system_vgpr_workitem_id 0
		.amdhsa_next_free_vgpr 5
		.amdhsa_next_free_sgpr 12
		.amdhsa_reserve_vcc 1
		.amdhsa_reserve_flat_scratch 0
		.amdhsa_float_round_mode_32 0
		.amdhsa_float_round_mode_16_64 0
		.amdhsa_float_denorm_mode_32 3
		.amdhsa_float_denorm_mode_16_64 3
		.amdhsa_dx10_clamp 1
		.amdhsa_ieee_mode 1
		.amdhsa_fp16_overflow 0
		.amdhsa_exception_fp_ieee_invalid_op 0
		.amdhsa_exception_fp_denorm_src 0
		.amdhsa_exception_fp_ieee_div_zero 0
		.amdhsa_exception_fp_ieee_overflow 0
		.amdhsa_exception_fp_ieee_underflow 0
		.amdhsa_exception_fp_ieee_inexact 0
		.amdhsa_exception_int_div_zero 0
	.end_amdhsa_kernel
	.section	.text._ZN9rocsparseL32gtsv_transpose_back_array_kernelILj256ELj8E21rocsparse_complex_numIfEEEviiiPKT1_PS3_,"axG",@progbits,_ZN9rocsparseL32gtsv_transpose_back_array_kernelILj256ELj8E21rocsparse_complex_numIfEEEviiiPKT1_PS3_,comdat
.Lfunc_end216:
	.size	_ZN9rocsparseL32gtsv_transpose_back_array_kernelILj256ELj8E21rocsparse_complex_numIfEEEviiiPKT1_PS3_, .Lfunc_end216-_ZN9rocsparseL32gtsv_transpose_back_array_kernelILj256ELj8E21rocsparse_complex_numIfEEEviiiPKT1_PS3_
                                        ; -- End function
	.set _ZN9rocsparseL32gtsv_transpose_back_array_kernelILj256ELj8E21rocsparse_complex_numIfEEEviiiPKT1_PS3_.num_vgpr, 5
	.set _ZN9rocsparseL32gtsv_transpose_back_array_kernelILj256ELj8E21rocsparse_complex_numIfEEEviiiPKT1_PS3_.num_agpr, 0
	.set _ZN9rocsparseL32gtsv_transpose_back_array_kernelILj256ELj8E21rocsparse_complex_numIfEEEviiiPKT1_PS3_.numbered_sgpr, 12
	.set _ZN9rocsparseL32gtsv_transpose_back_array_kernelILj256ELj8E21rocsparse_complex_numIfEEEviiiPKT1_PS3_.num_named_barrier, 0
	.set _ZN9rocsparseL32gtsv_transpose_back_array_kernelILj256ELj8E21rocsparse_complex_numIfEEEviiiPKT1_PS3_.private_seg_size, 0
	.set _ZN9rocsparseL32gtsv_transpose_back_array_kernelILj256ELj8E21rocsparse_complex_numIfEEEviiiPKT1_PS3_.uses_vcc, 1
	.set _ZN9rocsparseL32gtsv_transpose_back_array_kernelILj256ELj8E21rocsparse_complex_numIfEEEviiiPKT1_PS3_.uses_flat_scratch, 0
	.set _ZN9rocsparseL32gtsv_transpose_back_array_kernelILj256ELj8E21rocsparse_complex_numIfEEEviiiPKT1_PS3_.has_dyn_sized_stack, 0
	.set _ZN9rocsparseL32gtsv_transpose_back_array_kernelILj256ELj8E21rocsparse_complex_numIfEEEviiiPKT1_PS3_.has_recursion, 0
	.set _ZN9rocsparseL32gtsv_transpose_back_array_kernelILj256ELj8E21rocsparse_complex_numIfEEEviiiPKT1_PS3_.has_indirect_call, 0
	.section	.AMDGPU.csdata,"",@progbits
; Kernel info:
; codeLenInByte = 248
; TotalNumSgprs: 16
; NumVgprs: 5
; ScratchSize: 0
; MemoryBound: 0
; FloatMode: 240
; IeeeMode: 1
; LDSByteSize: 0 bytes/workgroup (compile time only)
; SGPRBlocks: 1
; VGPRBlocks: 1
; NumSGPRsForWavesPerEU: 16
; NumVGPRsForWavesPerEU: 5
; Occupancy: 10
; WaveLimiterHint : 0
; COMPUTE_PGM_RSRC2:SCRATCH_EN: 0
; COMPUTE_PGM_RSRC2:USER_SGPR: 6
; COMPUTE_PGM_RSRC2:TRAP_HANDLER: 0
; COMPUTE_PGM_RSRC2:TGID_X_EN: 1
; COMPUTE_PGM_RSRC2:TGID_Y_EN: 1
; COMPUTE_PGM_RSRC2:TGID_Z_EN: 0
; COMPUTE_PGM_RSRC2:TIDIG_COMP_CNT: 0
	.section	.text._ZN9rocsparseL42gtsv_transpose_and_pad_array_shared_kernelILj256ELj16E21rocsparse_complex_numIfEEEviiiPKT1_PS3_S3_,"axG",@progbits,_ZN9rocsparseL42gtsv_transpose_and_pad_array_shared_kernelILj256ELj16E21rocsparse_complex_numIfEEEviiiPKT1_PS3_S3_,comdat
	.globl	_ZN9rocsparseL42gtsv_transpose_and_pad_array_shared_kernelILj256ELj16E21rocsparse_complex_numIfEEEviiiPKT1_PS3_S3_ ; -- Begin function _ZN9rocsparseL42gtsv_transpose_and_pad_array_shared_kernelILj256ELj16E21rocsparse_complex_numIfEEEviiiPKT1_PS3_S3_
	.p2align	8
	.type	_ZN9rocsparseL42gtsv_transpose_and_pad_array_shared_kernelILj256ELj16E21rocsparse_complex_numIfEEEviiiPKT1_PS3_S3_,@function
_ZN9rocsparseL42gtsv_transpose_and_pad_array_shared_kernelILj256ELj16E21rocsparse_complex_numIfEEEviiiPKT1_PS3_S3_: ; @_ZN9rocsparseL42gtsv_transpose_and_pad_array_shared_kernelILj256ELj16E21rocsparse_complex_numIfEEEviiiPKT1_PS3_S3_
; %bb.0:
	s_load_dwordx4 s[0:3], s[4:5], 0x0
	v_lshl_or_b32 v3, s6, 8, v0
                                        ; implicit-def: $sgpr10_sgpr11
	s_waitcnt lgkmcnt(0)
	v_cmp_le_i32_e32 vcc, s0, v3
	s_and_saveexec_b64 s[8:9], vcc
	s_xor_b64 s[8:9], exec, s[8:9]
; %bb.1:
	s_load_dwordx2 s[10:11], s[4:5], 0x20
                                        ; implicit-def: $vgpr3
; %bb.2:
	s_or_saveexec_b64 s[8:9], s[8:9]
	s_waitcnt lgkmcnt(0)
	v_mov_b32_e32 v1, s10
	v_mov_b32_e32 v2, s11
	s_xor_b64 exec, exec, s[8:9]
	s_cbranch_execz .LBB217_4
; %bb.3:
	s_load_dwordx2 s[10:11], s[4:5], 0x10
	s_mul_i32 s0, s2, s7
	v_add_u32_e32 v1, s0, v3
	v_ashrrev_i32_e32 v2, 31, v1
	v_lshlrev_b64 v[1:2], 3, v[1:2]
	s_waitcnt lgkmcnt(0)
	v_mov_b32_e32 v3, s11
	v_add_co_u32_e32 v1, vcc, s10, v1
	v_addc_co_u32_e32 v2, vcc, v3, v2, vcc
	global_load_dwordx2 v[1:2], v[1:2], off
.LBB217_4:
	s_or_b64 exec, exec, s[8:9]
	v_lshrrev_b32_e32 v3, 4, v0
	v_and_b32_e32 v4, 15, v0
	v_lshlrev_b32_e32 v0, 3, v0
	s_waitcnt vmcnt(0)
	ds_write_b64 v0, v[1:2]
	s_lshr_b32 s0, s1, 4
	v_lshl_or_b32 v0, s6, 4, v4
	v_mad_u64_u32 v[0:1], s[2:3], s0, v3, v[0:1]
	s_waitcnt lgkmcnt(0)
	s_barrier
	v_cmp_gt_i32_e32 vcc, s1, v0
	s_and_saveexec_b64 s[2:3], vcc
	s_cbranch_execz .LBB217_6
; %bb.5:
	s_load_dwordx2 s[2:3], s[4:5], 0x18
	v_lshlrev_b32_e32 v1, 3, v3
	s_mul_i32 s0, s1, s7
	v_lshl_or_b32 v2, v4, 7, v1
	v_add_u32_e32 v0, s0, v0
	v_ashrrev_i32_e32 v1, 31, v0
	ds_read_b64 v[2:3], v2
	v_lshlrev_b64 v[0:1], 3, v[0:1]
	s_waitcnt lgkmcnt(0)
	v_mov_b32_e32 v4, s3
	v_add_co_u32_e32 v0, vcc, s2, v0
	v_addc_co_u32_e32 v1, vcc, v4, v1, vcc
	global_store_dwordx2 v[0:1], v[2:3], off
.LBB217_6:
	s_endpgm
	.section	.rodata,"a",@progbits
	.p2align	6, 0x0
	.amdhsa_kernel _ZN9rocsparseL42gtsv_transpose_and_pad_array_shared_kernelILj256ELj16E21rocsparse_complex_numIfEEEviiiPKT1_PS3_S3_
		.amdhsa_group_segment_fixed_size 2048
		.amdhsa_private_segment_fixed_size 0
		.amdhsa_kernarg_size 40
		.amdhsa_user_sgpr_count 6
		.amdhsa_user_sgpr_private_segment_buffer 1
		.amdhsa_user_sgpr_dispatch_ptr 0
		.amdhsa_user_sgpr_queue_ptr 0
		.amdhsa_user_sgpr_kernarg_segment_ptr 1
		.amdhsa_user_sgpr_dispatch_id 0
		.amdhsa_user_sgpr_flat_scratch_init 0
		.amdhsa_user_sgpr_private_segment_size 0
		.amdhsa_uses_dynamic_stack 0
		.amdhsa_system_sgpr_private_segment_wavefront_offset 0
		.amdhsa_system_sgpr_workgroup_id_x 1
		.amdhsa_system_sgpr_workgroup_id_y 1
		.amdhsa_system_sgpr_workgroup_id_z 0
		.amdhsa_system_sgpr_workgroup_info 0
		.amdhsa_system_vgpr_workitem_id 0
		.amdhsa_next_free_vgpr 5
		.amdhsa_next_free_sgpr 12
		.amdhsa_reserve_vcc 1
		.amdhsa_reserve_flat_scratch 0
		.amdhsa_float_round_mode_32 0
		.amdhsa_float_round_mode_16_64 0
		.amdhsa_float_denorm_mode_32 3
		.amdhsa_float_denorm_mode_16_64 3
		.amdhsa_dx10_clamp 1
		.amdhsa_ieee_mode 1
		.amdhsa_fp16_overflow 0
		.amdhsa_exception_fp_ieee_invalid_op 0
		.amdhsa_exception_fp_denorm_src 0
		.amdhsa_exception_fp_ieee_div_zero 0
		.amdhsa_exception_fp_ieee_overflow 0
		.amdhsa_exception_fp_ieee_underflow 0
		.amdhsa_exception_fp_ieee_inexact 0
		.amdhsa_exception_int_div_zero 0
	.end_amdhsa_kernel
	.section	.text._ZN9rocsparseL42gtsv_transpose_and_pad_array_shared_kernelILj256ELj16E21rocsparse_complex_numIfEEEviiiPKT1_PS3_S3_,"axG",@progbits,_ZN9rocsparseL42gtsv_transpose_and_pad_array_shared_kernelILj256ELj16E21rocsparse_complex_numIfEEEviiiPKT1_PS3_S3_,comdat
.Lfunc_end217:
	.size	_ZN9rocsparseL42gtsv_transpose_and_pad_array_shared_kernelILj256ELj16E21rocsparse_complex_numIfEEEviiiPKT1_PS3_S3_, .Lfunc_end217-_ZN9rocsparseL42gtsv_transpose_and_pad_array_shared_kernelILj256ELj16E21rocsparse_complex_numIfEEEviiiPKT1_PS3_S3_
                                        ; -- End function
	.set _ZN9rocsparseL42gtsv_transpose_and_pad_array_shared_kernelILj256ELj16E21rocsparse_complex_numIfEEEviiiPKT1_PS3_S3_.num_vgpr, 5
	.set _ZN9rocsparseL42gtsv_transpose_and_pad_array_shared_kernelILj256ELj16E21rocsparse_complex_numIfEEEviiiPKT1_PS3_S3_.num_agpr, 0
	.set _ZN9rocsparseL42gtsv_transpose_and_pad_array_shared_kernelILj256ELj16E21rocsparse_complex_numIfEEEviiiPKT1_PS3_S3_.numbered_sgpr, 12
	.set _ZN9rocsparseL42gtsv_transpose_and_pad_array_shared_kernelILj256ELj16E21rocsparse_complex_numIfEEEviiiPKT1_PS3_S3_.num_named_barrier, 0
	.set _ZN9rocsparseL42gtsv_transpose_and_pad_array_shared_kernelILj256ELj16E21rocsparse_complex_numIfEEEviiiPKT1_PS3_S3_.private_seg_size, 0
	.set _ZN9rocsparseL42gtsv_transpose_and_pad_array_shared_kernelILj256ELj16E21rocsparse_complex_numIfEEEviiiPKT1_PS3_S3_.uses_vcc, 1
	.set _ZN9rocsparseL42gtsv_transpose_and_pad_array_shared_kernelILj256ELj16E21rocsparse_complex_numIfEEEviiiPKT1_PS3_S3_.uses_flat_scratch, 0
	.set _ZN9rocsparseL42gtsv_transpose_and_pad_array_shared_kernelILj256ELj16E21rocsparse_complex_numIfEEEviiiPKT1_PS3_S3_.has_dyn_sized_stack, 0
	.set _ZN9rocsparseL42gtsv_transpose_and_pad_array_shared_kernelILj256ELj16E21rocsparse_complex_numIfEEEviiiPKT1_PS3_S3_.has_recursion, 0
	.set _ZN9rocsparseL42gtsv_transpose_and_pad_array_shared_kernelILj256ELj16E21rocsparse_complex_numIfEEEviiiPKT1_PS3_S3_.has_indirect_call, 0
	.section	.AMDGPU.csdata,"",@progbits
; Kernel info:
; codeLenInByte = 260
; TotalNumSgprs: 16
; NumVgprs: 5
; ScratchSize: 0
; MemoryBound: 0
; FloatMode: 240
; IeeeMode: 1
; LDSByteSize: 2048 bytes/workgroup (compile time only)
; SGPRBlocks: 1
; VGPRBlocks: 1
; NumSGPRsForWavesPerEU: 16
; NumVGPRsForWavesPerEU: 5
; Occupancy: 10
; WaveLimiterHint : 0
; COMPUTE_PGM_RSRC2:SCRATCH_EN: 0
; COMPUTE_PGM_RSRC2:USER_SGPR: 6
; COMPUTE_PGM_RSRC2:TRAP_HANDLER: 0
; COMPUTE_PGM_RSRC2:TGID_X_EN: 1
; COMPUTE_PGM_RSRC2:TGID_Y_EN: 1
; COMPUTE_PGM_RSRC2:TGID_Z_EN: 0
; COMPUTE_PGM_RSRC2:TIDIG_COMP_CNT: 0
	.section	.text._ZN9rocsparseL18gtsv_LBM_wv_kernelILj256ELj16E21rocsparse_complex_numIfEEEviiiPKT1_S5_S5_PS3_S6_S6_Pi,"axG",@progbits,_ZN9rocsparseL18gtsv_LBM_wv_kernelILj256ELj16E21rocsparse_complex_numIfEEEviiiPKT1_S5_S5_PS3_S6_S6_Pi,comdat
	.globl	_ZN9rocsparseL18gtsv_LBM_wv_kernelILj256ELj16E21rocsparse_complex_numIfEEEviiiPKT1_S5_S5_PS3_S6_S6_Pi ; -- Begin function _ZN9rocsparseL18gtsv_LBM_wv_kernelILj256ELj16E21rocsparse_complex_numIfEEEviiiPKT1_S5_S5_PS3_S6_S6_Pi
	.p2align	8
	.type	_ZN9rocsparseL18gtsv_LBM_wv_kernelILj256ELj16E21rocsparse_complex_numIfEEEviiiPKT1_S5_S5_PS3_S6_S6_Pi,@function
_ZN9rocsparseL18gtsv_LBM_wv_kernelILj256ELj16E21rocsparse_complex_numIfEEEviiiPKT1_S5_S5_PS3_S6_S6_Pi: ; @_ZN9rocsparseL18gtsv_LBM_wv_kernelILj256ELj16E21rocsparse_complex_numIfEEEviiiPKT1_S5_S5_PS3_S6_S6_Pi
; %bb.0:
	s_load_dword s29, s[4:5], 0x0
	v_lshl_or_b32 v0, s6, 8, v0
	s_waitcnt lgkmcnt(0)
	s_lshr_b32 s28, s29, 4
	v_cmp_gt_i32_e32 vcc, s28, v0
	s_and_saveexec_b64 s[0:1], vcc
	s_cbranch_execz .LBB218_72
; %bb.1:
	s_load_dwordx2 s[16:17], s[4:5], 0x10
	s_load_dwordx8 s[8:15], s[4:5], 0x20
	v_ashrrev_i32_e32 v1, 31, v0
	v_lshlrev_b64 v[4:5], 3, v[0:1]
	s_mul_i32 s30, s28, 15
	s_waitcnt lgkmcnt(0)
	v_mov_b32_e32 v2, s17
	v_add_co_u32_e32 v1, vcc, s16, v4
	v_addc_co_u32_e32 v2, vcc, v2, v5, vcc
	global_load_dwordx2 v[6:7], v[1:2], off
	v_add_u32_e32 v2, s30, v0
	v_mov_b32_e32 v3, 0
	v_lshlrev_b64 v[8:9], 3, v[2:3]
	v_mov_b32_e32 v2, s9
	v_add_co_u32_e32 v1, vcc, s8, v8
	v_addc_co_u32_e32 v2, vcc, v2, v9, vcc
	global_load_dwordx2 v[10:11], v[1:2], off
	s_load_dwordx2 s[6:7], s[4:5], 0x40
	v_mov_b32_e32 v2, s11
	v_add_co_u32_e32 v1, vcc, s10, v4
	v_addc_co_u32_e32 v2, vcc, v2, v5, vcc
	s_cmp_lt_i32 s29, 1
	v_add_u32_e32 v35, s28, v0
	v_mov_b32_e32 v12, s13
	v_add_co_u32_e32 v8, vcc, s12, v8
	v_addc_co_u32_e32 v9, vcc, v12, v9, vcc
	s_waitcnt vmcnt(1)
	global_store_dwordx2 v[1:2], v[6:7], off
	s_waitcnt vmcnt(1)
	global_store_dwordx2 v[8:9], v[10:11], off
	s_cbranch_scc1 .LBB218_65
; %bb.2:
	s_load_dwordx2 s[18:19], s[4:5], 0x18
	s_mov_b32 s22, 0x372fe950
	s_mul_i32 s31, s28, 14
	s_lshl_b32 s33, s28, 1
	v_add_u32_e32 v36, s28, v35
	s_waitcnt lgkmcnt(0)
	v_mov_b32_e32 v6, s19
	v_add_co_u32_e32 v3, vcc, s18, v4
	v_addc_co_u32_e32 v4, vcc, v6, v5, vcc
	global_load_dwordx2 v[7:8], v[3:4], off
	v_mov_b32_e32 v3, 0
	s_mov_b64 s[20:21], 0
	s_mov_b32 s34, 0xf800000
	v_mov_b32_e32 v37, 0x260
	s_mov_b32 s23, 0x3fe3c6ef
	v_mov_b32_e32 v38, 2
	v_mov_b32_e32 v39, 1
	s_branch .LBB218_5
.LBB218_3:                              ;   in Loop: Header=BB218_5 Depth=1
	s_or_b64 exec, exec, s[4:5]
	v_mul_f32_e64 v5, v7, -v25
	v_mul_f32_e32 v6, v7, v24
	v_fmac_f32_e32 v5, v24, v4
	v_fmac_f32_e32 v6, v25, v4
	v_sub_f32_e32 v7, v19, v5
	v_sub_f32_e32 v8, v20, v6
	v_mov_b32_e32 v4, s28
.LBB218_4:                              ;   in Loop: Header=BB218_5 Depth=1
	s_or_b64 exec, exec, s[2:3]
	v_add_u32_e32 v3, v4, v3
	v_cmp_le_i32_e32 vcc, s29, v3
	s_or_b64 s[20:21], vcc, s[20:21]
	s_andn2_b64 exec, exec, s[20:21]
	s_cbranch_execz .LBB218_64
.LBB218_5:                              ; =>This Inner Loop Header: Depth=1
	v_add_u32_e32 v11, v3, v0
	v_ashrrev_i32_e32 v12, 31, v11
	v_lshlrev_b64 v[15:16], 3, v[11:12]
	v_mov_b32_e32 v5, s9
	v_add_co_u32_e32 v4, vcc, s8, v15
	v_addc_co_u32_e32 v5, vcc, v5, v16, vcc
	global_load_dwordx2 v[13:14], v[4:5], off
	v_cmp_gt_u32_e64 s[0:1], s30, v3
	v_mov_b32_e32 v5, 0
	v_mov_b32_e32 v6, 0
	s_and_saveexec_b64 s[2:3], s[0:1]
	s_cbranch_execz .LBB218_7
; %bb.6:                                ;   in Loop: Header=BB218_5 Depth=1
	v_add_u32_e32 v4, v35, v3
	v_ashrrev_i32_e32 v5, 31, v4
	v_lshlrev_b64 v[4:5], 3, v[4:5]
	v_mov_b32_e32 v6, s17
	v_add_co_u32_e32 v4, vcc, s16, v4
	v_addc_co_u32_e32 v5, vcc, v6, v5, vcc
	global_load_dwordx2 v[5:6], v[4:5], off
.LBB218_7:                              ;   in Loop: Header=BB218_5 Depth=1
	s_or_b64 exec, exec, s[2:3]
	v_mov_b32_e32 v9, 0
	v_mov_b32_e32 v19, 0
	;; [unrolled: 1-line block ×3, first 2 shown]
	s_and_saveexec_b64 s[2:3], s[0:1]
	s_cbranch_execz .LBB218_9
; %bb.8:                                ;   in Loop: Header=BB218_5 Depth=1
	v_add_u32_e32 v17, v35, v3
	v_ashrrev_i32_e32 v18, 31, v17
	v_lshlrev_b64 v[17:18], 3, v[17:18]
	v_mov_b32_e32 v4, s19
	v_add_co_u32_e32 v17, vcc, s18, v17
	v_addc_co_u32_e32 v18, vcc, v4, v18, vcc
	global_load_dwordx2 v[19:20], v[17:18], off
.LBB218_9:                              ;   in Loop: Header=BB218_5 Depth=1
	s_or_b64 exec, exec, s[2:3]
	v_mov_b32_e32 v10, 0
	s_and_saveexec_b64 s[2:3], s[0:1]
	s_cbranch_execz .LBB218_11
; %bb.10:                               ;   in Loop: Header=BB218_5 Depth=1
	v_add_u32_e32 v9, v35, v3
	v_ashrrev_i32_e32 v10, 31, v9
	v_lshlrev_b64 v[9:10], 3, v[9:10]
	v_mov_b32_e32 v4, s9
	v_add_co_u32_e32 v9, vcc, s8, v9
	v_addc_co_u32_e32 v10, vcc, v4, v10, vcc
	global_load_dwordx2 v[9:10], v[9:10], off
.LBB218_11:                             ;   in Loop: Header=BB218_5 Depth=1
	s_or_b64 exec, exec, s[2:3]
	v_cmp_gt_u32_e64 s[2:3], s31, v3
	v_mov_b32_e32 v17, 0
	v_mov_b32_e32 v18, 0
	s_and_saveexec_b64 s[4:5], s[2:3]
	s_cbranch_execz .LBB218_13
; %bb.12:                               ;   in Loop: Header=BB218_5 Depth=1
	v_add_u32_e32 v17, v36, v3
	v_ashrrev_i32_e32 v18, 31, v17
	v_lshlrev_b64 v[17:18], 3, v[17:18]
	v_mov_b32_e32 v4, s17
	v_add_co_u32_e32 v17, vcc, s16, v17
	v_addc_co_u32_e32 v18, vcc, v4, v18, vcc
	global_load_dwordx2 v[17:18], v[17:18], off
.LBB218_13:                             ;   in Loop: Header=BB218_5 Depth=1
	s_or_b64 exec, exec, s[4:5]
	s_waitcnt vmcnt(0)
	v_cmp_gt_f32_e32 vcc, 0, v5
	v_cndmask_b32_e64 v21, v5, -v5, vcc
	v_cmp_gt_f32_e32 vcc, 0, v6
	v_cndmask_b32_e64 v22, v6, -v6, vcc
	v_cmp_ngt_f32_e32 vcc, v21, v22
                                        ; implicit-def: $vgpr4
	s_and_saveexec_b64 s[4:5], vcc
	s_xor_b64 s[24:25], exec, s[4:5]
	s_cbranch_execz .LBB218_17
; %bb.14:                               ;   in Loop: Header=BB218_5 Depth=1
	v_mov_b32_e32 v4, 0
	v_cmp_neq_f32_e32 vcc, 0, v6
	s_and_saveexec_b64 s[26:27], vcc
	s_cbranch_execz .LBB218_16
; %bb.15:                               ;   in Loop: Header=BB218_5 Depth=1
	v_div_scale_f32 v4, s[4:5], v22, v22, v21
	v_div_scale_f32 v23, vcc, v21, v22, v21
	v_rcp_f32_e32 v24, v4
	v_fma_f32 v25, -v4, v24, 1.0
	v_fmac_f32_e32 v24, v25, v24
	v_mul_f32_e32 v25, v23, v24
	v_fma_f32 v26, -v4, v25, v23
	v_fmac_f32_e32 v25, v26, v24
	v_fma_f32 v4, -v4, v25, v23
	v_div_fmas_f32 v4, v4, v24, v25
	v_div_fixup_f32 v4, v4, v22, v21
	v_fma_f32 v4, v4, v4, 1.0
	v_mul_f32_e32 v21, 0x4f800000, v4
	v_cmp_gt_f32_e32 vcc, s34, v4
	v_cndmask_b32_e32 v4, v4, v21, vcc
	v_sqrt_f32_e32 v21, v4
	v_add_u32_e32 v23, -1, v21
	v_add_u32_e32 v24, 1, v21
	v_fma_f32 v25, -v23, v21, v4
	v_fma_f32 v26, -v24, v21, v4
	v_cmp_ge_f32_e64 s[4:5], 0, v25
	v_cndmask_b32_e64 v21, v21, v23, s[4:5]
	v_cmp_lt_f32_e64 s[4:5], 0, v26
	v_cndmask_b32_e64 v21, v21, v24, s[4:5]
	v_mul_f32_e32 v23, 0x37800000, v21
	v_cndmask_b32_e32 v21, v21, v23, vcc
	v_cmp_class_f32_e32 vcc, v4, v37
	v_cndmask_b32_e32 v4, v21, v4, vcc
	v_mul_f32_e32 v4, v22, v4
.LBB218_16:                             ;   in Loop: Header=BB218_5 Depth=1
	s_or_b64 exec, exec, s[26:27]
                                        ; implicit-def: $vgpr21
                                        ; implicit-def: $vgpr22
.LBB218_17:                             ;   in Loop: Header=BB218_5 Depth=1
	s_andn2_saveexec_b64 s[24:25], s[24:25]
	s_cbranch_execz .LBB218_19
; %bb.18:                               ;   in Loop: Header=BB218_5 Depth=1
	v_div_scale_f32 v4, s[4:5], v21, v21, v22
	v_div_scale_f32 v23, vcc, v22, v21, v22
	v_rcp_f32_e32 v24, v4
	v_fma_f32 v25, -v4, v24, 1.0
	v_fmac_f32_e32 v24, v25, v24
	v_mul_f32_e32 v25, v23, v24
	v_fma_f32 v26, -v4, v25, v23
	v_fmac_f32_e32 v25, v26, v24
	v_fma_f32 v4, -v4, v25, v23
	v_div_fmas_f32 v4, v4, v24, v25
	v_div_fixup_f32 v4, v4, v21, v22
	v_fma_f32 v4, v4, v4, 1.0
	v_mul_f32_e32 v22, 0x4f800000, v4
	v_cmp_gt_f32_e32 vcc, s34, v4
	v_cndmask_b32_e32 v4, v4, v22, vcc
	v_sqrt_f32_e32 v22, v4
	v_add_u32_e32 v23, -1, v22
	v_add_u32_e32 v24, 1, v22
	v_fma_f32 v25, -v23, v22, v4
	v_fma_f32 v26, -v24, v22, v4
	v_cmp_ge_f32_e64 s[4:5], 0, v25
	v_cndmask_b32_e64 v22, v22, v23, s[4:5]
	v_cmp_lt_f32_e64 s[4:5], 0, v26
	v_cndmask_b32_e64 v22, v22, v24, s[4:5]
	v_mul_f32_e32 v23, 0x37800000, v22
	v_cndmask_b32_e32 v22, v22, v23, vcc
	v_cmp_class_f32_e32 vcc, v4, v37
	v_cndmask_b32_e32 v4, v22, v4, vcc
	v_mul_f32_e32 v4, v21, v4
.LBB218_19:                             ;   in Loop: Header=BB218_5 Depth=1
	s_or_b64 exec, exec, s[24:25]
	v_cmp_gt_f32_e32 vcc, 0, v17
	v_cndmask_b32_e64 v22, v17, -v17, vcc
	v_cmp_gt_f32_e32 vcc, 0, v18
	v_cndmask_b32_e64 v23, v18, -v18, vcc
	v_cmp_ngt_f32_e32 vcc, v22, v23
                                        ; implicit-def: $vgpr21
	s_and_saveexec_b64 s[4:5], vcc
	s_xor_b64 s[24:25], exec, s[4:5]
	s_cbranch_execz .LBB218_23
; %bb.20:                               ;   in Loop: Header=BB218_5 Depth=1
	v_mov_b32_e32 v21, 0
	v_cmp_neq_f32_e32 vcc, 0, v18
	s_and_saveexec_b64 s[26:27], vcc
	s_cbranch_execz .LBB218_22
; %bb.21:                               ;   in Loop: Header=BB218_5 Depth=1
	v_div_scale_f32 v21, s[4:5], v23, v23, v22
	v_div_scale_f32 v24, vcc, v22, v23, v22
	v_rcp_f32_e32 v25, v21
	v_fma_f32 v26, -v21, v25, 1.0
	v_fmac_f32_e32 v25, v26, v25
	v_mul_f32_e32 v26, v24, v25
	v_fma_f32 v27, -v21, v26, v24
	v_fmac_f32_e32 v26, v27, v25
	v_fma_f32 v21, -v21, v26, v24
	v_div_fmas_f32 v21, v21, v25, v26
	v_div_fixup_f32 v21, v21, v23, v22
	v_fma_f32 v21, v21, v21, 1.0
	v_mul_f32_e32 v22, 0x4f800000, v21
	v_cmp_gt_f32_e32 vcc, s34, v21
	v_cndmask_b32_e32 v21, v21, v22, vcc
	v_sqrt_f32_e32 v22, v21
	v_add_u32_e32 v24, -1, v22
	v_add_u32_e32 v25, 1, v22
	v_fma_f32 v26, -v24, v22, v21
	v_fma_f32 v27, -v25, v22, v21
	v_cmp_ge_f32_e64 s[4:5], 0, v26
	v_cndmask_b32_e64 v22, v22, v24, s[4:5]
	v_cmp_lt_f32_e64 s[4:5], 0, v27
	v_cndmask_b32_e64 v22, v22, v25, s[4:5]
	v_mul_f32_e32 v24, 0x37800000, v22
	v_cndmask_b32_e32 v22, v22, v24, vcc
	v_cmp_class_f32_e32 vcc, v21, v37
	v_cndmask_b32_e32 v21, v22, v21, vcc
	v_mul_f32_e32 v21, v23, v21
.LBB218_22:                             ;   in Loop: Header=BB218_5 Depth=1
	s_or_b64 exec, exec, s[26:27]
                                        ; implicit-def: $vgpr22
                                        ; implicit-def: $vgpr23
.LBB218_23:                             ;   in Loop: Header=BB218_5 Depth=1
	s_andn2_saveexec_b64 s[24:25], s[24:25]
	s_cbranch_execz .LBB218_25
; %bb.24:                               ;   in Loop: Header=BB218_5 Depth=1
	v_div_scale_f32 v21, s[4:5], v22, v22, v23
	v_div_scale_f32 v24, vcc, v23, v22, v23
	v_rcp_f32_e32 v25, v21
	v_fma_f32 v26, -v21, v25, 1.0
	v_fmac_f32_e32 v25, v26, v25
	v_mul_f32_e32 v26, v24, v25
	v_fma_f32 v27, -v21, v26, v24
	v_fmac_f32_e32 v26, v27, v25
	v_fma_f32 v21, -v21, v26, v24
	v_div_fmas_f32 v21, v21, v25, v26
	v_div_fixup_f32 v21, v21, v22, v23
	v_fma_f32 v21, v21, v21, 1.0
	v_mul_f32_e32 v23, 0x4f800000, v21
	v_cmp_gt_f32_e32 vcc, s34, v21
	v_cndmask_b32_e32 v21, v21, v23, vcc
	v_sqrt_f32_e32 v23, v21
	v_add_u32_e32 v24, -1, v23
	v_add_u32_e32 v25, 1, v23
	v_fma_f32 v26, -v24, v23, v21
	v_fma_f32 v27, -v25, v23, v21
	v_cmp_ge_f32_e64 s[4:5], 0, v26
	v_cndmask_b32_e64 v23, v23, v24, s[4:5]
	v_cmp_lt_f32_e64 s[4:5], 0, v27
	v_cndmask_b32_e64 v23, v23, v25, s[4:5]
	v_mul_f32_e32 v24, 0x37800000, v23
	v_cndmask_b32_e32 v23, v23, v24, vcc
	v_cmp_class_f32_e32 vcc, v21, v37
	v_cndmask_b32_e32 v21, v23, v21, vcc
	v_mul_f32_e32 v21, v22, v21
.LBB218_25:                             ;   in Loop: Header=BB218_5 Depth=1
	s_or_b64 exec, exec, s[24:25]
	v_cmp_gt_f32_e32 vcc, 0, v19
	v_cndmask_b32_e64 v23, v19, -v19, vcc
	v_cmp_gt_f32_e32 vcc, 0, v20
	v_cndmask_b32_e64 v24, v20, -v20, vcc
	v_cmp_ngt_f32_e32 vcc, v23, v24
                                        ; implicit-def: $vgpr22
	s_and_saveexec_b64 s[4:5], vcc
	s_xor_b64 s[24:25], exec, s[4:5]
	s_cbranch_execz .LBB218_29
; %bb.26:                               ;   in Loop: Header=BB218_5 Depth=1
	v_mov_b32_e32 v22, 0
	v_cmp_neq_f32_e32 vcc, 0, v20
	s_and_saveexec_b64 s[26:27], vcc
	s_cbranch_execz .LBB218_28
; %bb.27:                               ;   in Loop: Header=BB218_5 Depth=1
	v_div_scale_f32 v22, s[4:5], v24, v24, v23
	v_div_scale_f32 v25, vcc, v23, v24, v23
	v_rcp_f32_e32 v26, v22
	v_fma_f32 v27, -v22, v26, 1.0
	v_fmac_f32_e32 v26, v27, v26
	v_mul_f32_e32 v27, v25, v26
	v_fma_f32 v28, -v22, v27, v25
	v_fmac_f32_e32 v27, v28, v26
	v_fma_f32 v22, -v22, v27, v25
	v_div_fmas_f32 v22, v22, v26, v27
	v_div_fixup_f32 v22, v22, v24, v23
	v_fma_f32 v22, v22, v22, 1.0
	v_mul_f32_e32 v23, 0x4f800000, v22
	v_cmp_gt_f32_e32 vcc, s34, v22
	v_cndmask_b32_e32 v22, v22, v23, vcc
	v_sqrt_f32_e32 v23, v22
	v_add_u32_e32 v25, -1, v23
	v_add_u32_e32 v26, 1, v23
	v_fma_f32 v27, -v25, v23, v22
	v_fma_f32 v28, -v26, v23, v22
	v_cmp_ge_f32_e64 s[4:5], 0, v27
	v_cndmask_b32_e64 v23, v23, v25, s[4:5]
	v_cmp_lt_f32_e64 s[4:5], 0, v28
	v_cndmask_b32_e64 v23, v23, v26, s[4:5]
	v_mul_f32_e32 v25, 0x37800000, v23
	v_cndmask_b32_e32 v23, v23, v25, vcc
	v_cmp_class_f32_e32 vcc, v22, v37
	v_cndmask_b32_e32 v22, v23, v22, vcc
	v_mul_f32_e32 v22, v24, v22
.LBB218_28:                             ;   in Loop: Header=BB218_5 Depth=1
	s_or_b64 exec, exec, s[26:27]
                                        ; implicit-def: $vgpr23
                                        ; implicit-def: $vgpr24
.LBB218_29:                             ;   in Loop: Header=BB218_5 Depth=1
	s_andn2_saveexec_b64 s[24:25], s[24:25]
	s_cbranch_execz .LBB218_31
; %bb.30:                               ;   in Loop: Header=BB218_5 Depth=1
	v_div_scale_f32 v22, s[4:5], v23, v23, v24
	v_div_scale_f32 v25, vcc, v24, v23, v24
	v_rcp_f32_e32 v26, v22
	v_fma_f32 v27, -v22, v26, 1.0
	v_fmac_f32_e32 v26, v27, v26
	v_mul_f32_e32 v27, v25, v26
	v_fma_f32 v28, -v22, v27, v25
	v_fmac_f32_e32 v27, v28, v26
	v_fma_f32 v22, -v22, v27, v25
	v_div_fmas_f32 v22, v22, v26, v27
	v_div_fixup_f32 v22, v22, v23, v24
	v_fma_f32 v22, v22, v22, 1.0
	v_mul_f32_e32 v24, 0x4f800000, v22
	v_cmp_gt_f32_e32 vcc, s34, v22
	v_cndmask_b32_e32 v22, v22, v24, vcc
	v_sqrt_f32_e32 v24, v22
	v_add_u32_e32 v25, -1, v24
	v_add_u32_e32 v26, 1, v24
	v_fma_f32 v27, -v25, v24, v22
	v_fma_f32 v28, -v26, v24, v22
	v_cmp_ge_f32_e64 s[4:5], 0, v27
	v_cndmask_b32_e64 v24, v24, v25, s[4:5]
	v_cmp_lt_f32_e64 s[4:5], 0, v28
	v_cndmask_b32_e64 v24, v24, v26, s[4:5]
	v_mul_f32_e32 v25, 0x37800000, v24
	v_cndmask_b32_e32 v24, v24, v25, vcc
	v_cmp_class_f32_e32 vcc, v22, v37
	v_cndmask_b32_e32 v22, v24, v22, vcc
	v_mul_f32_e32 v22, v23, v22
.LBB218_31:                             ;   in Loop: Header=BB218_5 Depth=1
	s_or_b64 exec, exec, s[24:25]
	v_cmp_gt_f32_e32 vcc, 0, v13
	v_cndmask_b32_e64 v24, v13, -v13, vcc
	v_cmp_gt_f32_e32 vcc, 0, v14
	v_cndmask_b32_e64 v25, v14, -v14, vcc
	v_cmp_ngt_f32_e32 vcc, v24, v25
                                        ; implicit-def: $vgpr23
	s_and_saveexec_b64 s[4:5], vcc
	s_xor_b64 s[24:25], exec, s[4:5]
	s_cbranch_execz .LBB218_35
; %bb.32:                               ;   in Loop: Header=BB218_5 Depth=1
	v_mov_b32_e32 v23, 0
	v_cmp_neq_f32_e32 vcc, 0, v14
	s_and_saveexec_b64 s[26:27], vcc
	s_cbranch_execz .LBB218_34
; %bb.33:                               ;   in Loop: Header=BB218_5 Depth=1
	v_div_scale_f32 v23, s[4:5], v25, v25, v24
	v_div_scale_f32 v26, vcc, v24, v25, v24
	v_rcp_f32_e32 v27, v23
	v_fma_f32 v28, -v23, v27, 1.0
	v_fmac_f32_e32 v27, v28, v27
	v_mul_f32_e32 v28, v26, v27
	v_fma_f32 v29, -v23, v28, v26
	v_fmac_f32_e32 v28, v29, v27
	v_fma_f32 v23, -v23, v28, v26
	v_div_fmas_f32 v23, v23, v27, v28
	v_div_fixup_f32 v23, v23, v25, v24
	v_fma_f32 v23, v23, v23, 1.0
	v_mul_f32_e32 v24, 0x4f800000, v23
	v_cmp_gt_f32_e32 vcc, s34, v23
	v_cndmask_b32_e32 v23, v23, v24, vcc
	v_sqrt_f32_e32 v24, v23
	v_add_u32_e32 v26, -1, v24
	v_add_u32_e32 v27, 1, v24
	v_fma_f32 v28, -v26, v24, v23
	v_fma_f32 v29, -v27, v24, v23
	v_cmp_ge_f32_e64 s[4:5], 0, v28
	v_cndmask_b32_e64 v24, v24, v26, s[4:5]
	v_cmp_lt_f32_e64 s[4:5], 0, v29
	v_cndmask_b32_e64 v24, v24, v27, s[4:5]
	v_mul_f32_e32 v26, 0x37800000, v24
	v_cndmask_b32_e32 v24, v24, v26, vcc
	v_cmp_class_f32_e32 vcc, v23, v37
	v_cndmask_b32_e32 v23, v24, v23, vcc
	v_mul_f32_e32 v23, v25, v23
.LBB218_34:                             ;   in Loop: Header=BB218_5 Depth=1
	s_or_b64 exec, exec, s[26:27]
                                        ; implicit-def: $vgpr24
                                        ; implicit-def: $vgpr25
.LBB218_35:                             ;   in Loop: Header=BB218_5 Depth=1
	s_andn2_saveexec_b64 s[24:25], s[24:25]
	s_cbranch_execz .LBB218_37
; %bb.36:                               ;   in Loop: Header=BB218_5 Depth=1
	v_div_scale_f32 v23, s[4:5], v24, v24, v25
	v_div_scale_f32 v26, vcc, v25, v24, v25
	v_rcp_f32_e32 v27, v23
	v_fma_f32 v28, -v23, v27, 1.0
	v_fmac_f32_e32 v27, v28, v27
	v_mul_f32_e32 v28, v26, v27
	v_fma_f32 v29, -v23, v28, v26
	v_fmac_f32_e32 v28, v29, v27
	v_fma_f32 v23, -v23, v28, v26
	v_div_fmas_f32 v23, v23, v27, v28
	v_div_fixup_f32 v23, v23, v24, v25
	v_fma_f32 v23, v23, v23, 1.0
	v_mul_f32_e32 v25, 0x4f800000, v23
	v_cmp_gt_f32_e32 vcc, s34, v23
	v_cndmask_b32_e32 v23, v23, v25, vcc
	v_sqrt_f32_e32 v25, v23
	v_add_u32_e32 v26, -1, v25
	v_add_u32_e32 v27, 1, v25
	v_fma_f32 v28, -v26, v25, v23
	v_fma_f32 v29, -v27, v25, v23
	v_cmp_ge_f32_e64 s[4:5], 0, v28
	v_cndmask_b32_e64 v25, v25, v26, s[4:5]
	v_cmp_lt_f32_e64 s[4:5], 0, v29
	v_cndmask_b32_e64 v25, v25, v27, s[4:5]
	v_mul_f32_e32 v26, 0x37800000, v25
	v_cndmask_b32_e32 v25, v25, v26, vcc
	v_cmp_class_f32_e32 vcc, v23, v37
	v_cndmask_b32_e32 v23, v25, v23, vcc
	v_mul_f32_e32 v23, v24, v23
.LBB218_37:                             ;   in Loop: Header=BB218_5 Depth=1
	s_or_b64 exec, exec, s[24:25]
	v_cmp_gt_f32_e32 vcc, 0, v9
	v_cndmask_b32_e64 v24, v9, -v9, vcc
	v_cmp_gt_f32_e32 vcc, 0, v10
	v_cndmask_b32_e64 v25, v10, -v10, vcc
	v_cmp_ngt_f32_e32 vcc, v24, v25
                                        ; implicit-def: $vgpr26
	s_and_saveexec_b64 s[4:5], vcc
	s_xor_b64 s[24:25], exec, s[4:5]
	s_cbranch_execz .LBB218_41
; %bb.38:                               ;   in Loop: Header=BB218_5 Depth=1
	v_mov_b32_e32 v26, 0
	v_cmp_neq_f32_e32 vcc, 0, v10
	s_and_saveexec_b64 s[26:27], vcc
	s_cbranch_execz .LBB218_40
; %bb.39:                               ;   in Loop: Header=BB218_5 Depth=1
	v_div_scale_f32 v26, s[4:5], v25, v25, v24
	v_div_scale_f32 v27, vcc, v24, v25, v24
	v_rcp_f32_e32 v28, v26
	v_fma_f32 v29, -v26, v28, 1.0
	v_fmac_f32_e32 v28, v29, v28
	v_mul_f32_e32 v29, v27, v28
	v_fma_f32 v30, -v26, v29, v27
	v_fmac_f32_e32 v29, v30, v28
	v_fma_f32 v26, -v26, v29, v27
	v_div_fmas_f32 v26, v26, v28, v29
	v_div_fixup_f32 v24, v26, v25, v24
	v_fma_f32 v24, v24, v24, 1.0
	v_mul_f32_e32 v26, 0x4f800000, v24
	v_cmp_gt_f32_e32 vcc, s34, v24
	v_cndmask_b32_e32 v24, v24, v26, vcc
	v_sqrt_f32_e32 v26, v24
	v_add_u32_e32 v27, -1, v26
	v_add_u32_e32 v28, 1, v26
	v_fma_f32 v29, -v27, v26, v24
	v_fma_f32 v30, -v28, v26, v24
	v_cmp_ge_f32_e64 s[4:5], 0, v29
	v_cndmask_b32_e64 v26, v26, v27, s[4:5]
	v_cmp_lt_f32_e64 s[4:5], 0, v30
	v_cndmask_b32_e64 v26, v26, v28, s[4:5]
	v_mul_f32_e32 v27, 0x37800000, v26
	v_cndmask_b32_e32 v26, v26, v27, vcc
	v_cmp_class_f32_e32 vcc, v24, v37
	v_cndmask_b32_e32 v24, v26, v24, vcc
	v_mul_f32_e32 v26, v25, v24
.LBB218_40:                             ;   in Loop: Header=BB218_5 Depth=1
	s_or_b64 exec, exec, s[26:27]
                                        ; implicit-def: $vgpr24
                                        ; implicit-def: $vgpr25
.LBB218_41:                             ;   in Loop: Header=BB218_5 Depth=1
	s_andn2_saveexec_b64 s[24:25], s[24:25]
	s_cbranch_execz .LBB218_43
; %bb.42:                               ;   in Loop: Header=BB218_5 Depth=1
	v_div_scale_f32 v26, s[4:5], v24, v24, v25
	v_div_scale_f32 v27, vcc, v25, v24, v25
	v_rcp_f32_e32 v28, v26
	v_fma_f32 v29, -v26, v28, 1.0
	v_fmac_f32_e32 v28, v29, v28
	v_mul_f32_e32 v29, v27, v28
	v_fma_f32 v30, -v26, v29, v27
	v_fmac_f32_e32 v29, v30, v28
	v_fma_f32 v26, -v26, v29, v27
	v_div_fmas_f32 v26, v26, v28, v29
	v_div_fixup_f32 v25, v26, v24, v25
	v_fma_f32 v25, v25, v25, 1.0
	v_mul_f32_e32 v26, 0x4f800000, v25
	v_cmp_gt_f32_e32 vcc, s34, v25
	v_cndmask_b32_e32 v25, v25, v26, vcc
	v_sqrt_f32_e32 v26, v25
	v_add_u32_e32 v27, -1, v26
	v_add_u32_e32 v28, 1, v26
	v_fma_f32 v29, -v27, v26, v25
	v_fma_f32 v30, -v28, v26, v25
	v_cmp_ge_f32_e64 s[4:5], 0, v29
	v_cndmask_b32_e64 v26, v26, v27, s[4:5]
	v_cmp_lt_f32_e64 s[4:5], 0, v30
	v_cndmask_b32_e64 v26, v26, v28, s[4:5]
	v_mul_f32_e32 v27, 0x37800000, v26
	v_cndmask_b32_e32 v26, v26, v27, vcc
	v_cmp_class_f32_e32 vcc, v25, v37
	v_cndmask_b32_e32 v25, v26, v25, vcc
	v_mul_f32_e32 v26, v24, v25
.LBB218_43:                             ;   in Loop: Header=BB218_5 Depth=1
	s_or_b64 exec, exec, s[24:25]
	v_cmp_gt_f32_e32 vcc, 0, v7
	v_cndmask_b32_e64 v24, v7, -v7, vcc
	v_cmp_gt_f32_e32 vcc, 0, v8
	v_cndmask_b32_e64 v25, v8, -v8, vcc
	v_cmp_ngt_f32_e32 vcc, v24, v25
                                        ; implicit-def: $vgpr27
	s_and_saveexec_b64 s[4:5], vcc
	s_xor_b64 s[24:25], exec, s[4:5]
	s_cbranch_execz .LBB218_47
; %bb.44:                               ;   in Loop: Header=BB218_5 Depth=1
	v_mov_b32_e32 v27, 0
	v_cmp_neq_f32_e32 vcc, 0, v8
	s_and_saveexec_b64 s[26:27], vcc
	s_cbranch_execz .LBB218_46
; %bb.45:                               ;   in Loop: Header=BB218_5 Depth=1
	v_div_scale_f32 v27, s[4:5], v25, v25, v24
	v_div_scale_f32 v28, vcc, v24, v25, v24
	v_rcp_f32_e32 v29, v27
	v_fma_f32 v30, -v27, v29, 1.0
	v_fmac_f32_e32 v29, v30, v29
	v_mul_f32_e32 v30, v28, v29
	v_fma_f32 v31, -v27, v30, v28
	v_fmac_f32_e32 v30, v31, v29
	v_fma_f32 v27, -v27, v30, v28
	v_div_fmas_f32 v27, v27, v29, v30
	v_div_fixup_f32 v24, v27, v25, v24
	v_fma_f32 v24, v24, v24, 1.0
	v_mul_f32_e32 v27, 0x4f800000, v24
	v_cmp_gt_f32_e32 vcc, s34, v24
	v_cndmask_b32_e32 v24, v24, v27, vcc
	v_sqrt_f32_e32 v27, v24
	v_add_u32_e32 v28, -1, v27
	v_add_u32_e32 v29, 1, v27
	v_fma_f32 v30, -v28, v27, v24
	v_fma_f32 v31, -v29, v27, v24
	v_cmp_ge_f32_e64 s[4:5], 0, v30
	v_cndmask_b32_e64 v27, v27, v28, s[4:5]
	v_cmp_lt_f32_e64 s[4:5], 0, v31
	v_cndmask_b32_e64 v27, v27, v29, s[4:5]
	v_mul_f32_e32 v28, 0x37800000, v27
	v_cndmask_b32_e32 v27, v27, v28, vcc
	v_cmp_class_f32_e32 vcc, v24, v37
	v_cndmask_b32_e32 v24, v27, v24, vcc
	v_mul_f32_e32 v27, v25, v24
.LBB218_46:                             ;   in Loop: Header=BB218_5 Depth=1
	s_or_b64 exec, exec, s[26:27]
                                        ; implicit-def: $vgpr24
                                        ; implicit-def: $vgpr25
.LBB218_47:                             ;   in Loop: Header=BB218_5 Depth=1
	s_andn2_saveexec_b64 s[24:25], s[24:25]
	s_cbranch_execz .LBB218_49
; %bb.48:                               ;   in Loop: Header=BB218_5 Depth=1
	v_div_scale_f32 v27, s[4:5], v24, v24, v25
	v_div_scale_f32 v28, vcc, v25, v24, v25
	v_rcp_f32_e32 v29, v27
	v_fma_f32 v30, -v27, v29, 1.0
	v_fmac_f32_e32 v29, v30, v29
	v_mul_f32_e32 v30, v28, v29
	v_fma_f32 v31, -v27, v30, v28
	v_fmac_f32_e32 v30, v31, v29
	v_fma_f32 v27, -v27, v30, v28
	v_div_fmas_f32 v27, v27, v29, v30
	v_div_fixup_f32 v25, v27, v24, v25
	v_fma_f32 v25, v25, v25, 1.0
	v_mul_f32_e32 v27, 0x4f800000, v25
	v_cmp_gt_f32_e32 vcc, s34, v25
	v_cndmask_b32_e32 v25, v25, v27, vcc
	v_sqrt_f32_e32 v27, v25
	v_add_u32_e32 v28, -1, v27
	v_add_u32_e32 v29, 1, v27
	v_fma_f32 v30, -v28, v27, v25
	v_fma_f32 v31, -v29, v27, v25
	v_cmp_ge_f32_e64 s[4:5], 0, v30
	v_cndmask_b32_e64 v27, v27, v28, s[4:5]
	v_cmp_lt_f32_e64 s[4:5], 0, v31
	v_cndmask_b32_e64 v27, v27, v29, s[4:5]
	v_mul_f32_e32 v28, 0x37800000, v27
	v_cndmask_b32_e32 v27, v27, v28, vcc
	v_cmp_class_f32_e32 vcc, v25, v37
	v_cndmask_b32_e32 v25, v27, v25, vcc
	v_mul_f32_e32 v27, v24, v25
.LBB218_49:                             ;   in Loop: Header=BB218_5 Depth=1
	s_or_b64 exec, exec, s[24:25]
	v_mul_f32_e64 v24, v14, -v6
	v_fmac_f32_e32 v24, v5, v13
	v_mul_f32_e32 v25, v5, v14
	v_fmac_f32_e32 v25, v6, v13
	v_cmp_gt_f32_e32 vcc, 0, v24
	v_cndmask_b32_e64 v28, v24, -v24, vcc
	v_cmp_gt_f32_e32 vcc, 0, v25
	v_cndmask_b32_e64 v29, v25, -v25, vcc
	v_cmp_ngt_f32_e32 vcc, v28, v29
                                        ; implicit-def: $vgpr30
	s_and_saveexec_b64 s[4:5], vcc
	s_xor_b64 s[24:25], exec, s[4:5]
	s_cbranch_execz .LBB218_53
; %bb.50:                               ;   in Loop: Header=BB218_5 Depth=1
	v_mov_b32_e32 v30, 0
	v_cmp_neq_f32_e32 vcc, 0, v25
	s_and_saveexec_b64 s[26:27], vcc
	s_cbranch_execz .LBB218_52
; %bb.51:                               ;   in Loop: Header=BB218_5 Depth=1
	v_div_scale_f32 v30, s[4:5], v29, v29, v28
	v_div_scale_f32 v31, vcc, v28, v29, v28
	v_rcp_f32_e32 v32, v30
	v_fma_f32 v33, -v30, v32, 1.0
	v_fmac_f32_e32 v32, v33, v32
	v_mul_f32_e32 v33, v31, v32
	v_fma_f32 v34, -v30, v33, v31
	v_fmac_f32_e32 v33, v34, v32
	v_fma_f32 v30, -v30, v33, v31
	v_div_fmas_f32 v30, v30, v32, v33
	v_div_fixup_f32 v28, v30, v29, v28
	v_fma_f32 v28, v28, v28, 1.0
	v_mul_f32_e32 v30, 0x4f800000, v28
	v_cmp_gt_f32_e32 vcc, s34, v28
	v_cndmask_b32_e32 v28, v28, v30, vcc
	v_sqrt_f32_e32 v30, v28
	v_add_u32_e32 v31, -1, v30
	v_add_u32_e32 v32, 1, v30
	v_fma_f32 v33, -v31, v30, v28
	v_fma_f32 v34, -v32, v30, v28
	v_cmp_ge_f32_e64 s[4:5], 0, v33
	v_cndmask_b32_e64 v30, v30, v31, s[4:5]
	v_cmp_lt_f32_e64 s[4:5], 0, v34
	v_cndmask_b32_e64 v30, v30, v32, s[4:5]
	v_mul_f32_e32 v31, 0x37800000, v30
	v_cndmask_b32_e32 v30, v30, v31, vcc
	v_cmp_class_f32_e32 vcc, v28, v37
	v_cndmask_b32_e32 v28, v30, v28, vcc
	v_mul_f32_e32 v30, v29, v28
.LBB218_52:                             ;   in Loop: Header=BB218_5 Depth=1
	s_or_b64 exec, exec, s[26:27]
                                        ; implicit-def: $vgpr28
                                        ; implicit-def: $vgpr29
.LBB218_53:                             ;   in Loop: Header=BB218_5 Depth=1
	s_andn2_saveexec_b64 s[24:25], s[24:25]
	s_cbranch_execz .LBB218_55
; %bb.54:                               ;   in Loop: Header=BB218_5 Depth=1
	v_div_scale_f32 v30, s[4:5], v28, v28, v29
	v_div_scale_f32 v31, vcc, v29, v28, v29
	v_rcp_f32_e32 v32, v30
	v_fma_f32 v33, -v30, v32, 1.0
	v_fmac_f32_e32 v32, v33, v32
	v_mul_f32_e32 v33, v31, v32
	v_fma_f32 v34, -v30, v33, v31
	v_fmac_f32_e32 v33, v34, v32
	v_fma_f32 v30, -v30, v33, v31
	v_div_fmas_f32 v30, v30, v32, v33
	v_div_fixup_f32 v29, v30, v28, v29
	v_fma_f32 v29, v29, v29, 1.0
	v_mul_f32_e32 v30, 0x4f800000, v29
	v_cmp_gt_f32_e32 vcc, s34, v29
	v_cndmask_b32_e32 v29, v29, v30, vcc
	v_sqrt_f32_e32 v30, v29
	v_add_u32_e32 v31, -1, v30
	v_add_u32_e32 v32, 1, v30
	v_fma_f32 v33, -v31, v30, v29
	v_fma_f32 v34, -v32, v30, v29
	v_cmp_ge_f32_e64 s[4:5], 0, v33
	v_cndmask_b32_e64 v30, v30, v31, s[4:5]
	v_cmp_lt_f32_e64 s[4:5], 0, v34
	v_cndmask_b32_e64 v30, v30, v32, s[4:5]
	v_mul_f32_e32 v31, 0x37800000, v30
	v_cndmask_b32_e32 v30, v30, v31, vcc
	v_cmp_class_f32_e32 vcc, v29, v37
	v_cndmask_b32_e32 v29, v30, v29, vcc
	v_mul_f32_e32 v30, v28, v29
.LBB218_55:                             ;   in Loop: Header=BB218_5 Depth=1
	s_or_b64 exec, exec, s[24:25]
	v_cmp_lt_f32_e32 vcc, v4, v21
	v_cndmask_b32_e32 v4, v4, v21, vcc
	v_cmp_lt_f32_e32 vcc, v22, v4
	v_cndmask_b32_e32 v4, v22, v4, vcc
	;; [unrolled: 2-line block ×4, first 2 shown]
	v_cvt_f64_f32_e32 v[21:22], v4
	v_cvt_f64_f32_e32 v[26:27], v27
	;; [unrolled: 1-line block ×3, first 2 shown]
	v_cmp_ne_u32_e64 s[4:5], s30, v3
	v_mul_f64 v[21:22], v[21:22], v[26:27]
	v_mul_f64 v[26:27], v[28:29], s[22:23]
	v_cmp_nge_f64_e32 vcc, v[21:22], v[26:27]
	s_and_b64 s[4:5], s[4:5], vcc
	s_and_saveexec_b64 s[24:25], s[4:5]
	s_xor_b64 s[4:5], exec, s[24:25]
	s_cbranch_execz .LBB218_61
; %bb.56:                               ;   in Loop: Header=BB218_5 Depth=1
	v_mul_f32_e64 v4, v20, -v8
	v_mul_f32_e32 v21, v7, v20
	v_fmac_f32_e32 v4, v7, v19
	v_fmac_f32_e32 v21, v8, v19
	v_sub_f32_e32 v23, v4, v24
	v_sub_f32_e32 v24, v21, v25
	v_mul_f32_e32 v33, v24, v24
	v_fmac_f32_e32 v33, v23, v23
	v_div_scale_f32 v21, s[24:25], v33, v33, 1.0
	v_div_scale_f32 v22, vcc, 1.0, v33, 1.0
	v_ashrrev_i32_e32 v4, 31, v3
	v_mov_b32_e32 v30, s11
	v_lshlrev_b64 v[11:12], 2, v[11:12]
	v_rcp_f32_e32 v25, v21
	v_fma_f32 v26, -v21, v25, 1.0
	v_fmac_f32_e32 v25, v26, v25
	v_mul_f32_e32 v26, v22, v25
	v_fma_f32 v27, -v21, v26, v22
	v_fmac_f32_e32 v26, v27, v25
	v_fma_f32 v21, -v21, v26, v22
	v_div_fmas_f32 v34, v21, v25, v26
	v_add_u32_e32 v25, v35, v3
	v_lshlrev_b64 v[21:22], 3, v[3:4]
	v_ashrrev_i32_e32 v26, 31, v25
	v_add_co_u32_e32 v31, vcc, v1, v21
	v_lshlrev_b64 v[27:28], 3, v[25:26]
	v_addc_co_u32_e32 v32, vcc, v2, v22, vcc
	v_add_co_u32_e32 v29, vcc, s10, v27
	v_fma_f32 v4, 0, v24, v23
	v_fma_f32 v23, v23, 0, -v24
	v_addc_co_u32_e32 v30, vcc, v30, v28, vcc
	v_div_fixup_f32 v21, v34, v33, 1.0
	v_mul_f32_e32 v4, v4, v21
	v_mul_f32_e32 v40, v23, v21
	global_load_dwordx2 v[21:22], v[31:32], off
	global_load_dwordx2 v[23:24], v[29:30], off
	s_waitcnt vmcnt(1)
	v_mul_f32_e64 v33, v22, -v20
	s_waitcnt vmcnt(0)
	v_mul_f32_e64 v34, v24, -v14
	v_fmac_f32_e32 v33, v19, v21
	v_fmac_f32_e32 v34, v13, v23
	v_sub_f32_e32 v41, v33, v34
	v_mul_f32_e32 v33, v19, v22
	v_mul_f32_e32 v34, v24, v13
	v_fmac_f32_e32 v33, v20, v21
	v_fmac_f32_e32 v34, v14, v23
	v_sub_f32_e32 v42, v33, v34
	v_mul_f32_e64 v33, v40, -v42
	v_mul_f32_e32 v34, v40, v41
	v_fmac_f32_e32 v33, v41, v4
	v_fmac_f32_e32 v34, v42, v4
	global_store_dwordx2 v[31:32], v[33:34], off
	v_mov_b32_e32 v31, s13
	v_add_co_u32_e32 v41, vcc, s12, v15
	v_addc_co_u32_e32 v42, vcc, v31, v16, vcc
	global_load_dwordx2 v[31:32], v[41:42], off
	s_waitcnt vmcnt(0)
	v_mul_f32_e64 v43, v32, -v20
	v_mul_f32_e32 v44, v19, v32
	v_fmac_f32_e32 v43, v19, v31
	v_fmac_f32_e32 v44, v20, v31
	v_mov_b32_e32 v20, s13
	v_add_co_u32_e32 v19, vcc, s12, v27
	v_addc_co_u32_e32 v20, vcc, v20, v28, vcc
	global_load_dwordx2 v[33:34], v[19:20], off
	v_add_co_u32_e32 v15, vcc, s14, v15
	s_waitcnt vmcnt(0)
	v_mul_f32_e64 v45, v34, -v14
	v_fmac_f32_e32 v45, v13, v33
	v_sub_f32_e32 v45, v43, v45
	v_mul_f32_e32 v43, v34, v13
	v_fmac_f32_e32 v43, v14, v33
	v_sub_f32_e32 v46, v44, v43
	v_mul_f32_e64 v43, v40, -v46
	v_mul_f32_e32 v44, v40, v45
	v_fmac_f32_e32 v43, v45, v4
	v_fmac_f32_e32 v44, v46, v4
	global_store_dwordx2 v[41:42], v[43:44], off
	v_mov_b32_e32 v41, s15
	v_addc_co_u32_e32 v16, vcc, v41, v16, vcc
	v_mul_f32_e32 v41, v10, v14
	v_fma_f32 v41, -v13, v9, v41
	v_mul_f32_e64 v13, v10, -v13
	v_fma_f32 v42, -v14, v9, v13
	v_mul_f32_e64 v13, v40, -v42
	v_mul_f32_e32 v14, v40, v41
	v_fmac_f32_e32 v13, v41, v4
	v_fmac_f32_e32 v14, v42, v4
	global_store_dwordx2 v[15:16], v[13:14], off
	v_mov_b32_e32 v13, s7
	v_add_co_u32_e32 v11, vcc, s6, v11
	v_addc_co_u32_e32 v12, vcc, v13, v12, vcc
	global_store_dword v[11:12], v38, off
	s_and_saveexec_b64 s[24:25], s[0:1]
	s_cbranch_execz .LBB218_58
; %bb.57:                               ;   in Loop: Header=BB218_5 Depth=1
	v_mul_f32_e32 v11, v6, v22
	v_mul_f32_e64 v12, v22, -v5
	v_mul_f32_e64 v13, v24, -v8
	v_mul_f32_e32 v14, v7, v24
	v_fma_f32 v11, -v5, v21, v11
	v_fma_f32 v12, -v6, v21, v12
	v_fmac_f32_e32 v13, v7, v23
	v_fmac_f32_e32 v14, v8, v23
	v_add_f32_e32 v13, v11, v13
	v_add_f32_e32 v14, v12, v14
	v_mul_f32_e64 v11, v40, -v14
	v_mul_f32_e32 v12, v40, v13
	v_fmac_f32_e32 v11, v13, v4
	v_fmac_f32_e32 v12, v14, v4
	global_store_dwordx2 v[29:30], v[11:12], off
	v_mul_f32_e32 v11, v6, v32
	v_mul_f32_e64 v12, v32, -v5
	v_mul_f32_e64 v13, v34, -v8
	v_mul_f32_e32 v14, v7, v34
	v_fma_f32 v11, -v5, v31, v11
	v_fma_f32 v12, -v6, v31, v12
	v_fmac_f32_e32 v13, v7, v33
	v_fmac_f32_e32 v14, v8, v33
	v_add_f32_e32 v13, v11, v13
	v_add_f32_e32 v14, v12, v14
	v_mul_f32_e64 v11, v40, -v14
	v_mul_f32_e32 v12, v40, v13
	v_fmac_f32_e32 v11, v13, v4
	v_fmac_f32_e32 v12, v14, v4
	v_mul_f32_e32 v13, v7, v10
	global_store_dwordx2 v[19:20], v[11:12], off
	v_mul_f32_e64 v12, v10, -v8
	v_fmac_f32_e32 v13, v8, v9
	v_fmac_f32_e32 v12, v7, v9
	v_mul_f32_e64 v11, v40, -v13
	v_fmac_f32_e32 v11, v12, v4
	v_mul_f32_e32 v12, v40, v12
	v_fmac_f32_e32 v12, v13, v4
	v_mov_b32_e32 v14, s15
	v_add_co_u32_e32 v13, vcc, s14, v27
	v_addc_co_u32_e32 v14, vcc, v14, v28, vcc
	global_store_dwordx2 v[13:14], v[11:12], off
	v_lshlrev_b64 v[11:12], 2, v[25:26]
	v_mov_b32_e32 v13, s7
	v_add_co_u32_e32 v11, vcc, s6, v11
	v_addc_co_u32_e32 v12, vcc, v13, v12, vcc
	global_store_dword v[11:12], v38, off
.LBB218_58:                             ;   in Loop: Header=BB218_5 Depth=1
	s_or_b64 exec, exec, s[24:25]
	v_mov_b32_e32 v12, 0
	v_mov_b32_e32 v11, 0
	s_and_saveexec_b64 s[24:25], s[2:3]
	s_cbranch_execz .LBB218_60
; %bb.59:                               ;   in Loop: Header=BB218_5 Depth=1
	v_add_u32_e32 v11, v36, v3
	v_ashrrev_i32_e32 v12, 31, v11
	v_lshlrev_b64 v[11:12], 3, v[11:12]
	v_mov_b32_e32 v14, s11
	v_add_co_u32_e32 v13, vcc, s10, v11
	v_addc_co_u32_e32 v14, vcc, v14, v12, vcc
	v_mov_b32_e32 v19, s19
	v_add_co_u32_e32 v11, vcc, s18, v11
	v_addc_co_u32_e32 v12, vcc, v19, v12, vcc
	global_load_dwordx2 v[15:16], v[13:14], off
	v_mul_f32_e32 v19, v6, v18
	global_load_dwordx2 v[11:12], v[11:12], off
	v_mul_f32_e64 v20, v18, -v5
	v_mul_f32_e64 v25, v18, -v8
	v_mul_f32_e32 v26, v7, v18
	v_mul_f32_e64 v27, v8, -v18
	v_mul_f32_e32 v28, v8, v17
	v_fma_f32 v5, -v5, v17, v19
	v_fma_f32 v6, -v6, v17, v20
	v_fmac_f32_e32 v25, v7, v17
	v_fmac_f32_e32 v26, v8, v17
	;; [unrolled: 1-line block ×4, first 2 shown]
	v_mul_f32_e64 v7, v40, -v6
	v_mul_f32_e32 v8, v40, v5
	v_mul_f32_e64 v17, v40, -v26
	v_mul_f32_e32 v18, v40, v25
	;; [unrolled: 2-line block ×3, first 2 shown]
	v_fmac_f32_e32 v7, v5, v4
	v_fmac_f32_e32 v8, v6, v4
	;; [unrolled: 1-line block ×6, first 2 shown]
	v_mul_f32_e32 v5, v8, v22
	v_mul_f32_e64 v6, v22, -v7
	v_mul_f32_e64 v9, v24, -v18
	v_mul_f32_e32 v20, v17, v24
	v_mul_f32_e64 v22, v40, -v10
	v_mul_f32_e32 v24, v40, v19
	v_fma_f32 v5, -v7, v21, v5
	v_fma_f32 v6, -v8, v21, v6
	v_fmac_f32_e32 v9, v17, v23
	v_fmac_f32_e32 v20, v18, v23
	;; [unrolled: 1-line block ×4, first 2 shown]
	v_sub_f32_e32 v4, v5, v9
	v_sub_f32_e32 v5, v6, v20
	s_waitcnt vmcnt(1)
	v_add_f32_e32 v4, v4, v15
	v_add_f32_e32 v5, v5, v16
	s_waitcnt vmcnt(0)
	v_sub_f32_e32 v11, v11, v22
	v_sub_f32_e32 v12, v12, v24
	global_store_dwordx2 v[13:14], v[4:5], off
.LBB218_60:                             ;   in Loop: Header=BB218_5 Depth=1
	s_or_b64 exec, exec, s[24:25]
	v_mov_b32_e32 v8, v12
	v_mov_b32_e32 v7, v11
                                        ; implicit-def: $vgpr13_vgpr14
                                        ; implicit-def: $vgpr5
                                        ; implicit-def: $vgpr19
                                        ; implicit-def: $vgpr24
                                        ; implicit-def: $vgpr25
                                        ; implicit-def: $vgpr11_vgpr12
                                        ; implicit-def: $vgpr15_vgpr16
.LBB218_61:                             ;   in Loop: Header=BB218_5 Depth=1
	s_or_saveexec_b64 s[2:3], s[4:5]
	v_mov_b32_e32 v4, s33
	s_xor_b64 exec, exec, s[2:3]
	s_cbranch_execz .LBB218_4
; %bb.62:                               ;   in Loop: Header=BB218_5 Depth=1
	v_ashrrev_i32_e32 v4, 31, v3
	v_lshlrev_b64 v[9:10], 3, v[3:4]
	v_mov_b32_e32 v4, s13
	v_add_co_u32_e32 v17, vcc, s12, v15
	v_addc_co_u32_e32 v18, vcc, v4, v16, vcc
	v_add_co_u32_e32 v26, vcc, v1, v9
	v_addc_co_u32_e32 v27, vcc, v2, v10, vcc
	global_load_dwordx2 v[21:22], v[17:18], off
	global_load_dwordx2 v[9:10], v[26:27], off
	v_mul_f32_e32 v4, v8, v8
	v_fmac_f32_e32 v4, v7, v7
	v_div_scale_f32 v23, s[4:5], v4, v4, 1.0
	v_div_scale_f32 v28, vcc, 1.0, v4, 1.0
	v_rcp_f32_e32 v29, v23
	v_fma_f32 v30, -v23, v29, 1.0
	v_fmac_f32_e32 v29, v30, v29
	v_mul_f32_e32 v30, v28, v29
	v_fma_f32 v31, -v23, v30, v28
	v_fmac_f32_e32 v30, v31, v29
	v_fma_f32 v23, -v23, v30, v28
	v_div_fmas_f32 v23, v23, v29, v30
	v_fma_f32 v28, 0, v8, v7
	v_fma_f32 v29, v7, 0, -v8
	v_mov_b32_e32 v30, s15
	v_lshlrev_b64 v[7:8], 2, v[11:12]
	v_add_co_u32_e32 v11, vcc, s14, v15
	v_addc_co_u32_e32 v12, vcc, v30, v16, vcc
	v_add_co_u32_e32 v15, vcc, s6, v7
	v_mov_b32_e32 v31, s7
	v_addc_co_u32_e32 v16, vcc, v31, v8, vcc
	v_div_fixup_f32 v7, v23, v4, 1.0
	v_mul_f32_e32 v4, v28, v7
	v_mul_f32_e32 v7, v29, v7
	v_mul_f32_e64 v28, v7, -v14
	v_mul_f32_e32 v29, v7, v13
	v_fmac_f32_e32 v28, v13, v4
	v_fmac_f32_e32 v29, v14, v4
	global_store_dwordx2 v[11:12], v[28:29], off
	s_waitcnt vmcnt(2)
	v_mul_f32_e64 v11, v7, -v22
	v_mul_f32_e32 v12, v7, v21
	s_waitcnt vmcnt(1)
	v_mul_f32_e64 v13, v7, -v10
	v_mul_f32_e32 v14, v7, v9
	v_fmac_f32_e32 v11, v21, v4
	v_fmac_f32_e32 v12, v22, v4
	v_fmac_f32_e32 v13, v9, v4
	v_fmac_f32_e32 v14, v10, v4
	global_store_dwordx2 v[17:18], v[11:12], off
	global_store_dwordx2 v[26:27], v[13:14], off
	global_store_dword v[15:16], v39, off
	s_and_saveexec_b64 s[4:5], s[0:1]
	s_cbranch_execz .LBB218_3
; %bb.63:                               ;   in Loop: Header=BB218_5 Depth=1
	v_add_u32_e32 v11, v35, v3
	v_ashrrev_i32_e32 v12, 31, v11
	v_lshlrev_b64 v[11:12], 3, v[11:12]
	v_mov_b32_e32 v8, s11
	v_add_co_u32_e32 v11, vcc, s10, v11
	v_addc_co_u32_e32 v12, vcc, v8, v12, vcc
	global_load_dwordx2 v[13:14], v[11:12], off
	v_mul_f32_e32 v8, v7, v5
	v_mul_f32_e64 v15, v7, -v6
	v_fmac_f32_e32 v8, v6, v4
	v_fmac_f32_e32 v15, v5, v4
	v_mul_f32_e32 v5, v8, v10
	v_mul_f32_e64 v6, v10, -v15
	v_fma_f32 v5, -v15, v9, v5
	v_fma_f32 v6, -v8, v9, v6
	s_waitcnt vmcnt(0)
	v_add_f32_e32 v5, v5, v13
	v_add_f32_e32 v6, v6, v14
	global_store_dwordx2 v[11:12], v[5:6], off
	s_branch .LBB218_3
.LBB218_64:
	s_or_b64 exec, exec, s[20:21]
.LBB218_65:
	v_subrev_u32_e32 v5, s28, v3
	v_add_u32_e32 v3, v5, v0
	v_ashrrev_i32_e32 v4, 31, v3
	v_lshlrev_b64 v[3:4], 2, v[3:4]
	s_waitcnt lgkmcnt(0)
	v_mov_b32_e32 v6, s7
	v_add_co_u32_e32 v3, vcc, s6, v3
	v_addc_co_u32_e32 v4, vcc, v6, v4, vcc
	s_waitcnt vmcnt(0)
	buffer_wbinvl1_vol
	global_load_dword v3, v[3:4], off
	s_waitcnt vmcnt(0)
	v_mul_lo_u32 v3, v3, s28
	v_sub_u32_e32 v3, v5, v3
	v_cmp_lt_i32_e32 vcc, -1, v3
	s_and_b64 exec, exec, vcc
	s_cbranch_execz .LBB218_72
; %bb.66:
	v_subrev_u32_e32 v11, s28, v0
	s_lshl_b32 s4, s28, 1
	s_mov_b64 s[0:1], 0
	v_mov_b32_e32 v12, s7
	v_mov_b32_e32 v13, s15
	s_branch .LBB218_68
.LBB218_67:                             ;   in Loop: Header=BB218_68 Depth=1
	s_or_b64 exec, exec, s[2:3]
	s_waitcnt vmcnt(0)
	v_lshlrev_b64 v[5:6], 3, v[7:8]
	v_mov_b32_e32 v7, s13
	v_add_co_u32_e32 v5, vcc, s12, v5
	v_addc_co_u32_e32 v6, vcc, v7, v6, vcc
	global_load_dwordx2 v[7:8], v[5:6], off
	v_sub_u32_e32 v3, v3, v9
	v_cmp_gt_i32_e32 vcc, 0, v3
	s_or_b64 s[0:1], vcc, s[0:1]
	s_waitcnt vmcnt(0)
	v_add_f32_e32 v7, v7, v4
	v_add_f32_e32 v8, v14, v8
	global_store_dwordx2 v[5:6], v[7:8], off
	s_andn2_b64 exec, exec, s[0:1]
	s_cbranch_execz .LBB218_72
.LBB218_68:                             ; =>This Inner Loop Header: Depth=1
	v_add_u32_e32 v7, v3, v0
	v_ashrrev_i32_e32 v8, 31, v7
	v_lshlrev_b64 v[4:5], 2, v[7:8]
	v_lshlrev_b64 v[9:10], 3, v[7:8]
	v_add_co_u32_e32 v4, vcc, s6, v4
	v_addc_co_u32_e32 v5, vcc, v12, v5, vcc
	global_load_dword v14, v[4:5], off
	v_add_co_u32_e32 v4, vcc, s14, v9
	v_addc_co_u32_e32 v5, vcc, v13, v10, vcc
	global_load_dwordx2 v[5:6], v[4:5], off
                                        ; implicit-def: $vgpr4
	s_waitcnt vmcnt(1)
	v_cmp_ne_u32_e32 vcc, 1, v14
                                        ; implicit-def: $vgpr14
	s_and_saveexec_b64 s[2:3], vcc
	s_xor_b64 s[2:3], exec, s[2:3]
	s_cbranch_execz .LBB218_70
; %bb.69:                               ;   in Loop: Header=BB218_68 Depth=1
	v_add_u32_e32 v7, v35, v3
	v_ashrrev_i32_e32 v8, 31, v7
	v_lshlrev_b64 v[7:8], 3, v[7:8]
	v_mov_b32_e32 v4, s11
	v_add_co_u32_e32 v14, vcc, s10, v7
	v_addc_co_u32_e32 v15, vcc, v4, v8, vcc
	v_ashrrev_i32_e32 v4, 31, v3
	v_lshlrev_b64 v[18:19], 3, v[3:4]
	v_mov_b32_e32 v4, s13
	v_add_co_u32_e32 v20, vcc, s12, v7
	v_addc_co_u32_e32 v21, vcc, v4, v8, vcc
	global_load_dwordx2 v[16:17], v[14:15], off
	v_add_co_u32_e32 v18, vcc, v1, v18
	global_load_dwordx2 v[22:23], v[20:21], off
	v_addc_co_u32_e32 v19, vcc, v2, v19, vcc
	global_load_dwordx2 v[24:25], v[18:19], off
	v_add_co_u32_e32 v9, vcc, s12, v9
	v_addc_co_u32_e32 v10, vcc, v4, v10, vcc
	global_load_dwordx2 v[26:27], v[9:10], off
	v_add_u32_e32 v7, v11, v3
	v_ashrrev_i32_e32 v8, 31, v7
	v_lshlrev_b64 v[28:29], 3, v[7:8]
	v_mov_b32_e32 v4, s15
	v_add_co_u32_e32 v30, vcc, s14, v28
	v_addc_co_u32_e32 v31, vcc, v4, v29, vcc
	v_mov_b32_e32 v32, s11
	global_load_dwordx2 v[30:31], v[30:31], off
	s_waitcnt vmcnt(4)
	v_mul_f32_e32 v4, v6, v17
	v_mul_f32_e64 v17, v17, -v5
	v_fma_f32 v4, -v5, v16, v4
	s_waitcnt vmcnt(3)
	v_mul_f32_e32 v33, v6, v23
	v_fma_f32 v16, -v6, v16, v17
	v_mul_f32_e64 v23, v23, -v5
	v_fma_f32 v17, -v5, v22, v33
	s_waitcnt vmcnt(2)
	v_add_f32_e32 v4, v24, v4
	v_add_f32_e32 v5, v16, v25
	v_fma_f32 v6, -v6, v22, v23
	global_store_dwordx2 v[18:19], v[4:5], off
	s_waitcnt vmcnt(2)
	v_add_f32_e32 v16, v26, v17
	v_add_f32_e32 v17, v6, v27
	global_load_dwordx2 v[4:5], v[14:15], off
	v_add_co_u32_e32 v14, vcc, s10, v28
	global_store_dwordx2 v[9:10], v[16:17], off
	v_addc_co_u32_e32 v15, vcc, v32, v29, vcc
	global_load_dwordx2 v[9:10], v[20:21], off
	global_load_dwordx2 v[16:17], v[14:15], off
	s_waitcnt vmcnt(3)
	v_mul_f32_e32 v6, v31, v5
	v_mul_f32_e64 v5, v5, -v30
	v_fma_f32 v6, -v30, v4, v6
	v_fma_f32 v19, -v31, v4, v5
	s_waitcnt vmcnt(1)
	v_mul_f32_e32 v18, v31, v10
	v_mul_f32_e64 v10, v10, -v30
	s_waitcnt vmcnt(0)
	v_add_f32_e32 v5, v16, v6
	v_add_f32_e32 v6, v19, v17
	v_fma_f32 v4, -v30, v9, v18
	global_store_dwordx2 v[14:15], v[5:6], off
	v_fma_f32 v14, -v31, v9, v10
                                        ; implicit-def: $vgpr5_vgpr6
.LBB218_70:                             ;   in Loop: Header=BB218_68 Depth=1
	s_or_saveexec_b64 s[2:3], s[2:3]
	v_mov_b32_e32 v9, s4
	s_xor_b64 exec, exec, s[2:3]
	s_cbranch_execz .LBB218_67
; %bb.71:                               ;   in Loop: Header=BB218_68 Depth=1
	v_add_u32_e32 v9, v35, v3
	v_ashrrev_i32_e32 v10, 31, v9
	v_lshlrev_b64 v[9:10], 3, v[9:10]
	v_mov_b32_e32 v4, s11
	v_add_co_u32_e32 v14, vcc, s10, v9
	v_addc_co_u32_e32 v15, vcc, v4, v10, vcc
	v_ashrrev_i32_e32 v4, 31, v3
	v_mov_b32_e32 v16, s13
	v_add_co_u32_e32 v9, vcc, s12, v9
	v_addc_co_u32_e32 v10, vcc, v16, v10, vcc
	v_lshlrev_b64 v[16:17], 3, v[3:4]
	global_load_dwordx2 v[14:15], v[14:15], off
	v_add_co_u32_e32 v16, vcc, v1, v16
	global_load_dwordx2 v[9:10], v[9:10], off
	v_addc_co_u32_e32 v17, vcc, v2, v17, vcc
	global_load_dwordx2 v[18:19], v[16:17], off
	s_waitcnt vmcnt(2)
	v_mul_f32_e32 v4, v6, v15
	v_mul_f32_e64 v15, v15, -v5
	v_fma_f32 v21, -v5, v14, v4
	s_waitcnt vmcnt(1)
	v_mul_f32_e32 v20, v6, v10
	v_mul_f32_e64 v10, v10, -v5
	v_fma_f32 v15, -v6, v14, v15
	v_fma_f32 v4, -v5, v9, v20
	;; [unrolled: 1-line block ×3, first 2 shown]
	s_waitcnt vmcnt(0)
	v_add_f32_e32 v5, v18, v21
	v_add_f32_e32 v6, v15, v19
	v_mov_b32_e32 v9, s28
	global_store_dwordx2 v[16:17], v[5:6], off
	s_branch .LBB218_67
.LBB218_72:
	s_endpgm
	.section	.rodata,"a",@progbits
	.p2align	6, 0x0
	.amdhsa_kernel _ZN9rocsparseL18gtsv_LBM_wv_kernelILj256ELj16E21rocsparse_complex_numIfEEEviiiPKT1_S5_S5_PS3_S6_S6_Pi
		.amdhsa_group_segment_fixed_size 0
		.amdhsa_private_segment_fixed_size 0
		.amdhsa_kernarg_size 72
		.amdhsa_user_sgpr_count 6
		.amdhsa_user_sgpr_private_segment_buffer 1
		.amdhsa_user_sgpr_dispatch_ptr 0
		.amdhsa_user_sgpr_queue_ptr 0
		.amdhsa_user_sgpr_kernarg_segment_ptr 1
		.amdhsa_user_sgpr_dispatch_id 0
		.amdhsa_user_sgpr_flat_scratch_init 0
		.amdhsa_user_sgpr_private_segment_size 0
		.amdhsa_uses_dynamic_stack 0
		.amdhsa_system_sgpr_private_segment_wavefront_offset 0
		.amdhsa_system_sgpr_workgroup_id_x 1
		.amdhsa_system_sgpr_workgroup_id_y 0
		.amdhsa_system_sgpr_workgroup_id_z 0
		.amdhsa_system_sgpr_workgroup_info 0
		.amdhsa_system_vgpr_workitem_id 0
		.amdhsa_next_free_vgpr 47
		.amdhsa_next_free_sgpr 35
		.amdhsa_reserve_vcc 1
		.amdhsa_reserve_flat_scratch 0
		.amdhsa_float_round_mode_32 0
		.amdhsa_float_round_mode_16_64 0
		.amdhsa_float_denorm_mode_32 3
		.amdhsa_float_denorm_mode_16_64 3
		.amdhsa_dx10_clamp 1
		.amdhsa_ieee_mode 1
		.amdhsa_fp16_overflow 0
		.amdhsa_exception_fp_ieee_invalid_op 0
		.amdhsa_exception_fp_denorm_src 0
		.amdhsa_exception_fp_ieee_div_zero 0
		.amdhsa_exception_fp_ieee_overflow 0
		.amdhsa_exception_fp_ieee_underflow 0
		.amdhsa_exception_fp_ieee_inexact 0
		.amdhsa_exception_int_div_zero 0
	.end_amdhsa_kernel
	.section	.text._ZN9rocsparseL18gtsv_LBM_wv_kernelILj256ELj16E21rocsparse_complex_numIfEEEviiiPKT1_S5_S5_PS3_S6_S6_Pi,"axG",@progbits,_ZN9rocsparseL18gtsv_LBM_wv_kernelILj256ELj16E21rocsparse_complex_numIfEEEviiiPKT1_S5_S5_PS3_S6_S6_Pi,comdat
.Lfunc_end218:
	.size	_ZN9rocsparseL18gtsv_LBM_wv_kernelILj256ELj16E21rocsparse_complex_numIfEEEviiiPKT1_S5_S5_PS3_S6_S6_Pi, .Lfunc_end218-_ZN9rocsparseL18gtsv_LBM_wv_kernelILj256ELj16E21rocsparse_complex_numIfEEEviiiPKT1_S5_S5_PS3_S6_S6_Pi
                                        ; -- End function
	.set _ZN9rocsparseL18gtsv_LBM_wv_kernelILj256ELj16E21rocsparse_complex_numIfEEEviiiPKT1_S5_S5_PS3_S6_S6_Pi.num_vgpr, 47
	.set _ZN9rocsparseL18gtsv_LBM_wv_kernelILj256ELj16E21rocsparse_complex_numIfEEEviiiPKT1_S5_S5_PS3_S6_S6_Pi.num_agpr, 0
	.set _ZN9rocsparseL18gtsv_LBM_wv_kernelILj256ELj16E21rocsparse_complex_numIfEEEviiiPKT1_S5_S5_PS3_S6_S6_Pi.numbered_sgpr, 35
	.set _ZN9rocsparseL18gtsv_LBM_wv_kernelILj256ELj16E21rocsparse_complex_numIfEEEviiiPKT1_S5_S5_PS3_S6_S6_Pi.num_named_barrier, 0
	.set _ZN9rocsparseL18gtsv_LBM_wv_kernelILj256ELj16E21rocsparse_complex_numIfEEEviiiPKT1_S5_S5_PS3_S6_S6_Pi.private_seg_size, 0
	.set _ZN9rocsparseL18gtsv_LBM_wv_kernelILj256ELj16E21rocsparse_complex_numIfEEEviiiPKT1_S5_S5_PS3_S6_S6_Pi.uses_vcc, 1
	.set _ZN9rocsparseL18gtsv_LBM_wv_kernelILj256ELj16E21rocsparse_complex_numIfEEEviiiPKT1_S5_S5_PS3_S6_S6_Pi.uses_flat_scratch, 0
	.set _ZN9rocsparseL18gtsv_LBM_wv_kernelILj256ELj16E21rocsparse_complex_numIfEEEviiiPKT1_S5_S5_PS3_S6_S6_Pi.has_dyn_sized_stack, 0
	.set _ZN9rocsparseL18gtsv_LBM_wv_kernelILj256ELj16E21rocsparse_complex_numIfEEEviiiPKT1_S5_S5_PS3_S6_S6_Pi.has_recursion, 0
	.set _ZN9rocsparseL18gtsv_LBM_wv_kernelILj256ELj16E21rocsparse_complex_numIfEEEviiiPKT1_S5_S5_PS3_S6_S6_Pi.has_indirect_call, 0
	.section	.AMDGPU.csdata,"",@progbits
; Kernel info:
; codeLenInByte = 6088
; TotalNumSgprs: 39
; NumVgprs: 47
; ScratchSize: 0
; MemoryBound: 0
; FloatMode: 240
; IeeeMode: 1
; LDSByteSize: 0 bytes/workgroup (compile time only)
; SGPRBlocks: 4
; VGPRBlocks: 11
; NumSGPRsForWavesPerEU: 39
; NumVGPRsForWavesPerEU: 47
; Occupancy: 5
; WaveLimiterHint : 0
; COMPUTE_PGM_RSRC2:SCRATCH_EN: 0
; COMPUTE_PGM_RSRC2:USER_SGPR: 6
; COMPUTE_PGM_RSRC2:TRAP_HANDLER: 0
; COMPUTE_PGM_RSRC2:TGID_X_EN: 1
; COMPUTE_PGM_RSRC2:TGID_Y_EN: 0
; COMPUTE_PGM_RSRC2:TGID_Z_EN: 0
; COMPUTE_PGM_RSRC2:TIDIG_COMP_CNT: 0
	.section	.text._ZN9rocsparseL19gtsv_LBM_rhs_kernelILj256ELj16ELj8E21rocsparse_complex_numIfEEEviiiPKT2_S5_S5_PS3_S5_PKi,"axG",@progbits,_ZN9rocsparseL19gtsv_LBM_rhs_kernelILj256ELj16ELj8E21rocsparse_complex_numIfEEEviiiPKT2_S5_S5_PS3_S5_PKi,comdat
	.globl	_ZN9rocsparseL19gtsv_LBM_rhs_kernelILj256ELj16ELj8E21rocsparse_complex_numIfEEEviiiPKT2_S5_S5_PS3_S5_PKi ; -- Begin function _ZN9rocsparseL19gtsv_LBM_rhs_kernelILj256ELj16ELj8E21rocsparse_complex_numIfEEEviiiPKT2_S5_S5_PS3_S5_PKi
	.p2align	8
	.type	_ZN9rocsparseL19gtsv_LBM_rhs_kernelILj256ELj16ELj8E21rocsparse_complex_numIfEEEviiiPKT2_S5_S5_PS3_S5_PKi,@function
_ZN9rocsparseL19gtsv_LBM_rhs_kernelILj256ELj16ELj8E21rocsparse_complex_numIfEEEviiiPKT2_S5_S5_PS3_S5_PKi: ; @_ZN9rocsparseL19gtsv_LBM_rhs_kernelILj256ELj16ELj8E21rocsparse_complex_numIfEEEviiiPKT2_S5_S5_PS3_S5_PKi
; %bb.0:
	s_load_dword s23, s[4:5], 0x0
	v_lshl_or_b32 v0, s6, 8, v0
	s_waitcnt lgkmcnt(0)
	s_lshr_b32 s22, s23, 4
	v_cmp_gt_i32_e32 vcc, s22, v0
	s_and_saveexec_b64 s[0:1], vcc
	s_cbranch_execz .LBB219_29
; %bb.1:
	s_load_dwordx4 s[8:11], s[4:5], 0x28
	s_load_dwordx2 s[16:17], s[4:5], 0x38
	s_cmp_lt_i32 s23, 1
	v_add_u32_e32 v25, s22, v0
	s_mul_i32 s24, s7, s23
	s_cbranch_scc1 .LBB219_21
; %bb.2:
	s_load_dwordx4 s[12:15], s[4:5], 0x10
	s_load_dwordx2 s[6:7], s[4:5], 0x20
	v_ashrrev_i32_e32 v1, 31, v0
	v_lshlrev_b64 v[1:2], 3, v[0:1]
	s_lshl_b32 s28, s24, 3
	s_waitcnt lgkmcnt(0)
	v_mov_b32_e32 v3, s15
	v_add_co_u32_e32 v1, vcc, s14, v1
	v_addc_co_u32_e32 v2, vcc, v3, v2, vcc
	global_load_dwordx2 v[3:4], v[1:2], off
	s_add_i32 s29, s28, s23
	s_add_i32 s30, s29, s23
	;; [unrolled: 1-line block ×6, first 2 shown]
	s_mul_i32 s25, s22, 15
	s_mul_i32 s26, s22, 14
	s_lshl_b32 s27, s22, 1
	v_add_u32_e32 v26, s22, v25
	s_add_i32 s36, s35, s23
	v_mov_b32_e32 v2, 0
	s_mov_b64 s[18:19], 0
	v_mov_b32_e32 v28, s7
	v_mov_b32_e32 v27, 0
	s_branch .LBB219_5
.LBB219_3:                              ;   in Loop: Header=BB219_5 Depth=1
	s_or_b64 exec, exec, s[4:5]
	v_fmac_f32_e32 v30, v5, v7
	v_fmac_f32_e32 v29, v6, v7
	v_mul_f32_e64 v1, v31, -v29
	v_mul_f32_e32 v4, v31, v30
	v_fmac_f32_e32 v1, v30, v8
	v_fmac_f32_e32 v4, v29, v8
	v_sub_f32_e32 v3, v9, v1
	v_sub_f32_e32 v4, v10, v4
	v_mov_b32_e32 v8, s22
.LBB219_4:                              ;   in Loop: Header=BB219_5 Depth=1
	s_or_b64 exec, exec, s[2:3]
	v_add_u32_e32 v27, v8, v27
	v_cmp_le_i32_e32 vcc, s23, v27
	s_or_b64 s[18:19], vcc, s[18:19]
	s_andn2_b64 exec, exec, s[18:19]
	s_cbranch_execz .LBB219_20
.LBB219_5:                              ; =>This Inner Loop Header: Depth=1
	v_add_u32_e32 v15, v27, v0
	v_ashrrev_i32_e32 v16, 31, v15
	v_lshlrev_b64 v[5:6], 3, v[15:16]
	v_cmp_gt_u32_e64 s[0:1], s25, v27
	v_add_co_u32_e32 v5, vcc, s6, v5
	v_addc_co_u32_e32 v6, vcc, v28, v6, vcc
	global_load_dwordx2 v[7:8], v[5:6], off
	v_mov_b32_e32 v5, 0
	v_mov_b32_e32 v6, 0
	s_and_saveexec_b64 s[2:3], s[0:1]
	s_cbranch_execz .LBB219_7
; %bb.6:                                ;   in Loop: Header=BB219_5 Depth=1
	v_add_u32_e32 v5, v25, v27
	v_ashrrev_i32_e32 v6, 31, v5
	v_lshlrev_b64 v[5:6], 3, v[5:6]
	v_mov_b32_e32 v1, s13
	v_add_co_u32_e32 v5, vcc, s12, v5
	v_addc_co_u32_e32 v6, vcc, v1, v6, vcc
	global_load_dwordx2 v[5:6], v[5:6], off
.LBB219_7:                              ;   in Loop: Header=BB219_5 Depth=1
	s_or_b64 exec, exec, s[2:3]
	v_mov_b32_e32 v11, 0
	v_mov_b32_e32 v9, 0
	;; [unrolled: 1-line block ×3, first 2 shown]
	s_and_saveexec_b64 s[2:3], s[0:1]
	s_cbranch_execz .LBB219_9
; %bb.8:                                ;   in Loop: Header=BB219_5 Depth=1
	v_add_u32_e32 v9, v25, v27
	v_ashrrev_i32_e32 v10, 31, v9
	v_lshlrev_b64 v[9:10], 3, v[9:10]
	v_mov_b32_e32 v1, s15
	v_add_co_u32_e32 v9, vcc, s14, v9
	v_addc_co_u32_e32 v10, vcc, v1, v10, vcc
	global_load_dwordx2 v[9:10], v[9:10], off
.LBB219_9:                              ;   in Loop: Header=BB219_5 Depth=1
	s_or_b64 exec, exec, s[2:3]
	v_mov_b32_e32 v12, 0
	s_and_saveexec_b64 s[2:3], s[0:1]
	s_cbranch_execz .LBB219_11
; %bb.10:                               ;   in Loop: Header=BB219_5 Depth=1
	v_add_u32_e32 v11, v25, v27
	v_ashrrev_i32_e32 v12, 31, v11
	v_lshlrev_b64 v[11:12], 3, v[11:12]
	v_mov_b32_e32 v1, s7
	v_add_co_u32_e32 v11, vcc, s6, v11
	v_addc_co_u32_e32 v12, vcc, v1, v12, vcc
	global_load_dwordx2 v[11:12], v[11:12], off
.LBB219_11:                             ;   in Loop: Header=BB219_5 Depth=1
	s_or_b64 exec, exec, s[2:3]
	v_cmp_gt_u32_e64 s[2:3], s26, v27
	v_mov_b32_e32 v13, 0
	v_mov_b32_e32 v14, 0
	s_and_saveexec_b64 s[4:5], s[2:3]
	s_cbranch_execz .LBB219_13
; %bb.12:                               ;   in Loop: Header=BB219_5 Depth=1
	v_add_u32_e32 v13, v26, v27
	v_ashrrev_i32_e32 v14, 31, v13
	v_lshlrev_b64 v[13:14], 3, v[13:14]
	v_mov_b32_e32 v1, s13
	v_add_co_u32_e32 v13, vcc, s12, v13
	v_addc_co_u32_e32 v14, vcc, v1, v14, vcc
	global_load_dwordx2 v[13:14], v[13:14], off
.LBB219_13:                             ;   in Loop: Header=BB219_5 Depth=1
	s_or_b64 exec, exec, s[4:5]
	v_lshlrev_b64 v[16:17], 2, v[15:16]
	v_mov_b32_e32 v1, s17
	v_add_co_u32_e32 v16, vcc, s16, v16
	v_addc_co_u32_e32 v17, vcc, v1, v17, vcc
	global_load_dword v20, v[16:17], off
	v_cmp_ne_u32_e32 vcc, s25, v27
	s_waitcnt vmcnt(1)
	v_mul_f32_e64 v30, v8, -v6
	v_mul_f32_e32 v29, v5, v8
	v_add_u32_e32 v1, s28, v15
	v_add_u32_e32 v23, s29, v15
	;; [unrolled: 1-line block ×8, first 2 shown]
	s_waitcnt vmcnt(0)
	v_cmp_ne_u32_e64 s[4:5], 1, v20
	s_and_b64 s[4:5], vcc, s[4:5]
	s_and_saveexec_b64 s[20:21], s[4:5]
	s_xor_b64 s[4:5], exec, s[20:21]
	s_cbranch_execz .LBB219_17
; %bb.14:                               ;   in Loop: Header=BB219_5 Depth=1
	v_mul_f32_e32 v22, v3, v10
	v_mul_f32_e64 v20, v10, -v4
	v_fmac_f32_e32 v22, v4, v9
	v_fmac_f32_e32 v29, v6, v7
	;; [unrolled: 1-line block ×4, first 2 shown]
	v_sub_f32_e32 v33, v22, v29
	v_sub_f32_e32 v20, v20, v30
	v_mul_f32_e32 v35, v33, v33
	v_fmac_f32_e32 v35, v20, v20
	v_div_scale_f32 v31, s[20:21], v35, v35, 1.0
	v_div_scale_f32 v32, vcc, 1.0, v35, 1.0
	v_lshlrev_b64 v[29:30], 3, v[1:2]
	v_mov_b32_e32 v24, v2
	v_mov_b32_e32 v1, s9
	v_lshlrev_b64 v[23:24], 3, v[23:24]
	v_mov_b32_e32 v36, s9
	v_mov_b32_e32 v22, v2
	;; [unrolled: 1-line block ×3, first 2 shown]
	v_rcp_f32_e32 v34, v31
	v_fma_f32 v37, -v31, v34, 1.0
	v_fmac_f32_e32 v34, v37, v34
	v_mul_f32_e32 v37, v32, v34
	v_fma_f32 v38, -v31, v37, v32
	v_fmac_f32_e32 v37, v38, v34
	v_fma_f32 v31, -v31, v37, v32
	v_div_fmas_f32 v39, v31, v34, v37
	v_add_co_u32_e32 v29, vcc, s8, v29
	v_addc_co_u32_e32 v30, vcc, v1, v30, vcc
	v_add_co_u32_e32 v23, vcc, s8, v23
	v_fma_f32 v1, 0, v33, v20
	v_fma_f32 v20, v20, 0, -v33
	v_addc_co_u32_e32 v24, vcc, v36, v24, vcc
	global_load_dwordx2 v[33:34], v[29:30], off
	global_load_dwordx2 v[37:38], v[23:24], off
	v_lshlrev_b64 v[31:32], 3, v[21:22]
	v_add_co_u32_e32 v31, vcc, s8, v31
	v_div_fixup_f32 v22, v39, v35, 1.0
	v_mul_f32_e32 v21, v1, v22
	v_mul_f32_e32 v22, v20, v22
	v_mov_b32_e32 v20, v2
	v_lshlrev_b64 v[19:20], 3, v[19:20]
	v_addc_co_u32_e32 v32, vcc, v40, v32, vcc
	v_add_co_u32_e32 v42, vcc, s8, v19
	v_mov_b32_e32 v19, v2
	v_mov_b32_e32 v1, s9
	v_lshlrev_b64 v[18:19], 3, v[18:19]
	v_addc_co_u32_e32 v43, vcc, v1, v20, vcc
	v_add_co_u32_e32 v53, vcc, s8, v18
	v_add_u32_e32 v39, v25, v27
	v_addc_co_u32_e32 v54, vcc, v1, v19, vcc
	v_add_u32_e32 v1, s28, v39
	v_lshlrev_b64 v[19:20], 3, v[1:2]
	v_mov_b32_e32 v18, v2
	v_mov_b32_e32 v1, s9
	v_add_co_u32_e32 v55, vcc, s8, v19
	v_lshlrev_b64 v[17:18], 3, v[17:18]
	v_addc_co_u32_e32 v56, vcc, v1, v20, vcc
	v_add_co_u32_e32 v57, vcc, s8, v17
	v_mov_b32_e32 v17, v2
	v_lshlrev_b64 v[16:17], 3, v[16:17]
	v_addc_co_u32_e32 v58, vcc, v1, v18, vcc
	v_add_co_u32_e32 v59, vcc, s8, v16
	v_addc_co_u32_e32 v60, vcc, v1, v17, vcc
	v_add_u32_e32 v1, s29, v39
	v_lshlrev_b64 v[17:18], 3, v[1:2]
	v_mov_b32_e32 v16, v2
	v_lshlrev_b64 v[15:16], 3, v[15:16]
	v_mov_b32_e32 v1, s9
	v_add_co_u32_e32 v61, vcc, s8, v17
	v_addc_co_u32_e32 v62, vcc, v1, v18, vcc
	v_mov_b32_e32 v35, s9
	v_add_co_u32_e32 v63, vcc, s8, v15
	v_add_u32_e32 v1, s30, v39
	v_addc_co_u32_e32 v64, vcc, v35, v16, vcc
	v_lshlrev_b64 v[15:16], 3, v[1:2]
	v_mov_b32_e32 v1, s9
	v_add_co_u32_e32 v65, vcc, s8, v15
	global_load_dwordx2 v[19:20], v[55:56], off
	global_load_dwordx2 v[46:47], v[31:32], off
	;; [unrolled: 1-line block ×3, first 2 shown]
	v_addc_co_u32_e32 v66, vcc, v1, v16, vcc
	v_add_u32_e32 v1, s31, v39
	v_lshlrev_b64 v[15:16], 3, v[1:2]
	global_load_dwordx2 v[17:18], v[61:62], off
	v_mov_b32_e32 v1, s9
	v_add_co_u32_e32 v67, vcc, s8, v15
	v_addc_co_u32_e32 v68, vcc, v1, v16, vcc
	v_add_u32_e32 v1, s33, v39
	v_lshlrev_b64 v[35:36], 3, v[1:2]
	global_load_dwordx2 v[15:16], v[65:66], off
	global_load_dwordx2 v[75:76], v[67:68], off
	v_mov_b32_e32 v1, s9
	v_add_co_u32_e32 v69, vcc, s8, v35
	v_addc_co_u32_e32 v70, vcc, v1, v36, vcc
	v_add_u32_e32 v1, s34, v39
	v_lshlrev_b64 v[35:36], 3, v[1:2]
	v_mov_b32_e32 v1, s9
	v_add_co_u32_e32 v71, vcc, s8, v35
	v_addc_co_u32_e32 v72, vcc, v1, v36, vcc
	v_add_u32_e32 v1, s35, v39
	v_lshlrev_b64 v[35:36], 3, v[1:2]
	s_waitcnt vmcnt(7)
	v_mul_f32_e64 v45, v22, -v34
	v_mul_f32_e32 v48, v22, v33
	v_mov_b32_e32 v1, s9
	v_add_co_u32_e32 v77, vcc, s8, v35
	v_fmac_f32_e32 v45, v33, v21
	v_fmac_f32_e32 v48, v34, v21
	global_load_dwordx2 v[33:34], v[53:54], off
	global_load_dwordx2 v[81:82], v[69:70], off
	v_addc_co_u32_e32 v78, vcc, v1, v36, vcc
	v_add_u32_e32 v1, s36, v39
	v_lshlrev_b64 v[35:36], 3, v[1:2]
	v_mov_b32_e32 v1, s9
	v_add_co_u32_e32 v79, vcc, s8, v35
	v_addc_co_u32_e32 v80, vcc, v1, v36, vcc
	global_load_dwordx2 v[83:84], v[57:58], off
	global_load_dwordx2 v[85:86], v[59:60], off
	;; [unrolled: 1-line block ×6, first 2 shown]
	v_mul_f32_e64 v1, v48, -v10
	v_fmac_f32_e32 v1, v9, v45
	s_waitcnt vmcnt(14)
	v_mul_f32_e32 v39, v22, v37
	v_mul_f32_e64 v36, v22, -v38
	v_fmac_f32_e32 v39, v38, v21
	v_fmac_f32_e32 v36, v37, v21
	s_waitcnt vmcnt(13)
	v_mul_f32_e32 v52, v22, v19
	v_mul_f32_e64 v51, v22, -v20
	v_fmac_f32_e32 v52, v20, v21
	v_fmac_f32_e32 v51, v19, v21
	v_mul_f32_e32 v20, v9, v48
	v_mul_f32_e64 v19, v52, -v8
	v_mul_f32_e32 v35, v52, v7
	v_fmac_f32_e32 v20, v10, v45
	v_fmac_f32_e32 v19, v7, v51
	;; [unrolled: 1-line block ×3, first 2 shown]
	s_waitcnt vmcnt(10)
	v_mul_f32_e32 v41, v22, v17
	v_sub_f32_e32 v19, v1, v19
	v_sub_f32_e32 v20, v20, v35
	v_mul_f32_e64 v38, v22, -v18
	v_fmac_f32_e32 v41, v18, v21
	global_store_dwordx2 v[29:30], v[19:20], off
	v_fmac_f32_e32 v38, v17, v21
	v_mul_f32_e64 v1, v39, -v10
	v_mul_f32_e32 v18, v9, v39
	v_mul_f32_e64 v17, v41, -v8
	v_mul_f32_e32 v19, v41, v7
	v_fmac_f32_e32 v1, v9, v36
	v_fmac_f32_e32 v18, v10, v36
	;; [unrolled: 1-line block ×4, first 2 shown]
	v_mul_f32_e32 v49, v22, v46
	s_waitcnt vmcnt(10)
	v_mul_f32_e32 v50, v22, v15
	v_sub_f32_e32 v17, v1, v17
	v_sub_f32_e32 v18, v18, v19
	v_mul_f32_e64 v44, v22, -v47
	v_fmac_f32_e32 v49, v47, v21
	v_mul_f32_e64 v47, v22, -v16
	v_fmac_f32_e32 v50, v16, v21
	global_store_dwordx2 v[23:24], v[17:18], off
	v_fmac_f32_e32 v44, v46, v21
	v_fmac_f32_e32 v47, v15, v21
	v_mul_f32_e64 v1, v49, -v10
	v_mul_f32_e32 v16, v9, v49
	v_mul_f32_e64 v15, v50, -v8
	v_mul_f32_e32 v17, v50, v7
	v_fmac_f32_e32 v1, v9, v44
	v_fmac_f32_e32 v16, v10, v44
	;; [unrolled: 1-line block ×4, first 2 shown]
	v_sub_f32_e32 v15, v1, v15
	v_sub_f32_e32 v16, v16, v17
	v_mul_f32_e32 v35, v22, v73
	s_waitcnt vmcnt(10)
	v_mul_f32_e32 v37, v22, v75
	global_store_dwordx2 v[31:32], v[15:16], off
	v_mul_f32_e64 v30, v22, -v74
	v_fmac_f32_e32 v35, v74, v21
	v_mul_f32_e64 v32, v22, -v76
	v_fmac_f32_e32 v37, v76, v21
	v_fmac_f32_e32 v30, v73, v21
	;; [unrolled: 1-line block ×3, first 2 shown]
	v_mul_f32_e64 v1, v35, -v10
	v_mul_f32_e32 v16, v9, v35
	v_mul_f32_e64 v15, v37, -v8
	v_mul_f32_e32 v17, v37, v7
	v_fmac_f32_e32 v1, v9, v30
	v_fmac_f32_e32 v16, v10, v30
	v_fmac_f32_e32 v15, v7, v32
	v_fmac_f32_e32 v17, v8, v32
	v_sub_f32_e32 v15, v1, v15
	v_sub_f32_e32 v16, v16, v17
	global_store_dwordx2 v[42:43], v[15:16], off
	s_waitcnt vmcnt(11)
	v_mul_f32_e32 v43, v22, v33
	s_waitcnt vmcnt(10)
	v_mul_f32_e32 v46, v22, v81
	v_mul_f32_e64 v40, v22, -v34
	v_fmac_f32_e32 v43, v34, v21
	v_mul_f32_e64 v42, v22, -v82
	v_fmac_f32_e32 v46, v82, v21
	v_fmac_f32_e32 v40, v33, v21
	;; [unrolled: 1-line block ×3, first 2 shown]
	v_mul_f32_e64 v1, v43, -v10
	v_mul_f32_e32 v16, v9, v43
	v_mul_f32_e64 v15, v46, -v8
	v_mul_f32_e32 v17, v46, v7
	v_fmac_f32_e32 v1, v9, v40
	v_fmac_f32_e32 v16, v10, v40
	;; [unrolled: 1-line block ×4, first 2 shown]
	s_waitcnt vmcnt(9)
	v_mul_f32_e32 v33, v22, v83
	s_waitcnt vmcnt(6)
	v_mul_f32_e32 v34, v22, v89
	v_sub_f32_e32 v15, v1, v15
	v_sub_f32_e32 v16, v16, v17
	v_mul_f32_e64 v29, v22, -v84
	v_fmac_f32_e32 v33, v84, v21
	v_mul_f32_e64 v31, v22, -v90
	v_fmac_f32_e32 v34, v90, v21
	global_store_dwordx2 v[53:54], v[15:16], off
	v_fmac_f32_e32 v29, v83, v21
	v_fmac_f32_e32 v31, v89, v21
	v_mul_f32_e64 v1, v33, -v10
	v_mul_f32_e32 v16, v9, v33
	v_mul_f32_e64 v15, v34, -v8
	v_mul_f32_e32 v17, v34, v7
	v_fmac_f32_e32 v1, v9, v29
	v_fmac_f32_e32 v16, v10, v29
	;; [unrolled: 1-line block ×4, first 2 shown]
	v_mul_f32_e32 v23, v22, v85
	s_waitcnt vmcnt(6)
	v_mul_f32_e32 v24, v22, v91
	v_sub_f32_e32 v15, v1, v15
	v_sub_f32_e32 v16, v16, v17
	v_mul_f32_e64 v17, v22, -v86
	v_fmac_f32_e32 v23, v86, v21
	v_mul_f32_e64 v19, v22, -v92
	v_fmac_f32_e32 v24, v92, v21
	global_store_dwordx2 v[57:58], v[15:16], off
	v_fmac_f32_e32 v17, v85, v21
	v_fmac_f32_e32 v19, v91, v21
	v_mul_f32_e64 v1, v23, -v10
	v_mul_f32_e32 v16, v9, v23
	v_mul_f32_e64 v15, v24, -v8
	v_mul_f32_e32 v18, v24, v7
	v_fmac_f32_e32 v1, v9, v17
	v_fmac_f32_e32 v16, v10, v17
	;; [unrolled: 1-line block ×4, first 2 shown]
	v_sub_f32_e32 v15, v1, v15
	v_sub_f32_e32 v16, v16, v18
	v_mul_f32_e32 v18, v22, v87
	global_store_dwordx2 v[59:60], v[15:16], off
	v_mul_f32_e64 v15, v22, -v88
	v_fmac_f32_e32 v18, v88, v21
	v_fmac_f32_e32 v15, v87, v21
	s_waitcnt vmcnt(7)
	v_mul_f32_e32 v20, v22, v93
	v_mul_f32_e64 v1, v18, -v10
	v_mul_f32_e64 v16, v22, -v94
	v_fmac_f32_e32 v20, v94, v21
	v_fmac_f32_e32 v1, v9, v15
	v_mul_f32_e32 v9, v9, v18
	v_fmac_f32_e32 v16, v93, v21
	v_fmac_f32_e32 v9, v10, v15
	v_mul_f32_e64 v10, v20, -v8
	v_mul_f32_e32 v53, v20, v7
	v_fmac_f32_e32 v10, v7, v16
	v_fmac_f32_e32 v53, v8, v16
	v_sub_f32_e32 v7, v1, v10
	v_sub_f32_e32 v8, v9, v53
	global_store_dwordx2 v[63:64], v[7:8], off
	v_mul_f32_e64 v7, v48, -v5
	v_mul_f32_e32 v1, v6, v48
	v_fma_f32 v8, -v6, v45, v7
	v_mul_f32_e64 v7, v52, -v4
	v_mul_f32_e32 v9, v3, v52
	v_fma_f32 v1, -v5, v45, v1
	v_fmac_f32_e32 v7, v3, v51
	v_fmac_f32_e32 v9, v4, v51
	v_add_f32_e32 v7, v1, v7
	v_add_f32_e32 v8, v8, v9
	global_store_dwordx2 v[55:56], v[7:8], off
	v_mul_f32_e64 v7, v39, -v5
	v_mul_f32_e32 v1, v6, v39
	v_fma_f32 v8, -v6, v36, v7
	v_mul_f32_e64 v7, v41, -v4
	v_mul_f32_e32 v9, v3, v41
	v_fma_f32 v1, -v5, v36, v1
	v_fmac_f32_e32 v7, v3, v38
	v_fmac_f32_e32 v9, v4, v38
	v_add_f32_e32 v7, v1, v7
	v_add_f32_e32 v8, v8, v9
	global_store_dwordx2 v[61:62], v[7:8], off
	v_mul_f32_e32 v7, v6, v49
	v_mul_f32_e64 v8, v49, -v5
	v_mul_f32_e64 v9, v50, -v4
	v_mul_f32_e32 v10, v3, v50
	v_fma_f32 v7, -v5, v44, v7
	v_fma_f32 v8, -v6, v44, v8
	v_fmac_f32_e32 v9, v3, v47
	v_fmac_f32_e32 v10, v4, v47
	v_add_f32_e32 v7, v7, v9
	v_add_f32_e32 v8, v8, v10
	global_store_dwordx2 v[65:66], v[7:8], off
	v_mul_f32_e32 v7, v6, v35
	v_mul_f32_e64 v8, v35, -v5
	v_mul_f32_e64 v9, v37, -v4
	v_mul_f32_e32 v10, v3, v37
	v_fma_f32 v7, -v5, v30, v7
	;; [unrolled: 11-line block ×6, first 2 shown]
	v_fma_f32 v8, -v6, v15, v8
	v_fmac_f32_e32 v9, v3, v16
	v_fmac_f32_e32 v10, v4, v16
	v_add_f32_e32 v7, v7, v9
	v_add_f32_e32 v8, v8, v10
	v_mov_b32_e32 v1, 0
	global_store_dwordx2 v[79:80], v[7:8], off
	v_mov_b32_e32 v7, 0
	s_and_saveexec_b64 s[20:21], s[2:3]
	s_cbranch_execz .LBB219_16
; %bb.15:                               ;   in Loop: Header=BB219_5 Depth=1
	v_add_u32_e32 v7, v26, v27
	v_add_u32_e32 v1, s28, v7
	v_lshlrev_b64 v[8:9], 3, v[1:2]
	v_mov_b32_e32 v1, s9
	v_add_co_u32_e32 v8, vcc, s8, v8
	v_addc_co_u32_e32 v9, vcc, v1, v9, vcc
	global_load_dwordx2 v[53:54], v[8:9], off
	v_mul_f32_e32 v1, v6, v14
	v_mul_f32_e64 v10, v14, -v5
	v_mul_f32_e64 v57, v14, -v4
	v_mul_f32_e32 v58, v3, v14
	v_fma_f32 v60, -v5, v13, v1
	v_fma_f32 v10, -v6, v13, v10
	v_fmac_f32_e32 v57, v3, v13
	v_fmac_f32_e32 v58, v4, v13
	v_mul_f32_e32 v5, v10, v48
	v_mul_f32_e64 v6, v48, -v60
	v_add_u32_e32 v1, s29, v7
	v_mul_f32_e64 v48, v52, -v58
	v_mul_f32_e32 v52, v57, v52
	v_fma_f32 v56, -v60, v45, v5
	v_fma_f32 v45, -v10, v45, v6
	v_lshlrev_b64 v[5:6], 3, v[1:2]
	v_fmac_f32_e32 v52, v58, v51
	v_add_u32_e32 v1, s30, v7
	v_mov_b32_e32 v55, s9
	v_fmac_f32_e32 v48, v57, v51
	v_sub_f32_e32 v45, v45, v52
	v_lshlrev_b64 v[51:52], 3, v[1:2]
	v_add_co_u32_e32 v5, vcc, s8, v5
	v_sub_f32_e32 v48, v56, v48
	v_addc_co_u32_e32 v6, vcc, v55, v6, vcc
	v_mov_b32_e32 v59, s9
	global_load_dwordx2 v[55:56], v[5:6], off
	v_add_co_u32_e32 v51, vcc, s8, v51
	v_addc_co_u32_e32 v52, vcc, v59, v52, vcc
	v_mul_f32_e32 v1, v10, v39
	v_mul_f32_e64 v39, v39, -v60
	v_mul_f32_e64 v59, v50, -v58
	v_mul_f32_e32 v50, v57, v50
	v_fma_f32 v1, -v60, v36, v1
	v_fma_f32 v36, -v10, v36, v39
	v_fmac_f32_e32 v59, v57, v47
	v_fmac_f32_e32 v50, v58, v47
	s_waitcnt vmcnt(1)
	v_add_f32_e32 v53, v48, v53
	v_add_f32_e32 v54, v45, v54
	global_store_dwordx2 v[8:9], v[53:54], off
	global_load_dwordx2 v[8:9], v[51:52], off
	v_mul_f32_e64 v45, v41, -v58
	v_mul_f32_e32 v41, v57, v41
	v_mul_f32_e32 v54, v10, v49
	v_mul_f32_e64 v49, v49, -v60
	v_fmac_f32_e32 v45, v57, v38
	v_fmac_f32_e32 v41, v58, v38
	v_fma_f32 v38, -v60, v44, v54
	v_fma_f32 v39, -v10, v44, v49
	v_sub_f32_e32 v47, v1, v45
	v_add_u32_e32 v1, s31, v7
	v_sub_f32_e32 v36, v36, v41
	v_sub_f32_e32 v41, v38, v59
	;; [unrolled: 1-line block ×3, first 2 shown]
	v_lshlrev_b64 v[38:39], 3, v[1:2]
	v_add_u32_e32 v1, s33, v7
	v_mov_b32_e32 v48, s9
	v_lshlrev_b64 v[44:45], 3, v[1:2]
	v_add_co_u32_e32 v38, vcc, s8, v38
	v_addc_co_u32_e32 v39, vcc, v48, v39, vcc
	v_mov_b32_e32 v53, s9
	v_add_co_u32_e32 v44, vcc, s8, v44
	v_addc_co_u32_e32 v45, vcc, v53, v45, vcc
	s_waitcnt vmcnt(2)
	v_add_f32_e32 v47, v47, v55
	v_add_f32_e32 v48, v36, v56
	global_store_dwordx2 v[5:6], v[47:48], off
	global_load_dwordx2 v[5:6], v[38:39], off
	v_mul_f32_e32 v1, v10, v35
	v_mul_f32_e64 v36, v37, -v58
	v_mul_f32_e64 v35, v35, -v60
	v_mul_f32_e32 v37, v57, v37
	v_mul_f32_e32 v47, v10, v43
	v_mul_f32_e64 v43, v43, -v60
	v_mul_f32_e64 v48, v46, -v58
	v_mul_f32_e32 v46, v57, v46
	v_fma_f32 v1, -v60, v30, v1
	v_fmac_f32_e32 v36, v57, v32
	v_fma_f32 v30, -v10, v30, v35
	v_fmac_f32_e32 v37, v58, v32
	v_fma_f32 v32, -v60, v40, v47
	v_fma_f32 v35, -v10, v40, v43
	v_fmac_f32_e32 v46, v58, v42
	v_sub_f32_e32 v40, v1, v36
	v_add_u32_e32 v1, s34, v7
	v_fmac_f32_e32 v48, v57, v42
	v_sub_f32_e32 v30, v30, v37
	v_sub_f32_e32 v37, v35, v46
	v_lshlrev_b64 v[35:36], 3, v[1:2]
	v_sub_f32_e32 v32, v32, v48
	v_add_co_u32_e32 v35, vcc, s8, v35
	v_mul_f32_e32 v1, v10, v33
	v_fma_f32 v1, -v60, v29, v1
	s_waitcnt vmcnt(2)
	v_add_f32_e32 v8, v41, v8
	v_add_f32_e32 v9, v49, v9
	global_store_dwordx2 v[51:52], v[8:9], off
	global_load_dwordx2 v[8:9], v[44:45], off
	v_mov_b32_e32 v41, s9
	v_addc_co_u32_e32 v36, vcc, v41, v36, vcc
	s_waitcnt vmcnt(2)
	v_add_f32_e32 v5, v40, v5
	v_add_f32_e32 v6, v30, v6
	global_store_dwordx2 v[38:39], v[5:6], off
	v_mov_b32_e32 v30, s9
	s_waitcnt vmcnt(1)
	v_add_f32_e32 v5, v32, v8
	v_add_f32_e32 v6, v37, v9
	global_store_dwordx2 v[44:45], v[5:6], off
	global_load_dwordx2 v[5:6], v[35:36], off
	v_mul_f32_e64 v9, v34, -v58
	v_mul_f32_e64 v8, v33, -v60
	v_mul_f32_e32 v32, v57, v34
	v_fmac_f32_e32 v9, v57, v31
	v_fma_f32 v8, -v10, v29, v8
	v_fmac_f32_e32 v32, v58, v31
	v_sub_f32_e32 v31, v1, v9
	v_add_u32_e32 v1, s35, v7
	v_sub_f32_e32 v32, v8, v32
	v_lshlrev_b64 v[8:9], 3, v[1:2]
	v_mov_b32_e32 v1, s15
	v_add_co_u32_e32 v29, vcc, s8, v8
	v_addc_co_u32_e32 v30, vcc, v30, v9, vcc
	v_ashrrev_i32_e32 v8, 31, v7
	v_lshlrev_b64 v[8:9], 3, v[7:8]
	v_mul_f32_e64 v33, v24, -v58
	v_mul_f32_e32 v24, v57, v24
	v_add_co_u32_e32 v8, vcc, s14, v8
	v_fmac_f32_e32 v24, v58, v19
	v_addc_co_u32_e32 v9, vcc, v1, v9, vcc
	v_add_u32_e32 v1, s36, v7
	v_fmac_f32_e32 v33, v57, v19
	global_load_dwordx2 v[8:9], v[8:9], off
	v_mul_f32_e64 v7, v18, -v60
	v_fma_f32 v7, -v10, v15, v7
	s_waitcnt vmcnt(1)
	v_add_f32_e32 v5, v31, v5
	v_add_f32_e32 v6, v32, v6
	global_store_dwordx2 v[35:36], v[5:6], off
	global_load_dwordx2 v[5:6], v[29:30], off
	v_mul_f32_e32 v32, v10, v23
	v_mul_f32_e64 v23, v23, -v60
	v_fma_f32 v32, -v60, v17, v32
	v_fma_f32 v17, -v10, v17, v23
	v_sub_f32_e32 v17, v17, v24
	v_lshlrev_b64 v[23:24], 3, v[1:2]
	v_sub_f32_e32 v19, v32, v33
	v_mov_b32_e32 v31, s9
	v_add_co_u32_e32 v23, vcc, s8, v23
	v_addc_co_u32_e32 v24, vcc, v31, v24, vcc
	v_mul_f32_e64 v1, v4, -v14
	v_mul_f32_e32 v4, v4, v13
	v_fmac_f32_e32 v1, v13, v3
	v_fmac_f32_e32 v4, v14, v3
	v_mul_f32_e32 v3, v10, v18
	v_mul_f32_e64 v13, v20, -v58
	v_mul_f32_e32 v14, v57, v20
	v_fma_f32 v3, -v60, v15, v3
	v_fmac_f32_e32 v13, v57, v16
	v_fmac_f32_e32 v14, v58, v16
	s_waitcnt vmcnt(0)
	v_add_f32_e32 v5, v19, v5
	v_add_f32_e32 v6, v17, v6
	global_store_dwordx2 v[29:30], v[5:6], off
	global_load_dwordx2 v[5:6], v[23:24], off
	v_mul_f32_e64 v17, v12, -v4
	v_mul_f32_e32 v12, v12, v1
	v_fmac_f32_e32 v17, v1, v11
	v_fmac_f32_e32 v12, v4, v11
	v_sub_f32_e32 v1, v3, v13
	v_mul_f32_e64 v3, v22, -v12
	v_mul_f32_e32 v10, v22, v17
	v_sub_f32_e32 v4, v7, v14
	v_fmac_f32_e32 v3, v17, v21
	v_fmac_f32_e32 v10, v12, v21
	v_sub_f32_e32 v7, v8, v3
	s_waitcnt vmcnt(0)
	v_add_f32_e32 v3, v1, v5
	v_add_f32_e32 v4, v4, v6
	v_sub_f32_e32 v1, v9, v10
	global_store_dwordx2 v[23:24], v[3:4], off
.LBB219_16:                             ;   in Loop: Header=BB219_5 Depth=1
	s_or_b64 exec, exec, s[20:21]
	v_mov_b32_e32 v4, v1
	v_mov_b32_e32 v3, v7
                                        ; implicit-def: $vgpr7_vgpr8
                                        ; implicit-def: $vgpr5
                                        ; implicit-def: $vgpr9
                                        ; implicit-def: $vgpr30
                                        ; implicit-def: $vgpr29
                                        ; implicit-def: $vgpr23
                                        ; implicit-def: $vgpr21
                                        ; implicit-def: $vgpr19
                                        ; implicit-def: $vgpr18
                                        ; implicit-def: $vgpr17
                                        ; implicit-def: $vgpr16
                                        ; implicit-def: $vgpr15
.LBB219_17:                             ;   in Loop: Header=BB219_5 Depth=1
	s_or_saveexec_b64 s[2:3], s[4:5]
	v_mov_b32_e32 v8, s27
	s_xor_b64 exec, exec, s[2:3]
	s_cbranch_execz .LBB219_4
; %bb.18:                               ;   in Loop: Header=BB219_5 Depth=1
	v_lshlrev_b64 v[11:12], 3, v[1:2]
	v_mov_b32_e32 v24, v2
	v_mov_b32_e32 v1, s9
	v_lshlrev_b64 v[13:14], 3, v[23:24]
	v_add_co_u32_e32 v32, vcc, s8, v11
	v_mov_b32_e32 v22, v2
	v_addc_co_u32_e32 v33, vcc, v1, v12, vcc
	v_mov_b32_e32 v8, s9
	v_lshlrev_b64 v[21:22], 3, v[21:22]
	v_add_co_u32_e32 v34, vcc, s8, v13
	v_mov_b32_e32 v20, v2
	v_addc_co_u32_e32 v35, vcc, v8, v14, vcc
	v_mov_b32_e32 v31, s9
	v_lshlrev_b64 v[19:20], 3, v[19:20]
	v_add_co_u32_e32 v36, vcc, s8, v21
	v_addc_co_u32_e32 v37, vcc, v31, v22, vcc
	v_add_co_u32_e32 v38, vcc, s8, v19
	v_mov_b32_e32 v19, v2
	v_mov_b32_e32 v39, s9
	v_lshlrev_b64 v[13:14], 3, v[18:19]
	v_addc_co_u32_e32 v39, vcc, v39, v20, vcc
	v_add_co_u32_e32 v40, vcc, s8, v13
	v_mov_b32_e32 v18, v2
	v_addc_co_u32_e32 v41, vcc, v1, v14, vcc
	v_lshlrev_b64 v[13:14], 3, v[17:18]
	v_mov_b32_e32 v17, v2
	v_add_co_u32_e32 v44, vcc, s8, v13
	v_addc_co_u32_e32 v45, vcc, v1, v14, vcc
	v_lshlrev_b64 v[13:14], 3, v[16:17]
	v_mov_b32_e32 v16, v2
	v_add_co_u32_e32 v50, vcc, s8, v13
	v_addc_co_u32_e32 v51, vcc, v1, v14, vcc
	v_lshlrev_b64 v[13:14], 3, v[15:16]
	global_load_dwordx2 v[11:12], v[32:33], off
	v_add_co_u32_e32 v56, vcc, s8, v13
	v_addc_co_u32_e32 v57, vcc, v1, v14, vcc
	global_load_dwordx2 v[18:19], v[34:35], off
	global_load_dwordx2 v[42:43], v[36:37], off
	;; [unrolled: 1-line block ×7, first 2 shown]
	v_mul_f32_e32 v1, v4, v4
	v_fmac_f32_e32 v1, v3, v3
	v_div_scale_f32 v8, s[4:5], v1, v1, 1.0
	v_div_scale_f32 v13, vcc, 1.0, v1, 1.0
	v_rcp_f32_e32 v14, v8
	v_fma_f32 v15, -v8, v14, 1.0
	v_fmac_f32_e32 v14, v15, v14
	v_mul_f32_e32 v15, v13, v14
	v_fma_f32 v16, -v8, v15, v13
	v_fmac_f32_e32 v15, v16, v14
	v_fma_f32 v8, -v8, v15, v13
	v_div_fmas_f32 v8, v8, v14, v15
	v_fma_f32 v13, 0, v4, v3
	v_fma_f32 v3, v3, 0, -v4
	v_div_fixup_f32 v1, v8, v1, 1.0
	v_mul_f32_e32 v31, v3, v1
	v_mul_f32_e32 v8, v13, v1
	s_waitcnt vmcnt(7)
	v_mul_f32_e64 v23, v31, -v12
	v_mul_f32_e32 v24, v31, v11
	v_fmac_f32_e32 v23, v11, v8
	v_fmac_f32_e32 v24, v12, v8
	s_waitcnt vmcnt(6)
	v_mul_f32_e64 v21, v31, -v19
	v_mul_f32_e32 v22, v31, v18
	v_fmac_f32_e32 v21, v18, v8
	v_fmac_f32_e32 v22, v19, v8
	s_waitcnt vmcnt(5)
	v_mul_f32_e64 v19, v31, -v43
	v_mul_f32_e32 v20, v31, v42
	s_waitcnt vmcnt(4)
	v_mul_f32_e64 v17, v31, -v47
	v_mul_f32_e32 v18, v31, v46
	;; [unrolled: 3-line block ×6, first 2 shown]
	v_fmac_f32_e32 v19, v42, v8
	v_fmac_f32_e32 v20, v43, v8
	;; [unrolled: 1-line block ×12, first 2 shown]
	global_store_dwordx2 v[32:33], v[23:24], off
	global_store_dwordx2 v[34:35], v[21:22], off
	;; [unrolled: 1-line block ×8, first 2 shown]
	s_and_saveexec_b64 s[4:5], s[0:1]
	s_cbranch_execz .LBB219_3
; %bb.19:                               ;   in Loop: Header=BB219_5 Depth=1
	v_add_u32_e32 v42, v25, v27
	v_add_u32_e32 v1, s28, v42
	v_lshlrev_b64 v[32:33], 3, v[1:2]
	v_mov_b32_e32 v1, s9
	v_add_co_u32_e32 v32, vcc, s8, v32
	v_addc_co_u32_e32 v33, vcc, v1, v33, vcc
	global_load_dwordx2 v[34:35], v[32:33], off
	v_add_u32_e32 v1, s29, v42
	v_lshlrev_b64 v[36:37], 3, v[1:2]
	v_mov_b32_e32 v40, s9
	v_add_u32_e32 v1, s30, v42
	v_add_co_u32_e32 v36, vcc, s8, v36
	v_lshlrev_b64 v[38:39], 3, v[1:2]
	v_addc_co_u32_e32 v37, vcc, v40, v37, vcc
	global_load_dwordx2 v[40:41], v[36:37], off
	v_mov_b32_e32 v43, s9
	v_add_co_u32_e32 v38, vcc, s8, v38
	v_addc_co_u32_e32 v39, vcc, v43, v39, vcc
	v_mov_b32_e32 v44, s9
	s_waitcnt vmcnt(1)
	v_fma_f32 v34, -v5, v23, v34
	v_fma_f32 v1, -v6, v23, v35
	v_fmac_f32_e32 v34, v6, v24
	v_fma_f32 v35, -v5, v24, v1
	global_store_dwordx2 v[32:33], v[34:35], off
	global_load_dwordx2 v[23:24], v[38:39], off
	v_add_u32_e32 v1, s31, v42
	v_lshlrev_b64 v[32:33], 3, v[1:2]
	v_add_u32_e32 v1, s33, v42
	v_lshlrev_b64 v[34:35], 3, v[1:2]
	v_add_co_u32_e32 v32, vcc, s8, v32
	s_waitcnt vmcnt(2)
	v_fma_f32 v40, -v5, v21, v40
	v_fma_f32 v1, -v6, v21, v41
	v_addc_co_u32_e32 v33, vcc, v43, v33, vcc
	v_fmac_f32_e32 v40, v6, v22
	v_fma_f32 v41, -v5, v22, v1
	v_add_co_u32_e32 v34, vcc, s8, v34
	global_store_dwordx2 v[36:37], v[40:41], off
	v_addc_co_u32_e32 v35, vcc, v44, v35, vcc
	global_load_dwordx2 v[21:22], v[32:33], off
	v_mov_b32_e32 v36, s9
	s_waitcnt vmcnt(2)
	v_fma_f32 v23, -v5, v19, v23
	v_fma_f32 v1, -v6, v19, v24
	v_fmac_f32_e32 v23, v6, v20
	v_fma_f32 v24, -v5, v20, v1
	global_store_dwordx2 v[38:39], v[23:24], off
	global_load_dwordx2 v[19:20], v[34:35], off
	v_add_u32_e32 v1, s34, v42
	v_lshlrev_b64 v[23:24], 3, v[1:2]
	v_add_co_u32_e32 v23, vcc, s8, v23
	v_addc_co_u32_e32 v24, vcc, v36, v24, vcc
	s_waitcnt vmcnt(2)
	v_fma_f32 v1, -v6, v17, v22
	v_fma_f32 v21, -v5, v17, v21
	;; [unrolled: 1-line block ×3, first 2 shown]
	v_fmac_f32_e32 v21, v6, v18
	global_store_dwordx2 v[32:33], v[21:22], off
	s_waitcnt vmcnt(1)
	v_fma_f32 v17, -v5, v15, v19
	v_fma_f32 v1, -v6, v15, v20
	v_fmac_f32_e32 v17, v6, v16
	v_fma_f32 v18, -v5, v16, v1
	global_store_dwordx2 v[34:35], v[17:18], off
	global_load_dwordx2 v[15:16], v[23:24], off
	v_add_u32_e32 v1, s35, v42
	v_lshlrev_b64 v[17:18], 3, v[1:2]
	v_mov_b32_e32 v19, s9
	v_add_co_u32_e32 v17, vcc, s8, v17
	v_addc_co_u32_e32 v18, vcc, v19, v18, vcc
	s_waitcnt vmcnt(0)
	v_fma_f32 v15, -v5, v13, v15
	v_fma_f32 v1, -v6, v13, v16
	v_fmac_f32_e32 v15, v6, v14
	v_fma_f32 v16, -v5, v14, v1
	global_store_dwordx2 v[23:24], v[15:16], off
	global_load_dwordx2 v[13:14], v[17:18], off
	v_add_u32_e32 v1, s36, v42
	v_lshlrev_b64 v[15:16], 3, v[1:2]
	v_add_co_u32_e32 v15, vcc, s8, v15
	v_addc_co_u32_e32 v16, vcc, v19, v16, vcc
	s_waitcnt vmcnt(0)
	v_fma_f32 v13, -v5, v11, v13
	v_fma_f32 v1, -v6, v11, v14
	v_fmac_f32_e32 v13, v6, v12
	v_fma_f32 v14, -v5, v12, v1
	global_store_dwordx2 v[17:18], v[13:14], off
	global_load_dwordx2 v[11:12], v[15:16], off
	s_waitcnt vmcnt(0)
	v_fma_f32 v11, -v5, v3, v11
	v_fma_f32 v1, -v6, v3, v12
	v_fmac_f32_e32 v11, v6, v4
	v_fma_f32 v12, -v5, v4, v1
	global_store_dwordx2 v[15:16], v[11:12], off
	s_branch .LBB219_3
.LBB219_20:
	s_or_b64 exec, exec, s[18:19]
	s_branch .LBB219_22
.LBB219_21:
	v_mov_b32_e32 v27, 0
.LBB219_22:
	v_subrev_u32_e32 v3, s22, v27
	v_add_u32_e32 v1, v3, v0
	v_ashrrev_i32_e32 v2, 31, v1
	v_lshlrev_b64 v[1:2], 2, v[1:2]
	s_waitcnt lgkmcnt(0)
	v_mov_b32_e32 v4, s17
	v_add_co_u32_e32 v1, vcc, s16, v1
	v_addc_co_u32_e32 v2, vcc, v4, v2, vcc
	s_waitcnt vmcnt(0)
	buffer_wbinvl1_vol
	global_load_dword v1, v[1:2], off
	s_waitcnt vmcnt(0)
	v_mul_lo_u32 v1, v1, s22
	v_sub_u32_e32 v7, v3, v1
	v_cmp_lt_i32_e32 vcc, -1, v7
	s_and_b64 exec, exec, vcc
	s_cbranch_execz .LBB219_29
; %bb.23:
	s_lshl_b32 s4, s24, 3
	s_add_i32 s5, s4, s23
	s_add_i32 s6, s5, s23
	;; [unrolled: 1-line block ×7, first 2 shown]
	s_lshl_b32 s18, s22, 1
	s_mov_b64 s[0:1], 0
	v_mov_b32_e32 v8, s17
	v_mov_b32_e32 v9, s11
	;; [unrolled: 1-line block ×3, first 2 shown]
	s_branch .LBB219_25
.LBB219_24:                             ;   in Loop: Header=BB219_25 Depth=1
	s_or_b64 exec, exec, s[2:3]
	v_sub_u32_e32 v7, v7, v1
	v_cmp_gt_i32_e32 vcc, 0, v7
	s_or_b64 s[0:1], vcc, s[0:1]
	s_andn2_b64 exec, exec, s[0:1]
	s_cbranch_execz .LBB219_29
.LBB219_25:                             ; =>This Inner Loop Header: Depth=1
	v_add_u32_e32 v5, v7, v0
	v_ashrrev_i32_e32 v6, 31, v5
	s_waitcnt vmcnt(0)
	v_lshlrev_b64 v[3:4], 2, v[5:6]
	v_add_co_u32_e32 v3, vcc, s16, v3
	v_addc_co_u32_e32 v4, vcc, v8, v4, vcc
	global_load_dword v1, v[3:4], off
	v_lshlrev_b64 v[3:4], 3, v[5:6]
	v_add_co_u32_e32 v3, vcc, s10, v3
	v_addc_co_u32_e32 v4, vcc, v9, v4, vcc
	global_load_dwordx2 v[3:4], v[3:4], off
	s_waitcnt vmcnt(1)
	v_cmp_ne_u32_e32 vcc, 1, v1
	s_and_saveexec_b64 s[2:3], vcc
	s_xor_b64 s[2:3], exec, s[2:3]
	s_cbranch_execz .LBB219_27
; %bb.26:                               ;   in Loop: Header=BB219_25 Depth=1
	v_add_u32_e32 v6, v25, v7
	v_add_u32_e32 v1, s4, v6
	v_lshlrev_b64 v[10:11], 3, v[1:2]
	v_mov_b32_e32 v1, s9
	v_add_co_u32_e32 v10, vcc, s8, v10
	v_addc_co_u32_e32 v11, vcc, v1, v11, vcc
	v_add_u32_e32 v1, s5, v6
	v_lshlrev_b64 v[12:13], 3, v[1:2]
	v_add_u32_e32 v1, s6, v6
	v_lshlrev_b64 v[14:15], 3, v[1:2]
	v_add_u32_e32 v1, s7, v6
	v_lshlrev_b64 v[16:17], 3, v[1:2]
	v_add_u32_e32 v1, s12, v6
	v_lshlrev_b64 v[18:19], 3, v[1:2]
	v_add_u32_e32 v1, s13, v6
	v_lshlrev_b64 v[20:21], 3, v[1:2]
	v_add_u32_e32 v1, s14, v6
	v_lshlrev_b64 v[22:23], 3, v[1:2]
	v_add_u32_e32 v1, s15, v6
	v_lshlrev_b64 v[26:27], 3, v[1:2]
	v_add_u32_e32 v1, s4, v5
	v_lshlrev_b64 v[28:29], 3, v[1:2]
	v_mov_b32_e32 v1, s9
	v_add_co_u32_e32 v28, vcc, s8, v28
	v_addc_co_u32_e32 v29, vcc, v1, v29, vcc
	global_load_dwordx2 v[10:11], v[10:11], off
	v_add_co_u32_e32 v12, vcc, s8, v12
	global_load_dwordx2 v[30:31], v[28:29], off
	v_addc_co_u32_e32 v13, vcc, v1, v13, vcc
	v_mov_b32_e32 v6, s9
	v_add_co_u32_e32 v14, vcc, s8, v14
	v_addc_co_u32_e32 v15, vcc, v6, v15, vcc
	v_mov_b32_e32 v24, s9
	v_add_co_u32_e32 v16, vcc, s8, v16
	v_addc_co_u32_e32 v17, vcc, v24, v17, vcc
	v_mov_b32_e32 v38, s9
	global_load_dwordx2 v[32:33], v[12:13], off
	global_load_dwordx2 v[34:35], v[14:15], off
	;; [unrolled: 1-line block ×3, first 2 shown]
	v_add_co_u32_e32 v12, vcc, s8, v18
	v_addc_co_u32_e32 v13, vcc, v38, v19, vcc
	v_mov_b32_e32 v39, s9
	v_add_co_u32_e32 v14, vcc, s8, v20
	v_addc_co_u32_e32 v15, vcc, v39, v21, vcc
	v_mov_b32_e32 v40, s9
	v_add_co_u32_e32 v16, vcc, s8, v22
	v_addc_co_u32_e32 v17, vcc, v40, v23, vcc
	v_add_u32_e32 v1, s5, v5
	v_mov_b32_e32 v41, s9
	v_add_co_u32_e32 v18, vcc, s8, v26
	v_lshlrev_b64 v[20:21], 3, v[1:2]
	v_addc_co_u32_e32 v19, vcc, v41, v27, vcc
	global_load_dwordx2 v[22:23], v[12:13], off
	global_load_dwordx2 v[26:27], v[14:15], off
	;; [unrolled: 1-line block ×4, first 2 shown]
	v_mov_b32_e32 v42, s9
	v_add_co_u32_e32 v12, vcc, s8, v20
	v_addc_co_u32_e32 v13, vcc, v42, v21, vcc
	v_mov_b32_e32 v19, s9
	s_waitcnt vmcnt(7)
	v_fma_f32 v14, -v3, v10, v30
	v_fma_f32 v1, -v4, v10, v31
	v_fmac_f32_e32 v14, v4, v11
	v_fma_f32 v15, -v3, v11, v1
	global_store_dwordx2 v[28:29], v[14:15], off
	global_load_dwordx2 v[14:15], v[12:13], off
	v_add_u32_e32 v1, s6, v5
	v_lshlrev_b64 v[16:17], 3, v[1:2]
	v_add_co_u32_e32 v16, vcc, s8, v16
	v_addc_co_u32_e32 v17, vcc, v6, v17, vcc
	s_waitcnt vmcnt(0)
	v_fma_f32 v14, -v3, v32, v14
	v_fma_f32 v1, -v4, v32, v15
	v_fmac_f32_e32 v14, v4, v33
	v_fma_f32 v15, -v3, v33, v1
	global_store_dwordx2 v[12:13], v[14:15], off
	global_load_dwordx2 v[12:13], v[16:17], off
	v_add_u32_e32 v1, s7, v5
	v_lshlrev_b64 v[14:15], 3, v[1:2]
	v_add_co_u32_e32 v14, vcc, s8, v14
	v_addc_co_u32_e32 v15, vcc, v6, v15, vcc
	;; [unrolled: 11-line block ×5, first 2 shown]
	s_waitcnt vmcnt(0)
	v_fma_f32 v12, -v3, v26, v12
	v_fma_f32 v1, -v4, v26, v13
	v_fmac_f32_e32 v12, v4, v27
	v_fma_f32 v13, -v3, v27, v1
	global_store_dwordx2 v[14:15], v[12:13], off
	global_load_dwordx2 v[12:13], v[16:17], off
	v_add_u32_e32 v1, s15, v5
	v_lshlrev_b64 v[5:6], 3, v[1:2]
	v_mov_b32_e32 v14, s9
	v_add_co_u32_e32 v5, vcc, s8, v5
	v_addc_co_u32_e32 v6, vcc, v14, v6, vcc
	s_waitcnt vmcnt(0)
	v_fma_f32 v12, -v3, v38, v12
	v_fma_f32 v1, -v4, v38, v13
	v_fmac_f32_e32 v12, v4, v39
	v_fma_f32 v13, -v3, v39, v1
	global_store_dwordx2 v[16:17], v[12:13], off
	global_load_dwordx2 v[12:13], v[5:6], off
	v_subrev_u32_e32 v1, s22, v7
	v_add_u32_e32 v14, v1, v0
	v_ashrrev_i32_e32 v15, 31, v14
	v_lshlrev_b64 v[15:16], 3, v[14:15]
	v_mov_b32_e32 v17, s11
	v_add_co_u32_e32 v15, vcc, s10, v15
	v_add_u32_e32 v1, s4, v14
	v_addc_co_u32_e32 v16, vcc, v17, v16, vcc
	v_lshlrev_b64 v[17:18], 3, v[1:2]
	global_load_dwordx2 v[15:16], v[15:16], off
	v_add_co_u32_e32 v17, vcc, s8, v17
	v_addc_co_u32_e32 v18, vcc, v19, v18, vcc
	s_waitcnt vmcnt(1)
	v_fma_f32 v12, -v3, v40, v12
	v_fma_f32 v1, -v4, v40, v13
	v_fmac_f32_e32 v12, v4, v41
	v_fma_f32 v13, -v3, v41, v1
	global_store_dwordx2 v[5:6], v[12:13], off
	global_load_dwordx2 v[3:4], v[17:18], off
	v_add_u32_e32 v1, s5, v14
	v_lshlrev_b64 v[5:6], 3, v[1:2]
	v_mov_b32_e32 v12, s9
	v_add_co_u32_e32 v5, vcc, s8, v5
	v_addc_co_u32_e32 v6, vcc, v12, v6, vcc
	s_waitcnt vmcnt(0)
	v_fma_f32 v3, -v15, v10, v3
	v_fma_f32 v1, -v16, v10, v4
	v_fmac_f32_e32 v3, v16, v11
	v_fma_f32 v4, -v15, v11, v1
	global_store_dwordx2 v[17:18], v[3:4], off
	global_load_dwordx2 v[3:4], v[5:6], off
	v_add_u32_e32 v1, s6, v14
	v_lshlrev_b64 v[10:11], 3, v[1:2]
	v_add_co_u32_e32 v10, vcc, s8, v10
	v_addc_co_u32_e32 v11, vcc, v12, v11, vcc
	s_waitcnt vmcnt(0)
	v_fma_f32 v3, -v15, v32, v3
	v_fma_f32 v1, -v16, v32, v4
	v_fmac_f32_e32 v3, v16, v33
	v_fma_f32 v4, -v15, v33, v1
	global_store_dwordx2 v[5:6], v[3:4], off
	global_load_dwordx2 v[3:4], v[10:11], off
	v_add_u32_e32 v1, s7, v14
	v_lshlrev_b64 v[5:6], 3, v[1:2]
	;; [unrolled: 11-line block ×6, first 2 shown]
	v_add_co_u32_e32 v5, vcc, s8, v5
	v_addc_co_u32_e32 v6, vcc, v12, v6, vcc
	s_waitcnt vmcnt(0)
	v_fma_f32 v3, -v15, v38, v3
	v_fma_f32 v1, -v16, v38, v4
	v_fmac_f32_e32 v3, v16, v39
	v_fma_f32 v4, -v15, v39, v1
	global_store_dwordx2 v[10:11], v[3:4], off
	global_load_dwordx2 v[3:4], v[5:6], off
	s_waitcnt vmcnt(0)
	v_fma_f32 v3, -v15, v40, v3
	v_fma_f32 v1, -v16, v40, v4
	v_fmac_f32_e32 v3, v16, v41
	v_fma_f32 v4, -v15, v41, v1
	global_store_dwordx2 v[5:6], v[3:4], off
                                        ; implicit-def: $vgpr5
                                        ; implicit-def: $vgpr3_vgpr4
.LBB219_27:                             ;   in Loop: Header=BB219_25 Depth=1
	s_or_saveexec_b64 s[2:3], s[2:3]
	v_mov_b32_e32 v1, s18
	s_xor_b64 exec, exec, s[2:3]
	s_cbranch_execz .LBB219_24
; %bb.28:                               ;   in Loop: Header=BB219_25 Depth=1
	v_add_u32_e32 v6, v25, v7
	v_add_u32_e32 v1, s4, v6
	v_lshlrev_b64 v[10:11], 3, v[1:2]
	v_mov_b32_e32 v1, s9
	v_add_co_u32_e32 v10, vcc, s8, v10
	v_addc_co_u32_e32 v11, vcc, v1, v11, vcc
	v_add_u32_e32 v1, s4, v5
	v_lshlrev_b64 v[12:13], 3, v[1:2]
	v_mov_b32_e32 v1, s9
	v_add_co_u32_e32 v12, vcc, s8, v12
	v_addc_co_u32_e32 v13, vcc, v1, v13, vcc
	global_load_dwordx2 v[14:15], v[10:11], off
	global_load_dwordx2 v[16:17], v[12:13], off
	v_add_u32_e32 v1, s5, v6
	v_lshlrev_b64 v[10:11], 3, v[1:2]
	v_add_u32_e32 v1, s5, v5
	v_mov_b32_e32 v20, s9
	v_lshlrev_b64 v[18:19], 3, v[1:2]
	v_add_co_u32_e32 v10, vcc, s8, v10
	v_addc_co_u32_e32 v11, vcc, v20, v11, vcc
	v_mov_b32_e32 v21, s9
	v_add_co_u32_e32 v18, vcc, s8, v18
	v_addc_co_u32_e32 v19, vcc, v21, v19, vcc
	s_waitcnt vmcnt(0)
	v_fma_f32 v16, -v3, v14, v16
	v_fma_f32 v1, -v4, v14, v17
	v_fmac_f32_e32 v16, v4, v15
	v_fma_f32 v17, -v3, v15, v1
	global_store_dwordx2 v[12:13], v[16:17], off
	global_load_dwordx2 v[12:13], v[10:11], off
	s_nop 0
	global_load_dwordx2 v[14:15], v[18:19], off
	v_add_u32_e32 v1, s6, v6
	v_lshlrev_b64 v[10:11], 3, v[1:2]
	v_add_u32_e32 v1, s6, v5
	v_lshlrev_b64 v[16:17], 3, v[1:2]
	v_add_co_u32_e32 v10, vcc, s8, v10
	v_addc_co_u32_e32 v11, vcc, v20, v11, vcc
	v_add_co_u32_e32 v16, vcc, s8, v16
	v_addc_co_u32_e32 v17, vcc, v21, v17, vcc
	s_waitcnt vmcnt(0)
	v_fma_f32 v14, -v3, v12, v14
	v_fma_f32 v1, -v4, v12, v15
	v_fmac_f32_e32 v14, v4, v13
	v_fma_f32 v15, -v3, v13, v1
	global_store_dwordx2 v[18:19], v[14:15], off
	global_load_dwordx2 v[12:13], v[10:11], off
	s_nop 0
	global_load_dwordx2 v[14:15], v[16:17], off
	v_add_u32_e32 v1, s7, v6
	v_lshlrev_b64 v[10:11], 3, v[1:2]
	v_add_u32_e32 v1, s7, v5
	v_lshlrev_b64 v[18:19], 3, v[1:2]
	v_add_co_u32_e32 v10, vcc, s8, v10
	v_addc_co_u32_e32 v11, vcc, v20, v11, vcc
	;; [unrolled: 17-line block ×5, first 2 shown]
	v_add_co_u32_e32 v16, vcc, s8, v16
	v_addc_co_u32_e32 v17, vcc, v21, v17, vcc
	s_waitcnt vmcnt(0)
	v_fma_f32 v14, -v3, v12, v14
	v_fma_f32 v1, -v4, v12, v15
	v_fmac_f32_e32 v14, v4, v13
	v_fma_f32 v15, -v3, v13, v1
	global_store_dwordx2 v[18:19], v[14:15], off
	global_load_dwordx2 v[12:13], v[10:11], off
	s_nop 0
	global_load_dwordx2 v[14:15], v[16:17], off
	v_add_u32_e32 v1, s15, v6
	v_lshlrev_b64 v[10:11], 3, v[1:2]
	v_add_u32_e32 v1, s15, v5
	v_mov_b32_e32 v18, s9
	v_lshlrev_b64 v[5:6], 3, v[1:2]
	v_add_co_u32_e32 v10, vcc, s8, v10
	v_addc_co_u32_e32 v11, vcc, v18, v11, vcc
	v_mov_b32_e32 v19, s9
	v_add_co_u32_e32 v5, vcc, s8, v5
	v_addc_co_u32_e32 v6, vcc, v19, v6, vcc
	s_waitcnt vmcnt(0)
	v_fma_f32 v14, -v3, v12, v14
	v_fma_f32 v1, -v4, v12, v15
	v_fmac_f32_e32 v14, v4, v13
	v_fma_f32 v15, -v3, v13, v1
	global_store_dwordx2 v[16:17], v[14:15], off
	global_load_dwordx2 v[12:13], v[10:11], off
	s_nop 0
	global_load_dwordx2 v[14:15], v[5:6], off
	s_waitcnt vmcnt(0)
	v_fma_f32 v10, -v3, v12, v14
	v_fma_f32 v1, -v4, v12, v15
	v_fmac_f32_e32 v10, v4, v13
	v_fma_f32 v11, -v3, v13, v1
	v_mov_b32_e32 v1, s22
	global_store_dwordx2 v[5:6], v[10:11], off
	s_branch .LBB219_24
.LBB219_29:
	s_endpgm
	.section	.rodata,"a",@progbits
	.p2align	6, 0x0
	.amdhsa_kernel _ZN9rocsparseL19gtsv_LBM_rhs_kernelILj256ELj16ELj8E21rocsparse_complex_numIfEEEviiiPKT2_S5_S5_PS3_S5_PKi
		.amdhsa_group_segment_fixed_size 0
		.amdhsa_private_segment_fixed_size 0
		.amdhsa_kernarg_size 64
		.amdhsa_user_sgpr_count 6
		.amdhsa_user_sgpr_private_segment_buffer 1
		.amdhsa_user_sgpr_dispatch_ptr 0
		.amdhsa_user_sgpr_queue_ptr 0
		.amdhsa_user_sgpr_kernarg_segment_ptr 1
		.amdhsa_user_sgpr_dispatch_id 0
		.amdhsa_user_sgpr_flat_scratch_init 0
		.amdhsa_user_sgpr_private_segment_size 0
		.amdhsa_uses_dynamic_stack 0
		.amdhsa_system_sgpr_private_segment_wavefront_offset 0
		.amdhsa_system_sgpr_workgroup_id_x 1
		.amdhsa_system_sgpr_workgroup_id_y 1
		.amdhsa_system_sgpr_workgroup_id_z 0
		.amdhsa_system_sgpr_workgroup_info 0
		.amdhsa_system_vgpr_workitem_id 0
		.amdhsa_next_free_vgpr 95
		.amdhsa_next_free_sgpr 37
		.amdhsa_reserve_vcc 1
		.amdhsa_reserve_flat_scratch 0
		.amdhsa_float_round_mode_32 0
		.amdhsa_float_round_mode_16_64 0
		.amdhsa_float_denorm_mode_32 3
		.amdhsa_float_denorm_mode_16_64 3
		.amdhsa_dx10_clamp 1
		.amdhsa_ieee_mode 1
		.amdhsa_fp16_overflow 0
		.amdhsa_exception_fp_ieee_invalid_op 0
		.amdhsa_exception_fp_denorm_src 0
		.amdhsa_exception_fp_ieee_div_zero 0
		.amdhsa_exception_fp_ieee_overflow 0
		.amdhsa_exception_fp_ieee_underflow 0
		.amdhsa_exception_fp_ieee_inexact 0
		.amdhsa_exception_int_div_zero 0
	.end_amdhsa_kernel
	.section	.text._ZN9rocsparseL19gtsv_LBM_rhs_kernelILj256ELj16ELj8E21rocsparse_complex_numIfEEEviiiPKT2_S5_S5_PS3_S5_PKi,"axG",@progbits,_ZN9rocsparseL19gtsv_LBM_rhs_kernelILj256ELj16ELj8E21rocsparse_complex_numIfEEEviiiPKT2_S5_S5_PS3_S5_PKi,comdat
.Lfunc_end219:
	.size	_ZN9rocsparseL19gtsv_LBM_rhs_kernelILj256ELj16ELj8E21rocsparse_complex_numIfEEEviiiPKT2_S5_S5_PS3_S5_PKi, .Lfunc_end219-_ZN9rocsparseL19gtsv_LBM_rhs_kernelILj256ELj16ELj8E21rocsparse_complex_numIfEEEviiiPKT2_S5_S5_PS3_S5_PKi
                                        ; -- End function
	.set _ZN9rocsparseL19gtsv_LBM_rhs_kernelILj256ELj16ELj8E21rocsparse_complex_numIfEEEviiiPKT2_S5_S5_PS3_S5_PKi.num_vgpr, 95
	.set _ZN9rocsparseL19gtsv_LBM_rhs_kernelILj256ELj16ELj8E21rocsparse_complex_numIfEEEviiiPKT2_S5_S5_PS3_S5_PKi.num_agpr, 0
	.set _ZN9rocsparseL19gtsv_LBM_rhs_kernelILj256ELj16ELj8E21rocsparse_complex_numIfEEEviiiPKT2_S5_S5_PS3_S5_PKi.numbered_sgpr, 37
	.set _ZN9rocsparseL19gtsv_LBM_rhs_kernelILj256ELj16ELj8E21rocsparse_complex_numIfEEEviiiPKT2_S5_S5_PS3_S5_PKi.num_named_barrier, 0
	.set _ZN9rocsparseL19gtsv_LBM_rhs_kernelILj256ELj16ELj8E21rocsparse_complex_numIfEEEviiiPKT2_S5_S5_PS3_S5_PKi.private_seg_size, 0
	.set _ZN9rocsparseL19gtsv_LBM_rhs_kernelILj256ELj16ELj8E21rocsparse_complex_numIfEEEviiiPKT2_S5_S5_PS3_S5_PKi.uses_vcc, 1
	.set _ZN9rocsparseL19gtsv_LBM_rhs_kernelILj256ELj16ELj8E21rocsparse_complex_numIfEEEviiiPKT2_S5_S5_PS3_S5_PKi.uses_flat_scratch, 0
	.set _ZN9rocsparseL19gtsv_LBM_rhs_kernelILj256ELj16ELj8E21rocsparse_complex_numIfEEEviiiPKT2_S5_S5_PS3_S5_PKi.has_dyn_sized_stack, 0
	.set _ZN9rocsparseL19gtsv_LBM_rhs_kernelILj256ELj16ELj8E21rocsparse_complex_numIfEEEviiiPKT2_S5_S5_PS3_S5_PKi.has_recursion, 0
	.set _ZN9rocsparseL19gtsv_LBM_rhs_kernelILj256ELj16ELj8E21rocsparse_complex_numIfEEEviiiPKT2_S5_S5_PS3_S5_PKi.has_indirect_call, 0
	.section	.AMDGPU.csdata,"",@progbits
; Kernel info:
; codeLenInByte = 7356
; TotalNumSgprs: 41
; NumVgprs: 95
; ScratchSize: 0
; MemoryBound: 0
; FloatMode: 240
; IeeeMode: 1
; LDSByteSize: 0 bytes/workgroup (compile time only)
; SGPRBlocks: 5
; VGPRBlocks: 23
; NumSGPRsForWavesPerEU: 41
; NumVGPRsForWavesPerEU: 95
; Occupancy: 2
; WaveLimiterHint : 0
; COMPUTE_PGM_RSRC2:SCRATCH_EN: 0
; COMPUTE_PGM_RSRC2:USER_SGPR: 6
; COMPUTE_PGM_RSRC2:TRAP_HANDLER: 0
; COMPUTE_PGM_RSRC2:TGID_X_EN: 1
; COMPUTE_PGM_RSRC2:TGID_Y_EN: 1
; COMPUTE_PGM_RSRC2:TGID_Z_EN: 0
; COMPUTE_PGM_RSRC2:TIDIG_COMP_CNT: 0
	.section	.text._ZN9rocsparseL19gtsv_LBM_rhs_kernelILj256ELj16ELj4E21rocsparse_complex_numIfEEEviiiPKT2_S5_S5_PS3_S5_PKi,"axG",@progbits,_ZN9rocsparseL19gtsv_LBM_rhs_kernelILj256ELj16ELj4E21rocsparse_complex_numIfEEEviiiPKT2_S5_S5_PS3_S5_PKi,comdat
	.globl	_ZN9rocsparseL19gtsv_LBM_rhs_kernelILj256ELj16ELj4E21rocsparse_complex_numIfEEEviiiPKT2_S5_S5_PS3_S5_PKi ; -- Begin function _ZN9rocsparseL19gtsv_LBM_rhs_kernelILj256ELj16ELj4E21rocsparse_complex_numIfEEEviiiPKT2_S5_S5_PS3_S5_PKi
	.p2align	8
	.type	_ZN9rocsparseL19gtsv_LBM_rhs_kernelILj256ELj16ELj4E21rocsparse_complex_numIfEEEviiiPKT2_S5_S5_PS3_S5_PKi,@function
_ZN9rocsparseL19gtsv_LBM_rhs_kernelILj256ELj16ELj4E21rocsparse_complex_numIfEEEviiiPKT2_S5_S5_PS3_S5_PKi: ; @_ZN9rocsparseL19gtsv_LBM_rhs_kernelILj256ELj16ELj4E21rocsparse_complex_numIfEEEviiiPKT2_S5_S5_PS3_S5_PKi
; %bb.0:
	s_load_dword s23, s[4:5], 0x0
	v_lshl_or_b32 v0, s6, 8, v0
	s_waitcnt lgkmcnt(0)
	s_lshr_b32 s22, s23, 4
	v_cmp_gt_i32_e32 vcc, s22, v0
	s_and_saveexec_b64 s[0:1], vcc
	s_cbranch_execz .LBB220_29
; %bb.1:
	s_load_dwordx4 s[8:11], s[4:5], 0x28
	s_load_dwordx2 s[16:17], s[4:5], 0x38
	s_cmp_lt_i32 s23, 1
	v_add_u32_e32 v19, s22, v0
	s_mul_i32 s24, s7, s23
	s_cbranch_scc1 .LBB220_21
; %bb.2:
	s_load_dwordx4 s[12:15], s[4:5], 0x10
	s_load_dwordx2 s[6:7], s[4:5], 0x20
	v_ashrrev_i32_e32 v1, 31, v0
	v_lshlrev_b64 v[1:2], 3, v[0:1]
	s_lshl_b32 s28, s24, 2
	s_waitcnt lgkmcnt(0)
	v_mov_b32_e32 v3, s15
	v_add_co_u32_e32 v1, vcc, s14, v1
	v_addc_co_u32_e32 v2, vcc, v3, v2, vcc
	global_load_dwordx2 v[5:6], v[1:2], off
	s_add_i32 s29, s28, s23
	s_add_i32 s30, s29, s23
	s_mul_i32 s25, s22, 15
	s_mul_i32 s26, s22, 14
	s_lshl_b32 s27, s22, 1
	v_add_u32_e32 v21, s22, v19
	s_add_i32 s31, s30, s23
	v_mov_b32_e32 v2, 0
	s_mov_b64 s[18:19], 0
	v_mov_b32_e32 v22, s7
	v_mov_b32_e32 v20, 0
	s_branch .LBB220_5
.LBB220_3:                              ;   in Loop: Header=BB220_5 Depth=1
	s_or_b64 exec, exec, s[4:5]
	v_fmac_f32_e32 v24, v3, v7
	v_fmac_f32_e32 v23, v4, v7
	v_mul_f32_e64 v1, v17, -v23
	v_mul_f32_e32 v3, v17, v24
	v_fmac_f32_e32 v1, v24, v8
	v_fmac_f32_e32 v3, v23, v8
	v_sub_f32_e32 v5, v9, v1
	v_sub_f32_e32 v6, v10, v3
	v_mov_b32_e32 v8, s22
.LBB220_4:                              ;   in Loop: Header=BB220_5 Depth=1
	s_or_b64 exec, exec, s[2:3]
	v_add_u32_e32 v20, v8, v20
	v_cmp_le_i32_e32 vcc, s23, v20
	s_or_b64 s[18:19], vcc, s[18:19]
	s_andn2_b64 exec, exec, s[18:19]
	s_cbranch_execz .LBB220_20
.LBB220_5:                              ; =>This Inner Loop Header: Depth=1
	v_add_u32_e32 v15, v20, v0
	v_ashrrev_i32_e32 v16, 31, v15
	v_lshlrev_b64 v[3:4], 3, v[15:16]
	v_cmp_gt_u32_e64 s[0:1], s25, v20
	v_add_co_u32_e32 v3, vcc, s6, v3
	v_addc_co_u32_e32 v4, vcc, v22, v4, vcc
	global_load_dwordx2 v[7:8], v[3:4], off
	v_mov_b32_e32 v3, 0
	v_mov_b32_e32 v4, 0
	s_and_saveexec_b64 s[2:3], s[0:1]
	s_cbranch_execz .LBB220_7
; %bb.6:                                ;   in Loop: Header=BB220_5 Depth=1
	v_add_u32_e32 v3, v19, v20
	v_ashrrev_i32_e32 v4, 31, v3
	v_lshlrev_b64 v[3:4], 3, v[3:4]
	v_mov_b32_e32 v1, s13
	v_add_co_u32_e32 v3, vcc, s12, v3
	v_addc_co_u32_e32 v4, vcc, v1, v4, vcc
	global_load_dwordx2 v[3:4], v[3:4], off
.LBB220_7:                              ;   in Loop: Header=BB220_5 Depth=1
	s_or_b64 exec, exec, s[2:3]
	v_mov_b32_e32 v11, 0
	v_mov_b32_e32 v9, 0
	;; [unrolled: 1-line block ×3, first 2 shown]
	s_and_saveexec_b64 s[2:3], s[0:1]
	s_cbranch_execz .LBB220_9
; %bb.8:                                ;   in Loop: Header=BB220_5 Depth=1
	v_add_u32_e32 v9, v19, v20
	v_ashrrev_i32_e32 v10, 31, v9
	v_lshlrev_b64 v[9:10], 3, v[9:10]
	v_mov_b32_e32 v1, s15
	v_add_co_u32_e32 v9, vcc, s14, v9
	v_addc_co_u32_e32 v10, vcc, v1, v10, vcc
	global_load_dwordx2 v[9:10], v[9:10], off
.LBB220_9:                              ;   in Loop: Header=BB220_5 Depth=1
	s_or_b64 exec, exec, s[2:3]
	v_mov_b32_e32 v12, 0
	s_and_saveexec_b64 s[2:3], s[0:1]
	s_cbranch_execz .LBB220_11
; %bb.10:                               ;   in Loop: Header=BB220_5 Depth=1
	v_add_u32_e32 v11, v19, v20
	v_ashrrev_i32_e32 v12, 31, v11
	v_lshlrev_b64 v[11:12], 3, v[11:12]
	v_mov_b32_e32 v1, s7
	v_add_co_u32_e32 v11, vcc, s6, v11
	v_addc_co_u32_e32 v12, vcc, v1, v12, vcc
	global_load_dwordx2 v[11:12], v[11:12], off
.LBB220_11:                             ;   in Loop: Header=BB220_5 Depth=1
	s_or_b64 exec, exec, s[2:3]
	v_cmp_gt_u32_e64 s[2:3], s26, v20
	v_mov_b32_e32 v13, 0
	v_mov_b32_e32 v14, 0
	s_and_saveexec_b64 s[4:5], s[2:3]
	s_cbranch_execz .LBB220_13
; %bb.12:                               ;   in Loop: Header=BB220_5 Depth=1
	v_add_u32_e32 v13, v21, v20
	v_ashrrev_i32_e32 v14, 31, v13
	v_lshlrev_b64 v[13:14], 3, v[13:14]
	v_mov_b32_e32 v1, s13
	v_add_co_u32_e32 v13, vcc, s12, v13
	v_addc_co_u32_e32 v14, vcc, v1, v14, vcc
	global_load_dwordx2 v[13:14], v[13:14], off
.LBB220_13:                             ;   in Loop: Header=BB220_5 Depth=1
	s_or_b64 exec, exec, s[4:5]
	v_lshlrev_b64 v[16:17], 2, v[15:16]
	v_mov_b32_e32 v1, s17
	v_add_co_u32_e32 v16, vcc, s16, v16
	v_addc_co_u32_e32 v17, vcc, v1, v17, vcc
	global_load_dword v18, v[16:17], off
	v_cmp_ne_u32_e32 vcc, s25, v20
	s_waitcnt vmcnt(1)
	v_mul_f32_e64 v24, v8, -v4
	v_mul_f32_e32 v23, v3, v8
	v_add_u32_e32 v1, s28, v15
	v_add_u32_e32 v17, s29, v15
	v_add_u32_e32 v16, s30, v15
	v_add_u32_e32 v15, s31, v15
	s_waitcnt vmcnt(0)
	v_cmp_ne_u32_e64 s[4:5], 1, v18
	s_and_b64 s[4:5], vcc, s[4:5]
	s_and_saveexec_b64 s[20:21], s[4:5]
	s_xor_b64 s[20:21], exec, s[20:21]
	s_cbranch_execz .LBB220_17
; %bb.14:                               ;   in Loop: Header=BB220_5 Depth=1
	v_lshlrev_b64 v[25:26], 3, v[1:2]
	v_mov_b32_e32 v18, v2
	v_mov_b32_e32 v1, s9
	v_add_co_u32_e32 v25, vcc, s8, v25
	v_lshlrev_b64 v[17:18], 3, v[17:18]
	v_addc_co_u32_e32 v26, vcc, v1, v26, vcc
	v_add_co_u32_e32 v36, vcc, s8, v17
	v_mov_b32_e32 v17, v2
	v_lshlrev_b64 v[16:17], 3, v[16:17]
	v_addc_co_u32_e32 v37, vcc, v1, v18, vcc
	v_add_co_u32_e32 v38, vcc, s8, v16
	v_add_u32_e32 v33, v19, v20
	v_addc_co_u32_e32 v39, vcc, v1, v17, vcc
	v_add_u32_e32 v1, s28, v33
	v_lshlrev_b64 v[16:17], 3, v[1:2]
	v_mov_b32_e32 v1, s9
	v_add_co_u32_e32 v40, vcc, s8, v16
	v_addc_co_u32_e32 v41, vcc, v1, v17, vcc
	v_add_u32_e32 v1, s29, v33
	v_lshlrev_b64 v[29:30], 3, v[1:2]
	v_mul_f32_e32 v35, v5, v10
	v_mul_f32_e64 v31, v10, -v6
	v_fmac_f32_e32 v35, v6, v9
	v_fmac_f32_e32 v23, v4, v7
	v_mov_b32_e32 v1, s9
	v_fmac_f32_e32 v31, v5, v9
	v_fmac_f32_e32 v24, v3, v7
	v_add_co_u32_e32 v42, vcc, s8, v29
	v_sub_f32_e32 v29, v35, v23
	v_sub_f32_e32 v60, v31, v24
	v_addc_co_u32_e32 v43, vcc, v1, v30, vcc
	v_mul_f32_e32 v30, v29, v29
	v_fmac_f32_e32 v30, v60, v60
	v_div_scale_f32 v35, s[4:5], v30, v30, 1.0
	v_div_scale_f32 v54, vcc, 1.0, v30, 1.0
	global_load_dwordx2 v[27:28], v[25:26], off
	global_load_dwordx2 v[17:18], v[40:41], off
	;; [unrolled: 1-line block ×4, first 2 shown]
	v_add_u32_e32 v1, s30, v33
	v_lshlrev_b64 v[23:24], 3, v[1:2]
	v_mov_b32_e32 v1, s9
	v_add_co_u32_e64 v46, s[4:5], s8, v23
	v_mov_b32_e32 v16, v2
	v_addc_co_u32_e64 v47, s[4:5], v1, v24, s[4:5]
	v_rcp_f32_e32 v23, v35
	v_lshlrev_b64 v[15:16], 3, v[15:16]
	global_load_dwordx2 v[48:49], v[38:39], off
	global_load_dwordx2 v[50:51], v[46:47], off
	v_mov_b32_e32 v34, s9
	v_fma_f32 v24, -v35, v23, 1.0
	v_fmac_f32_e32 v23, v24, v23
	v_mul_f32_e32 v24, v54, v23
	v_add_co_u32_e64 v52, s[4:5], s8, v15
	v_add_u32_e32 v1, s31, v33
	v_fma_f32 v33, -v35, v24, v54
	v_addc_co_u32_e64 v53, s[4:5], v34, v16, s[4:5]
	v_lshlrev_b64 v[15:16], 3, v[1:2]
	v_fmac_f32_e32 v24, v33, v23
	v_fma_f32 v33, -v35, v24, v54
	v_mov_b32_e32 v1, s9
	v_div_fmas_f32 v23, v33, v23, v24
	global_load_dwordx2 v[54:55], v[52:53], off
	v_add_co_u32_e32 v56, vcc, s8, v15
	v_addc_co_u32_e32 v57, vcc, v1, v16, vcc
	global_load_dwordx2 v[58:59], v[56:57], off
	v_fma_f32 v16, v60, 0, -v29
	v_fma_f32 v15, 0, v29, v60
	v_div_fixup_f32 v1, v23, v30, 1.0
	v_mul_f32_e32 v16, v16, v1
	v_mul_f32_e32 v15, v15, v1
	s_waitcnt vmcnt(7)
	v_mul_f32_e64 v23, v16, -v28
	v_fmac_f32_e32 v23, v27, v15
	v_mul_f32_e32 v27, v16, v27
	v_fmac_f32_e32 v27, v28, v15
	s_waitcnt vmcnt(6)
	v_mul_f32_e32 v28, v16, v17
	v_mul_f32_e64 v24, v16, -v18
	v_fmac_f32_e32 v28, v18, v15
	v_fmac_f32_e32 v24, v17, v15
	v_mul_f32_e64 v1, v27, -v10
	v_mul_f32_e32 v18, v9, v27
	v_mul_f32_e64 v17, v28, -v8
	v_mul_f32_e32 v29, v28, v7
	v_fmac_f32_e32 v1, v9, v23
	v_fmac_f32_e32 v18, v10, v23
	;; [unrolled: 1-line block ×4, first 2 shown]
	s_waitcnt vmcnt(4)
	v_mul_f32_e32 v33, v16, v31
	v_mul_f32_e32 v35, v16, v44
	v_sub_f32_e32 v17, v1, v17
	v_sub_f32_e32 v18, v18, v29
	v_mul_f32_e64 v30, v16, -v32
	v_fmac_f32_e32 v33, v32, v15
	v_mul_f32_e64 v32, v16, -v45
	v_fmac_f32_e32 v35, v45, v15
	global_store_dwordx2 v[25:26], v[17:18], off
	v_fmac_f32_e32 v30, v31, v15
	v_fmac_f32_e32 v32, v44, v15
	v_mul_f32_e64 v1, v33, -v10
	v_mul_f32_e32 v18, v9, v33
	v_mul_f32_e64 v17, v35, -v8
	v_mul_f32_e32 v25, v35, v7
	v_fmac_f32_e32 v1, v9, v30
	v_fmac_f32_e32 v18, v10, v30
	;; [unrolled: 1-line block ×4, first 2 shown]
	v_sub_f32_e32 v17, v1, v17
	v_sub_f32_e32 v18, v18, v25
	s_waitcnt vmcnt(4)
	v_mul_f32_e32 v25, v16, v48
	s_waitcnt vmcnt(3)
	v_mul_f32_e32 v26, v16, v50
	global_store_dwordx2 v[36:37], v[17:18], off
	v_mul_f32_e64 v17, v16, -v49
	v_fmac_f32_e32 v25, v49, v15
	v_mul_f32_e64 v18, v16, -v51
	v_fmac_f32_e32 v26, v51, v15
	v_fmac_f32_e32 v17, v48, v15
	;; [unrolled: 1-line block ×3, first 2 shown]
	v_mul_f32_e32 v29, v9, v25
	v_mul_f32_e32 v34, v26, v7
	v_mul_f32_e64 v1, v25, -v10
	v_fmac_f32_e32 v29, v10, v17
	v_mul_f32_e64 v31, v26, -v8
	v_fmac_f32_e32 v34, v8, v18
	v_fmac_f32_e32 v1, v9, v17
	;; [unrolled: 1-line block ×3, first 2 shown]
	v_sub_f32_e32 v37, v29, v34
	s_waitcnt vmcnt(3)
	v_mul_f32_e32 v34, v16, v54
	v_sub_f32_e32 v36, v1, v31
	v_mul_f32_e64 v29, v16, -v55
	v_fmac_f32_e32 v34, v55, v15
	global_store_dwordx2 v[38:39], v[36:37], off
	v_fmac_f32_e32 v29, v54, v15
	s_waitcnt vmcnt(3)
	v_mul_f32_e32 v36, v16, v58
	v_mul_f32_e64 v1, v34, -v10
	v_mul_f32_e64 v31, v16, -v59
	v_fmac_f32_e32 v36, v59, v15
	v_fmac_f32_e32 v1, v9, v29
	v_mul_f32_e32 v9, v9, v34
	v_fmac_f32_e32 v31, v58, v15
	v_fmac_f32_e32 v9, v10, v29
	v_mul_f32_e64 v10, v36, -v8
	v_mul_f32_e32 v37, v36, v7
	v_fmac_f32_e32 v10, v7, v31
	v_fmac_f32_e32 v37, v8, v31
	v_sub_f32_e32 v7, v1, v10
	v_sub_f32_e32 v8, v9, v37
	global_store_dwordx2 v[52:53], v[7:8], off
	v_mul_f32_e64 v7, v27, -v3
	v_mul_f32_e32 v1, v4, v27
	v_fma_f32 v8, -v4, v23, v7
	v_mul_f32_e64 v7, v28, -v6
	v_mul_f32_e32 v9, v5, v28
	v_fma_f32 v1, -v3, v23, v1
	v_fmac_f32_e32 v7, v5, v24
	v_fmac_f32_e32 v9, v6, v24
	v_add_f32_e32 v7, v1, v7
	v_add_f32_e32 v8, v8, v9
	global_store_dwordx2 v[40:41], v[7:8], off
	v_mul_f32_e64 v7, v33, -v3
	v_mul_f32_e32 v1, v4, v33
	v_fma_f32 v8, -v4, v30, v7
	v_mul_f32_e64 v7, v35, -v6
	v_mul_f32_e32 v9, v5, v35
	v_fma_f32 v1, -v3, v30, v1
	v_fmac_f32_e32 v7, v5, v32
	v_fmac_f32_e32 v9, v6, v32
	v_add_f32_e32 v7, v1, v7
	v_add_f32_e32 v8, v8, v9
	;; [unrolled: 11-line block ×3, first 2 shown]
	global_store_dwordx2 v[46:47], v[7:8], off
	v_mul_f32_e32 v1, v4, v34
	v_mul_f32_e64 v7, v34, -v3
	v_mul_f32_e64 v8, v36, -v6
	v_mul_f32_e32 v9, v5, v36
	v_fma_f32 v1, -v3, v29, v1
	v_fma_f32 v7, -v4, v29, v7
	v_fmac_f32_e32 v8, v5, v31
	v_fmac_f32_e32 v9, v6, v31
	v_add_f32_e32 v8, v1, v8
	v_add_f32_e32 v9, v7, v9
	v_mov_b32_e32 v7, 0
	v_mov_b32_e32 v1, 0
	global_store_dwordx2 v[56:57], v[8:9], off
	s_and_saveexec_b64 s[4:5], s[2:3]
	s_cbranch_execz .LBB220_16
; %bb.15:                               ;   in Loop: Header=BB220_5 Depth=1
	v_add_u32_e32 v7, v21, v20
	v_add_u32_e32 v1, s28, v7
	v_lshlrev_b64 v[8:9], 3, v[1:2]
	v_mov_b32_e32 v1, s9
	v_add_co_u32_e32 v37, vcc, s8, v8
	v_addc_co_u32_e32 v38, vcc, v1, v9, vcc
	v_add_u32_e32 v1, s29, v7
	v_lshlrev_b64 v[39:40], 3, v[1:2]
	global_load_dwordx2 v[9:10], v[37:38], off
	v_mov_b32_e32 v1, s9
	v_add_co_u32_e32 v39, vcc, s8, v39
	v_addc_co_u32_e32 v40, vcc, v1, v40, vcc
	global_load_dwordx2 v[41:42], v[39:40], off
	v_mul_f32_e32 v1, v4, v14
	v_mul_f32_e64 v8, v14, -v3
	v_mul_f32_e64 v43, v14, -v6
	v_mul_f32_e32 v44, v5, v14
	v_fma_f32 v48, -v3, v13, v1
	v_fma_f32 v49, -v4, v13, v8
	v_fmac_f32_e32 v43, v5, v13
	v_fmac_f32_e32 v44, v6, v13
	v_ashrrev_i32_e32 v8, 31, v7
	v_mul_f32_e32 v1, v49, v27
	v_mul_f32_e64 v27, v27, -v48
	v_mul_f32_e64 v50, v28, -v44
	v_mul_f32_e32 v28, v43, v28
	v_mul_f32_e32 v51, v49, v33
	v_mul_f32_e64 v52, v35, -v44
	v_lshlrev_b64 v[3:4], 3, v[7:8]
	v_mul_f32_e32 v35, v43, v35
	v_fma_f32 v8, -v48, v23, v1
	v_fma_f32 v23, -v49, v23, v27
	v_fmac_f32_e32 v50, v43, v24
	v_fmac_f32_e32 v28, v44, v24
	v_fma_f32 v24, -v48, v30, v51
	v_fmac_f32_e32 v52, v43, v32
	v_add_u32_e32 v1, s30, v7
	v_mov_b32_e32 v47, s15
	v_mul_f32_e64 v33, v33, -v48
	v_fmac_f32_e32 v35, v44, v32
	v_sub_f32_e32 v28, v23, v28
	v_sub_f32_e32 v32, v24, v52
	v_lshlrev_b64 v[23:24], 3, v[1:2]
	v_add_co_u32_e32 v3, vcc, s14, v3
	v_fma_f32 v27, -v49, v30, v33
	v_sub_f32_e32 v30, v8, v50
	v_add_u32_e32 v1, s31, v7
	v_addc_co_u32_e32 v4, vcc, v47, v4, vcc
	v_mov_b32_e32 v45, s9
	v_lshlrev_b64 v[7:8], 3, v[1:2]
	v_add_co_u32_e32 v23, vcc, s8, v23
	v_sub_f32_e32 v33, v27, v35
	v_addc_co_u32_e32 v24, vcc, v45, v24, vcc
	v_mov_b32_e32 v46, s9
	v_add_co_u32_e32 v7, vcc, s8, v7
	v_addc_co_u32_e32 v8, vcc, v46, v8, vcc
	global_load_dwordx2 v[3:4], v[3:4], off
	v_mul_f32_e64 v1, v6, -v14
	v_mul_f32_e32 v6, v6, v13
	v_fmac_f32_e32 v1, v13, v5
	v_fmac_f32_e32 v6, v14, v5
	v_mul_f32_e32 v5, v49, v25
	v_mul_f32_e64 v13, v25, -v48
	v_mul_f32_e64 v14, v26, -v44
	v_mul_f32_e32 v25, v43, v26
	v_mul_f32_e32 v26, v49, v34
	v_fma_f32 v5, -v48, v17, v5
	v_fma_f32 v13, -v49, v17, v13
	v_fmac_f32_e32 v14, v43, v18
	v_fmac_f32_e32 v25, v44, v18
	v_fma_f32 v17, -v48, v29, v26
	v_sub_f32_e32 v5, v5, v14
	s_waitcnt vmcnt(2)
	v_add_f32_e32 v9, v30, v9
	v_add_f32_e32 v10, v28, v10
	global_store_dwordx2 v[37:38], v[9:10], off
	global_load_dwordx2 v[27:28], v[23:24], off
	v_mul_f32_e64 v30, v34, -v48
	v_mul_f32_e64 v34, v12, -v6
	s_waitcnt vmcnt(3)
	v_add_f32_e32 v9, v32, v41
	v_add_f32_e32 v10, v33, v42
	global_store_dwordx2 v[39:40], v[9:10], off
	global_load_dwordx2 v[9:10], v[7:8], off
	v_mul_f32_e64 v32, v36, -v44
	v_mul_f32_e32 v33, v43, v36
	v_mul_f32_e32 v12, v12, v1
	v_fma_f32 v18, -v49, v29, v30
	v_fmac_f32_e32 v32, v43, v31
	v_fmac_f32_e32 v33, v44, v31
	;; [unrolled: 1-line block ×4, first 2 shown]
	v_sub_f32_e32 v6, v13, v25
	v_sub_f32_e32 v11, v17, v32
	;; [unrolled: 1-line block ×3, first 2 shown]
	v_mul_f32_e64 v1, v16, -v12
	v_mul_f32_e32 v14, v16, v34
	v_fmac_f32_e32 v1, v34, v15
	v_fmac_f32_e32 v14, v12, v15
	s_waitcnt vmcnt(4)
	v_sub_f32_e32 v1, v3, v1
	s_waitcnt vmcnt(2)
	v_add_f32_e32 v5, v5, v27
	v_add_f32_e32 v6, v6, v28
	global_store_dwordx2 v[23:24], v[5:6], off
	s_waitcnt vmcnt(1)
	v_add_f32_e32 v5, v11, v9
	v_add_f32_e32 v6, v13, v10
	global_store_dwordx2 v[7:8], v[5:6], off
	v_sub_f32_e32 v7, v4, v14
.LBB220_16:                             ;   in Loop: Header=BB220_5 Depth=1
	s_or_b64 exec, exec, s[4:5]
	v_mov_b32_e32 v6, v7
	v_mov_b32_e32 v5, v1
                                        ; implicit-def: $vgpr7_vgpr8
                                        ; implicit-def: $vgpr3
                                        ; implicit-def: $vgpr9
                                        ; implicit-def: $vgpr24
                                        ; implicit-def: $vgpr23
                                        ; implicit-def: $vgpr17
                                        ; implicit-def: $vgpr16
                                        ; implicit-def: $vgpr15
.LBB220_17:                             ;   in Loop: Header=BB220_5 Depth=1
	s_or_saveexec_b64 s[2:3], s[20:21]
	v_mov_b32_e32 v8, s27
	s_xor_b64 exec, exec, s[2:3]
	s_cbranch_execz .LBB220_4
; %bb.18:                               ;   in Loop: Header=BB220_5 Depth=1
	v_lshlrev_b64 v[11:12], 3, v[1:2]
	v_mov_b32_e32 v18, v2
	v_mov_b32_e32 v1, s9
	v_lshlrev_b64 v[13:14], 3, v[17:18]
	v_add_co_u32_e32 v25, vcc, s8, v11
	v_addc_co_u32_e32 v26, vcc, v1, v12, vcc
	v_mov_b32_e32 v8, s9
	v_add_co_u32_e32 v27, vcc, s8, v13
	v_mov_b32_e32 v17, v2
	v_addc_co_u32_e32 v28, vcc, v8, v14, vcc
	v_lshlrev_b64 v[13:14], 3, v[16:17]
	v_mov_b32_e32 v16, v2
	v_add_co_u32_e32 v29, vcc, s8, v13
	v_addc_co_u32_e32 v30, vcc, v1, v14, vcc
	v_lshlrev_b64 v[13:14], 3, v[15:16]
	global_load_dwordx2 v[11:12], v[25:26], off
	v_add_co_u32_e32 v35, vcc, s8, v13
	v_addc_co_u32_e32 v36, vcc, v1, v14, vcc
	global_load_dwordx2 v[31:32], v[27:28], off
	global_load_dwordx2 v[33:34], v[29:30], off
	;; [unrolled: 1-line block ×3, first 2 shown]
	v_mul_f32_e32 v1, v6, v6
	v_fmac_f32_e32 v1, v5, v5
	v_div_scale_f32 v8, s[4:5], v1, v1, 1.0
	v_div_scale_f32 v13, vcc, 1.0, v1, 1.0
	v_rcp_f32_e32 v14, v8
	v_fma_f32 v15, -v8, v14, 1.0
	v_fmac_f32_e32 v14, v15, v14
	v_mul_f32_e32 v15, v13, v14
	v_fma_f32 v16, -v8, v15, v13
	v_fmac_f32_e32 v15, v16, v14
	v_fma_f32 v8, -v8, v15, v13
	v_div_fmas_f32 v8, v8, v14, v15
	v_fma_f32 v13, 0, v6, v5
	v_fma_f32 v5, v5, 0, -v6
	v_div_fixup_f32 v1, v8, v1, 1.0
	v_mul_f32_e32 v17, v5, v1
	v_mul_f32_e32 v8, v13, v1
	s_waitcnt vmcnt(3)
	v_mul_f32_e64 v15, v17, -v12
	v_mul_f32_e32 v16, v17, v11
	v_fmac_f32_e32 v15, v11, v8
	v_fmac_f32_e32 v16, v12, v8
	s_waitcnt vmcnt(2)
	v_mul_f32_e64 v13, v17, -v32
	v_mul_f32_e32 v14, v17, v31
	s_waitcnt vmcnt(1)
	v_mul_f32_e64 v11, v17, -v34
	v_mul_f32_e32 v12, v17, v33
	;; [unrolled: 3-line block ×3, first 2 shown]
	v_fmac_f32_e32 v13, v31, v8
	v_fmac_f32_e32 v14, v32, v8
	;; [unrolled: 1-line block ×6, first 2 shown]
	global_store_dwordx2 v[25:26], v[15:16], off
	global_store_dwordx2 v[27:28], v[13:14], off
	;; [unrolled: 1-line block ×4, first 2 shown]
	s_and_saveexec_b64 s[4:5], s[0:1]
	s_cbranch_execz .LBB220_3
; %bb.19:                               ;   in Loop: Header=BB220_5 Depth=1
	v_add_u32_e32 v18, v19, v20
	v_add_u32_e32 v1, s28, v18
	v_lshlrev_b64 v[25:26], 3, v[1:2]
	v_mov_b32_e32 v1, s9
	v_add_co_u32_e32 v25, vcc, s8, v25
	v_addc_co_u32_e32 v26, vcc, v1, v26, vcc
	global_load_dwordx2 v[27:28], v[25:26], off
	s_waitcnt vmcnt(0)
	v_fma_f32 v1, -v4, v15, v28
	v_fma_f32 v27, -v3, v15, v27
	v_fma_f32 v28, -v3, v16, v1
	v_add_u32_e32 v1, s29, v18
	v_fmac_f32_e32 v27, v4, v16
	v_lshlrev_b64 v[15:16], 3, v[1:2]
	v_mov_b32_e32 v1, s9
	v_add_co_u32_e32 v15, vcc, s8, v15
	v_addc_co_u32_e32 v16, vcc, v1, v16, vcc
	global_store_dwordx2 v[25:26], v[27:28], off
	global_load_dwordx2 v[25:26], v[15:16], off
	s_waitcnt vmcnt(0)
	v_fma_f32 v1, -v4, v13, v26
	v_fma_f32 v25, -v3, v13, v25
	v_fma_f32 v26, -v3, v14, v1
	v_add_u32_e32 v1, s30, v18
	v_fmac_f32_e32 v25, v4, v14
	v_lshlrev_b64 v[13:14], 3, v[1:2]
	v_mov_b32_e32 v1, s9
	v_add_co_u32_e32 v13, vcc, s8, v13
	v_addc_co_u32_e32 v14, vcc, v1, v14, vcc
	global_store_dwordx2 v[15:16], v[25:26], off
	;; [unrolled: 12-line block ×3, first 2 shown]
	global_load_dwordx2 v[13:14], v[11:12], off
	s_waitcnt vmcnt(0)
	v_fma_f32 v13, -v3, v5, v13
	v_fma_f32 v1, -v4, v5, v14
	v_fmac_f32_e32 v13, v4, v6
	v_fma_f32 v14, -v3, v6, v1
	global_store_dwordx2 v[11:12], v[13:14], off
	s_branch .LBB220_3
.LBB220_20:
	s_or_b64 exec, exec, s[18:19]
	s_branch .LBB220_22
.LBB220_21:
	v_mov_b32_e32 v20, 0
.LBB220_22:
	v_subrev_u32_e32 v3, s22, v20
	v_add_u32_e32 v1, v3, v0
	v_ashrrev_i32_e32 v2, 31, v1
	v_lshlrev_b64 v[1:2], 2, v[1:2]
	s_waitcnt lgkmcnt(0)
	v_mov_b32_e32 v4, s17
	v_add_co_u32_e32 v1, vcc, s16, v1
	v_addc_co_u32_e32 v2, vcc, v4, v2, vcc
	s_waitcnt vmcnt(0)
	buffer_wbinvl1_vol
	global_load_dword v1, v[1:2], off
	s_waitcnt vmcnt(0)
	v_mul_lo_u32 v1, v1, s22
	v_sub_u32_e32 v7, v3, v1
	v_cmp_lt_i32_e32 vcc, -1, v7
	s_and_b64 exec, exec, vcc
	s_cbranch_execz .LBB220_29
; %bb.23:
	s_lshl_b32 s4, s24, 2
	s_add_i32 s5, s4, s23
	s_add_i32 s6, s5, s23
	;; [unrolled: 1-line block ×3, first 2 shown]
	s_lshl_b32 s12, s22, 1
	s_mov_b64 s[0:1], 0
	v_mov_b32_e32 v8, s17
	v_mov_b32_e32 v9, s11
	;; [unrolled: 1-line block ×3, first 2 shown]
	s_branch .LBB220_25
.LBB220_24:                             ;   in Loop: Header=BB220_25 Depth=1
	s_or_b64 exec, exec, s[2:3]
	v_sub_u32_e32 v7, v7, v1
	v_cmp_gt_i32_e32 vcc, 0, v7
	s_or_b64 s[0:1], vcc, s[0:1]
	s_andn2_b64 exec, exec, s[0:1]
	s_cbranch_execz .LBB220_29
.LBB220_25:                             ; =>This Inner Loop Header: Depth=1
	v_add_u32_e32 v5, v7, v0
	v_ashrrev_i32_e32 v6, 31, v5
	s_waitcnt vmcnt(0)
	v_lshlrev_b64 v[3:4], 2, v[5:6]
	v_add_co_u32_e32 v3, vcc, s16, v3
	v_addc_co_u32_e32 v4, vcc, v8, v4, vcc
	global_load_dword v1, v[3:4], off
	v_lshlrev_b64 v[3:4], 3, v[5:6]
	v_add_co_u32_e32 v3, vcc, s10, v3
	v_addc_co_u32_e32 v4, vcc, v9, v4, vcc
	global_load_dwordx2 v[3:4], v[3:4], off
	s_waitcnt vmcnt(1)
	v_cmp_ne_u32_e32 vcc, 1, v1
	s_and_saveexec_b64 s[2:3], vcc
	s_xor_b64 s[2:3], exec, s[2:3]
	s_cbranch_execz .LBB220_27
; %bb.26:                               ;   in Loop: Header=BB220_25 Depth=1
	v_add_u32_e32 v6, v19, v7
	v_add_u32_e32 v1, s4, v6
	v_lshlrev_b64 v[10:11], 3, v[1:2]
	v_mov_b32_e32 v1, s9
	v_add_co_u32_e32 v10, vcc, s8, v10
	v_addc_co_u32_e32 v11, vcc, v1, v11, vcc
	v_add_u32_e32 v1, s5, v6
	v_lshlrev_b64 v[12:13], 3, v[1:2]
	v_add_u32_e32 v1, s6, v6
	v_lshlrev_b64 v[14:15], 3, v[1:2]
	v_add_u32_e32 v1, s7, v6
	v_lshlrev_b64 v[16:17], 3, v[1:2]
	v_add_u32_e32 v1, s4, v5
	v_lshlrev_b64 v[20:21], 3, v[1:2]
	v_mov_b32_e32 v1, s9
	v_add_co_u32_e32 v20, vcc, s8, v20
	v_addc_co_u32_e32 v21, vcc, v1, v21, vcc
	global_load_dwordx2 v[10:11], v[10:11], off
	v_add_co_u32_e32 v12, vcc, s8, v12
	global_load_dwordx2 v[22:23], v[20:21], off
	v_addc_co_u32_e32 v13, vcc, v1, v13, vcc
	v_mov_b32_e32 v6, s9
	v_add_co_u32_e32 v14, vcc, s8, v14
	v_addc_co_u32_e32 v15, vcc, v6, v15, vcc
	v_add_u32_e32 v1, s5, v5
	v_mov_b32_e32 v18, s9
	v_add_co_u32_e32 v16, vcc, s8, v16
	v_lshlrev_b64 v[24:25], 3, v[1:2]
	v_addc_co_u32_e32 v17, vcc, v18, v17, vcc
	global_load_dwordx2 v[26:27], v[12:13], off
	global_load_dwordx2 v[28:29], v[14:15], off
	;; [unrolled: 1-line block ×3, first 2 shown]
	v_mov_b32_e32 v32, s9
	v_add_co_u32_e32 v12, vcc, s8, v24
	v_addc_co_u32_e32 v13, vcc, v32, v25, vcc
	s_waitcnt vmcnt(3)
	v_fma_f32 v14, -v3, v10, v22
	v_fma_f32 v1, -v4, v10, v23
	v_fmac_f32_e32 v14, v4, v11
	v_fma_f32 v15, -v3, v11, v1
	global_store_dwordx2 v[20:21], v[14:15], off
	global_load_dwordx2 v[14:15], v[12:13], off
	v_add_u32_e32 v1, s6, v5
	v_lshlrev_b64 v[16:17], 3, v[1:2]
	v_mov_b32_e32 v20, s9
	v_add_co_u32_e32 v16, vcc, s8, v16
	v_addc_co_u32_e32 v17, vcc, v6, v17, vcc
	s_waitcnt vmcnt(0)
	v_fma_f32 v14, -v3, v26, v14
	v_fma_f32 v1, -v4, v26, v15
	v_fmac_f32_e32 v14, v4, v27
	v_fma_f32 v15, -v3, v27, v1
	global_store_dwordx2 v[12:13], v[14:15], off
	global_load_dwordx2 v[12:13], v[16:17], off
	v_add_u32_e32 v1, s7, v5
	v_lshlrev_b64 v[5:6], 3, v[1:2]
	v_mov_b32_e32 v14, s9
	v_add_co_u32_e32 v5, vcc, s8, v5
	v_addc_co_u32_e32 v6, vcc, v14, v6, vcc
	s_waitcnt vmcnt(0)
	v_fma_f32 v12, -v3, v28, v12
	v_fma_f32 v1, -v4, v28, v13
	v_fmac_f32_e32 v12, v4, v29
	v_fma_f32 v13, -v3, v29, v1
	global_store_dwordx2 v[16:17], v[12:13], off
	global_load_dwordx2 v[12:13], v[5:6], off
	v_subrev_u32_e32 v1, s22, v7
	v_add_u32_e32 v14, v1, v0
	v_ashrrev_i32_e32 v15, 31, v14
	v_lshlrev_b64 v[15:16], 3, v[14:15]
	v_mov_b32_e32 v17, s11
	v_add_co_u32_e32 v15, vcc, s10, v15
	v_add_u32_e32 v1, s4, v14
	v_addc_co_u32_e32 v16, vcc, v17, v16, vcc
	v_lshlrev_b64 v[17:18], 3, v[1:2]
	global_load_dwordx2 v[15:16], v[15:16], off
	v_add_co_u32_e32 v17, vcc, s8, v17
	v_addc_co_u32_e32 v18, vcc, v20, v18, vcc
	s_waitcnt vmcnt(1)
	v_fma_f32 v12, -v3, v30, v12
	v_fma_f32 v1, -v4, v30, v13
	v_fmac_f32_e32 v12, v4, v31
	v_fma_f32 v13, -v3, v31, v1
	global_store_dwordx2 v[5:6], v[12:13], off
	global_load_dwordx2 v[3:4], v[17:18], off
	v_add_u32_e32 v1, s5, v14
	v_lshlrev_b64 v[5:6], 3, v[1:2]
	v_mov_b32_e32 v12, s9
	v_add_co_u32_e32 v5, vcc, s8, v5
	v_addc_co_u32_e32 v6, vcc, v12, v6, vcc
	s_waitcnt vmcnt(0)
	v_fma_f32 v3, -v15, v10, v3
	v_fma_f32 v1, -v16, v10, v4
	v_fmac_f32_e32 v3, v16, v11
	v_fma_f32 v4, -v15, v11, v1
	global_store_dwordx2 v[17:18], v[3:4], off
	global_load_dwordx2 v[3:4], v[5:6], off
	v_add_u32_e32 v1, s6, v14
	v_lshlrev_b64 v[10:11], 3, v[1:2]
	v_add_co_u32_e32 v10, vcc, s8, v10
	v_addc_co_u32_e32 v11, vcc, v12, v11, vcc
	s_waitcnt vmcnt(0)
	v_fma_f32 v3, -v15, v26, v3
	v_fma_f32 v1, -v16, v26, v4
	v_fmac_f32_e32 v3, v16, v27
	v_fma_f32 v4, -v15, v27, v1
	global_store_dwordx2 v[5:6], v[3:4], off
	global_load_dwordx2 v[3:4], v[10:11], off
	v_add_u32_e32 v1, s7, v14
	v_lshlrev_b64 v[5:6], 3, v[1:2]
	v_add_co_u32_e32 v5, vcc, s8, v5
	v_addc_co_u32_e32 v6, vcc, v12, v6, vcc
	s_waitcnt vmcnt(0)
	v_fma_f32 v3, -v15, v28, v3
	v_fma_f32 v1, -v16, v28, v4
	v_fmac_f32_e32 v3, v16, v29
	v_fma_f32 v4, -v15, v29, v1
	global_store_dwordx2 v[10:11], v[3:4], off
	global_load_dwordx2 v[3:4], v[5:6], off
	s_waitcnt vmcnt(0)
	v_fma_f32 v3, -v15, v30, v3
	v_fma_f32 v1, -v16, v30, v4
	v_fmac_f32_e32 v3, v16, v31
	v_fma_f32 v4, -v15, v31, v1
	global_store_dwordx2 v[5:6], v[3:4], off
                                        ; implicit-def: $vgpr5
                                        ; implicit-def: $vgpr3_vgpr4
.LBB220_27:                             ;   in Loop: Header=BB220_25 Depth=1
	s_or_saveexec_b64 s[2:3], s[2:3]
	v_mov_b32_e32 v1, s12
	s_xor_b64 exec, exec, s[2:3]
	s_cbranch_execz .LBB220_24
; %bb.28:                               ;   in Loop: Header=BB220_25 Depth=1
	v_add_u32_e32 v6, v19, v7
	v_add_u32_e32 v1, s4, v6
	v_lshlrev_b64 v[10:11], 3, v[1:2]
	v_mov_b32_e32 v1, s9
	v_add_co_u32_e32 v10, vcc, s8, v10
	v_addc_co_u32_e32 v11, vcc, v1, v11, vcc
	v_add_u32_e32 v1, s4, v5
	v_lshlrev_b64 v[12:13], 3, v[1:2]
	v_mov_b32_e32 v1, s9
	v_add_co_u32_e32 v12, vcc, s8, v12
	v_addc_co_u32_e32 v13, vcc, v1, v13, vcc
	global_load_dwordx2 v[14:15], v[10:11], off
	global_load_dwordx2 v[16:17], v[12:13], off
	v_add_u32_e32 v1, s5, v6
	v_lshlrev_b64 v[10:11], 3, v[1:2]
	v_add_u32_e32 v1, s5, v5
	v_mov_b32_e32 v18, s9
	v_lshlrev_b64 v[20:21], 3, v[1:2]
	v_add_co_u32_e32 v10, vcc, s8, v10
	v_addc_co_u32_e32 v11, vcc, v18, v11, vcc
	v_mov_b32_e32 v22, s9
	v_add_co_u32_e32 v20, vcc, s8, v20
	v_addc_co_u32_e32 v21, vcc, v22, v21, vcc
	s_waitcnt vmcnt(0)
	v_fma_f32 v16, -v3, v14, v16
	v_fma_f32 v1, -v4, v14, v17
	v_fmac_f32_e32 v16, v4, v15
	v_fma_f32 v17, -v3, v15, v1
	global_store_dwordx2 v[12:13], v[16:17], off
	global_load_dwordx2 v[12:13], v[10:11], off
	s_nop 0
	global_load_dwordx2 v[14:15], v[20:21], off
	v_add_u32_e32 v1, s6, v6
	v_lshlrev_b64 v[10:11], 3, v[1:2]
	v_add_u32_e32 v1, s6, v5
	v_lshlrev_b64 v[16:17], 3, v[1:2]
	v_add_co_u32_e32 v10, vcc, s8, v10
	v_addc_co_u32_e32 v11, vcc, v18, v11, vcc
	v_add_co_u32_e32 v16, vcc, s8, v16
	v_addc_co_u32_e32 v17, vcc, v22, v17, vcc
	s_waitcnt vmcnt(0)
	v_fma_f32 v14, -v3, v12, v14
	v_fma_f32 v1, -v4, v12, v15
	v_fmac_f32_e32 v14, v4, v13
	v_fma_f32 v15, -v3, v13, v1
	global_store_dwordx2 v[20:21], v[14:15], off
	global_load_dwordx2 v[12:13], v[10:11], off
	s_nop 0
	global_load_dwordx2 v[14:15], v[16:17], off
	v_add_u32_e32 v1, s7, v6
	v_lshlrev_b64 v[10:11], 3, v[1:2]
	v_add_u32_e32 v1, s7, v5
	v_lshlrev_b64 v[5:6], 3, v[1:2]
	v_add_co_u32_e32 v10, vcc, s8, v10
	v_addc_co_u32_e32 v11, vcc, v18, v11, vcc
	v_mov_b32_e32 v20, s9
	v_add_co_u32_e32 v5, vcc, s8, v5
	v_addc_co_u32_e32 v6, vcc, v20, v6, vcc
	s_waitcnt vmcnt(0)
	v_fma_f32 v14, -v3, v12, v14
	v_fma_f32 v1, -v4, v12, v15
	v_fmac_f32_e32 v14, v4, v13
	v_fma_f32 v15, -v3, v13, v1
	global_store_dwordx2 v[16:17], v[14:15], off
	global_load_dwordx2 v[12:13], v[10:11], off
	s_nop 0
	global_load_dwordx2 v[14:15], v[5:6], off
	s_waitcnt vmcnt(0)
	v_fma_f32 v10, -v3, v12, v14
	v_fma_f32 v1, -v4, v12, v15
	v_fmac_f32_e32 v10, v4, v13
	v_fma_f32 v11, -v3, v13, v1
	v_mov_b32_e32 v1, s22
	global_store_dwordx2 v[5:6], v[10:11], off
	s_branch .LBB220_24
.LBB220_29:
	s_endpgm
	.section	.rodata,"a",@progbits
	.p2align	6, 0x0
	.amdhsa_kernel _ZN9rocsparseL19gtsv_LBM_rhs_kernelILj256ELj16ELj4E21rocsparse_complex_numIfEEEviiiPKT2_S5_S5_PS3_S5_PKi
		.amdhsa_group_segment_fixed_size 0
		.amdhsa_private_segment_fixed_size 0
		.amdhsa_kernarg_size 64
		.amdhsa_user_sgpr_count 6
		.amdhsa_user_sgpr_private_segment_buffer 1
		.amdhsa_user_sgpr_dispatch_ptr 0
		.amdhsa_user_sgpr_queue_ptr 0
		.amdhsa_user_sgpr_kernarg_segment_ptr 1
		.amdhsa_user_sgpr_dispatch_id 0
		.amdhsa_user_sgpr_flat_scratch_init 0
		.amdhsa_user_sgpr_private_segment_size 0
		.amdhsa_uses_dynamic_stack 0
		.amdhsa_system_sgpr_private_segment_wavefront_offset 0
		.amdhsa_system_sgpr_workgroup_id_x 1
		.amdhsa_system_sgpr_workgroup_id_y 1
		.amdhsa_system_sgpr_workgroup_id_z 0
		.amdhsa_system_sgpr_workgroup_info 0
		.amdhsa_system_vgpr_workitem_id 0
		.amdhsa_next_free_vgpr 61
		.amdhsa_next_free_sgpr 32
		.amdhsa_reserve_vcc 1
		.amdhsa_reserve_flat_scratch 0
		.amdhsa_float_round_mode_32 0
		.amdhsa_float_round_mode_16_64 0
		.amdhsa_float_denorm_mode_32 3
		.amdhsa_float_denorm_mode_16_64 3
		.amdhsa_dx10_clamp 1
		.amdhsa_ieee_mode 1
		.amdhsa_fp16_overflow 0
		.amdhsa_exception_fp_ieee_invalid_op 0
		.amdhsa_exception_fp_denorm_src 0
		.amdhsa_exception_fp_ieee_div_zero 0
		.amdhsa_exception_fp_ieee_overflow 0
		.amdhsa_exception_fp_ieee_underflow 0
		.amdhsa_exception_fp_ieee_inexact 0
		.amdhsa_exception_int_div_zero 0
	.end_amdhsa_kernel
	.section	.text._ZN9rocsparseL19gtsv_LBM_rhs_kernelILj256ELj16ELj4E21rocsparse_complex_numIfEEEviiiPKT2_S5_S5_PS3_S5_PKi,"axG",@progbits,_ZN9rocsparseL19gtsv_LBM_rhs_kernelILj256ELj16ELj4E21rocsparse_complex_numIfEEEviiiPKT2_S5_S5_PS3_S5_PKi,comdat
.Lfunc_end220:
	.size	_ZN9rocsparseL19gtsv_LBM_rhs_kernelILj256ELj16ELj4E21rocsparse_complex_numIfEEEviiiPKT2_S5_S5_PS3_S5_PKi, .Lfunc_end220-_ZN9rocsparseL19gtsv_LBM_rhs_kernelILj256ELj16ELj4E21rocsparse_complex_numIfEEEviiiPKT2_S5_S5_PS3_S5_PKi
                                        ; -- End function
	.set _ZN9rocsparseL19gtsv_LBM_rhs_kernelILj256ELj16ELj4E21rocsparse_complex_numIfEEEviiiPKT2_S5_S5_PS3_S5_PKi.num_vgpr, 61
	.set _ZN9rocsparseL19gtsv_LBM_rhs_kernelILj256ELj16ELj4E21rocsparse_complex_numIfEEEviiiPKT2_S5_S5_PS3_S5_PKi.num_agpr, 0
	.set _ZN9rocsparseL19gtsv_LBM_rhs_kernelILj256ELj16ELj4E21rocsparse_complex_numIfEEEviiiPKT2_S5_S5_PS3_S5_PKi.numbered_sgpr, 32
	.set _ZN9rocsparseL19gtsv_LBM_rhs_kernelILj256ELj16ELj4E21rocsparse_complex_numIfEEEviiiPKT2_S5_S5_PS3_S5_PKi.num_named_barrier, 0
	.set _ZN9rocsparseL19gtsv_LBM_rhs_kernelILj256ELj16ELj4E21rocsparse_complex_numIfEEEviiiPKT2_S5_S5_PS3_S5_PKi.private_seg_size, 0
	.set _ZN9rocsparseL19gtsv_LBM_rhs_kernelILj256ELj16ELj4E21rocsparse_complex_numIfEEEviiiPKT2_S5_S5_PS3_S5_PKi.uses_vcc, 1
	.set _ZN9rocsparseL19gtsv_LBM_rhs_kernelILj256ELj16ELj4E21rocsparse_complex_numIfEEEviiiPKT2_S5_S5_PS3_S5_PKi.uses_flat_scratch, 0
	.set _ZN9rocsparseL19gtsv_LBM_rhs_kernelILj256ELj16ELj4E21rocsparse_complex_numIfEEEviiiPKT2_S5_S5_PS3_S5_PKi.has_dyn_sized_stack, 0
	.set _ZN9rocsparseL19gtsv_LBM_rhs_kernelILj256ELj16ELj4E21rocsparse_complex_numIfEEEviiiPKT2_S5_S5_PS3_S5_PKi.has_recursion, 0
	.set _ZN9rocsparseL19gtsv_LBM_rhs_kernelILj256ELj16ELj4E21rocsparse_complex_numIfEEEviiiPKT2_S5_S5_PS3_S5_PKi.has_indirect_call, 0
	.section	.AMDGPU.csdata,"",@progbits
; Kernel info:
; codeLenInByte = 4380
; TotalNumSgprs: 36
; NumVgprs: 61
; ScratchSize: 0
; MemoryBound: 0
; FloatMode: 240
; IeeeMode: 1
; LDSByteSize: 0 bytes/workgroup (compile time only)
; SGPRBlocks: 4
; VGPRBlocks: 15
; NumSGPRsForWavesPerEU: 36
; NumVGPRsForWavesPerEU: 61
; Occupancy: 4
; WaveLimiterHint : 0
; COMPUTE_PGM_RSRC2:SCRATCH_EN: 0
; COMPUTE_PGM_RSRC2:USER_SGPR: 6
; COMPUTE_PGM_RSRC2:TRAP_HANDLER: 0
; COMPUTE_PGM_RSRC2:TGID_X_EN: 1
; COMPUTE_PGM_RSRC2:TGID_Y_EN: 1
; COMPUTE_PGM_RSRC2:TGID_Z_EN: 0
; COMPUTE_PGM_RSRC2:TIDIG_COMP_CNT: 0
	.section	.text._ZN9rocsparseL19gtsv_LBM_rhs_kernelILj256ELj16ELj2E21rocsparse_complex_numIfEEEviiiPKT2_S5_S5_PS3_S5_PKi,"axG",@progbits,_ZN9rocsparseL19gtsv_LBM_rhs_kernelILj256ELj16ELj2E21rocsparse_complex_numIfEEEviiiPKT2_S5_S5_PS3_S5_PKi,comdat
	.globl	_ZN9rocsparseL19gtsv_LBM_rhs_kernelILj256ELj16ELj2E21rocsparse_complex_numIfEEEviiiPKT2_S5_S5_PS3_S5_PKi ; -- Begin function _ZN9rocsparseL19gtsv_LBM_rhs_kernelILj256ELj16ELj2E21rocsparse_complex_numIfEEEviiiPKT2_S5_S5_PS3_S5_PKi
	.p2align	8
	.type	_ZN9rocsparseL19gtsv_LBM_rhs_kernelILj256ELj16ELj2E21rocsparse_complex_numIfEEEviiiPKT2_S5_S5_PS3_S5_PKi,@function
_ZN9rocsparseL19gtsv_LBM_rhs_kernelILj256ELj16ELj2E21rocsparse_complex_numIfEEEviiiPKT2_S5_S5_PS3_S5_PKi: ; @_ZN9rocsparseL19gtsv_LBM_rhs_kernelILj256ELj16ELj2E21rocsparse_complex_numIfEEEviiiPKT2_S5_S5_PS3_S5_PKi
; %bb.0:
	s_load_dword s23, s[4:5], 0x0
	v_lshl_or_b32 v0, s6, 8, v0
	s_waitcnt lgkmcnt(0)
	s_lshr_b32 s22, s23, 4
	v_cmp_gt_i32_e32 vcc, s22, v0
	s_and_saveexec_b64 s[0:1], vcc
	s_cbranch_execz .LBB221_29
; %bb.1:
	s_load_dwordx4 s[8:11], s[4:5], 0x28
	s_load_dwordx2 s[16:17], s[4:5], 0x38
	s_cmp_lt_i32 s23, 1
	v_add_u32_e32 v17, s22, v0
	s_mul_i32 s24, s7, s23
	s_cbranch_scc1 .LBB221_21
; %bb.2:
	s_load_dwordx4 s[12:15], s[4:5], 0x10
	s_load_dwordx2 s[6:7], s[4:5], 0x20
	v_ashrrev_i32_e32 v1, 31, v0
	v_lshlrev_b64 v[1:2], 3, v[0:1]
	s_lshl_b32 s28, s24, 1
	s_waitcnt lgkmcnt(0)
	v_mov_b32_e32 v3, s15
	v_add_co_u32_e32 v1, vcc, s14, v1
	v_addc_co_u32_e32 v2, vcc, v3, v2, vcc
	global_load_dwordx2 v[5:6], v[1:2], off
	s_mul_i32 s25, s22, 15
	s_mul_i32 s26, s22, 14
	s_lshl_b32 s27, s22, 1
	v_add_u32_e32 v19, s22, v17
	s_add_i32 s29, s28, s23
	v_mov_b32_e32 v2, 0
	s_mov_b64 s[18:19], 0
	v_mov_b32_e32 v20, s7
	v_mov_b32_e32 v18, 0
	s_branch .LBB221_5
.LBB221_3:                              ;   in Loop: Header=BB221_5 Depth=1
	s_or_b64 exec, exec, s[4:5]
	v_fmac_f32_e32 v22, v3, v7
	v_fmac_f32_e32 v21, v4, v7
	v_mul_f32_e64 v1, v13, -v21
	v_mul_f32_e32 v3, v13, v22
	v_fmac_f32_e32 v1, v22, v10
	v_fmac_f32_e32 v3, v21, v10
	v_sub_f32_e32 v5, v11, v1
	v_sub_f32_e32 v6, v12, v3
	v_mov_b32_e32 v8, s22
.LBB221_4:                              ;   in Loop: Header=BB221_5 Depth=1
	s_or_b64 exec, exec, s[2:3]
	v_add_u32_e32 v18, v8, v18
	v_cmp_le_i32_e32 vcc, s23, v18
	s_or_b64 s[18:19], vcc, s[18:19]
	s_andn2_b64 exec, exec, s[18:19]
	s_cbranch_execz .LBB221_20
.LBB221_5:                              ; =>This Inner Loop Header: Depth=1
	v_add_u32_e32 v15, v18, v0
	v_ashrrev_i32_e32 v16, 31, v15
	v_lshlrev_b64 v[3:4], 3, v[15:16]
	v_cmp_gt_u32_e64 s[0:1], s25, v18
	v_add_co_u32_e32 v3, vcc, s6, v3
	v_addc_co_u32_e32 v4, vcc, v20, v4, vcc
	global_load_dwordx2 v[7:8], v[3:4], off
	v_mov_b32_e32 v3, 0
	v_mov_b32_e32 v4, 0
	s_and_saveexec_b64 s[2:3], s[0:1]
	s_cbranch_execz .LBB221_7
; %bb.6:                                ;   in Loop: Header=BB221_5 Depth=1
	v_add_u32_e32 v3, v17, v18
	v_ashrrev_i32_e32 v4, 31, v3
	v_lshlrev_b64 v[3:4], 3, v[3:4]
	v_mov_b32_e32 v1, s13
	v_add_co_u32_e32 v3, vcc, s12, v3
	v_addc_co_u32_e32 v4, vcc, v1, v4, vcc
	global_load_dwordx2 v[3:4], v[3:4], off
.LBB221_7:                              ;   in Loop: Header=BB221_5 Depth=1
	s_or_b64 exec, exec, s[2:3]
	v_mov_b32_e32 v9, 0
	v_mov_b32_e32 v11, 0
	;; [unrolled: 1-line block ×3, first 2 shown]
	s_and_saveexec_b64 s[2:3], s[0:1]
	s_cbranch_execz .LBB221_9
; %bb.8:                                ;   in Loop: Header=BB221_5 Depth=1
	v_add_u32_e32 v10, v17, v18
	v_ashrrev_i32_e32 v11, 31, v10
	v_lshlrev_b64 v[10:11], 3, v[10:11]
	v_mov_b32_e32 v1, s15
	v_add_co_u32_e32 v10, vcc, s14, v10
	v_addc_co_u32_e32 v11, vcc, v1, v11, vcc
	global_load_dwordx2 v[11:12], v[10:11], off
.LBB221_9:                              ;   in Loop: Header=BB221_5 Depth=1
	s_or_b64 exec, exec, s[2:3]
	v_mov_b32_e32 v10, 0
	s_and_saveexec_b64 s[2:3], s[0:1]
	s_cbranch_execz .LBB221_11
; %bb.10:                               ;   in Loop: Header=BB221_5 Depth=1
	v_add_u32_e32 v9, v17, v18
	v_ashrrev_i32_e32 v10, 31, v9
	v_lshlrev_b64 v[9:10], 3, v[9:10]
	v_mov_b32_e32 v1, s7
	v_add_co_u32_e32 v9, vcc, s6, v9
	v_addc_co_u32_e32 v10, vcc, v1, v10, vcc
	global_load_dwordx2 v[9:10], v[9:10], off
.LBB221_11:                             ;   in Loop: Header=BB221_5 Depth=1
	s_or_b64 exec, exec, s[2:3]
	v_cmp_gt_u32_e64 s[2:3], s26, v18
	v_mov_b32_e32 v13, 0
	v_mov_b32_e32 v14, 0
	s_and_saveexec_b64 s[4:5], s[2:3]
	s_cbranch_execz .LBB221_13
; %bb.12:                               ;   in Loop: Header=BB221_5 Depth=1
	v_add_u32_e32 v13, v19, v18
	v_ashrrev_i32_e32 v14, 31, v13
	v_lshlrev_b64 v[13:14], 3, v[13:14]
	v_mov_b32_e32 v1, s13
	v_add_co_u32_e32 v13, vcc, s12, v13
	v_addc_co_u32_e32 v14, vcc, v1, v14, vcc
	global_load_dwordx2 v[13:14], v[13:14], off
.LBB221_13:                             ;   in Loop: Header=BB221_5 Depth=1
	s_or_b64 exec, exec, s[4:5]
	v_lshlrev_b64 v[21:22], 2, v[15:16]
	v_mov_b32_e32 v1, s17
	v_add_co_u32_e32 v21, vcc, s16, v21
	v_addc_co_u32_e32 v22, vcc, v1, v22, vcc
	global_load_dword v16, v[21:22], off
	v_cmp_ne_u32_e32 vcc, s25, v18
	s_waitcnt vmcnt(1)
	v_mul_f32_e64 v22, v8, -v4
	v_mul_f32_e32 v21, v3, v8
	v_add_u32_e32 v1, s28, v15
	v_add_u32_e32 v15, s29, v15
	s_waitcnt vmcnt(0)
	v_cmp_ne_u32_e64 s[4:5], 1, v16
	s_and_b64 s[4:5], vcc, s[4:5]
	s_and_saveexec_b64 s[20:21], s[4:5]
	s_xor_b64 s[20:21], exec, s[20:21]
	s_cbranch_execz .LBB221_17
; %bb.14:                               ;   in Loop: Header=BB221_5 Depth=1
	v_lshlrev_b64 v[23:24], 3, v[1:2]
	v_mov_b32_e32 v16, v2
	v_mov_b32_e32 v1, s9
	v_add_co_u32_e32 v25, vcc, s8, v23
	v_lshlrev_b64 v[15:16], 3, v[15:16]
	v_addc_co_u32_e32 v26, vcc, v1, v24, vcc
	v_mul_f32_e32 v23, v5, v12
	v_add_co_u32_e32 v29, vcc, s8, v15
	v_mul_f32_e64 v15, v12, -v6
	v_fmac_f32_e32 v23, v6, v11
	v_fmac_f32_e32 v21, v4, v7
	;; [unrolled: 1-line block ×4, first 2 shown]
	v_sub_f32_e32 v21, v23, v21
	v_sub_f32_e32 v22, v15, v22
	v_mul_f32_e32 v23, v21, v21
	v_fmac_f32_e32 v23, v22, v22
	v_div_scale_f32 v24, s[4:5], v23, v23, 1.0
	v_addc_co_u32_e32 v30, vcc, v1, v16, vcc
	v_div_scale_f32 v35, vcc, 1.0, v23, 1.0
	v_add_u32_e32 v27, v17, v18
	v_add_u32_e32 v1, s28, v27
	v_lshlrev_b64 v[15:16], 3, v[1:2]
	v_mov_b32_e32 v1, s9
	v_add_co_u32_e64 v31, s[4:5], s8, v15
	v_addc_co_u32_e64 v32, s[4:5], v1, v16, s[4:5]
	v_add_u32_e32 v1, s29, v27
	v_lshlrev_b64 v[15:16], 3, v[1:2]
	v_rcp_f32_e32 v36, v24
	v_mov_b32_e32 v1, s9
	v_add_co_u32_e64 v33, s[4:5], s8, v15
	v_addc_co_u32_e64 v34, s[4:5], v1, v16, s[4:5]
	v_fma_f32 v1, -v24, v36, 1.0
	v_fmac_f32_e32 v36, v1, v36
	v_mul_f32_e32 v1, v35, v36
	v_fma_f32 v15, -v24, v1, v35
	v_fmac_f32_e32 v1, v15, v36
	v_fma_f32 v15, -v24, v1, v35
	global_load_dwordx2 v[27:28], v[25:26], off
	v_div_fmas_f32 v1, v15, v36, v1
	global_load_dwordx2 v[35:36], v[31:32], off
	v_fma_f32 v16, v22, 0, -v21
	v_fma_f32 v15, 0, v21, v22
	v_div_fixup_f32 v1, v1, v23, 1.0
	v_mul_f32_e32 v16, v16, v1
	v_mul_f32_e32 v15, v15, v1
	s_waitcnt vmcnt(1)
	v_mul_f32_e32 v23, v16, v27
	v_mul_f32_e64 v22, v16, -v28
	s_waitcnt vmcnt(0)
	v_mul_f32_e32 v24, v16, v35
	v_fmac_f32_e32 v23, v28, v15
	v_mul_f32_e64 v21, v16, -v36
	v_fmac_f32_e32 v24, v36, v15
	v_fmac_f32_e32 v22, v27, v15
	;; [unrolled: 1-line block ×3, first 2 shown]
	v_mul_f32_e32 v28, v11, v23
	v_mul_f32_e32 v35, v24, v7
	v_fmac_f32_e32 v28, v12, v22
	v_fmac_f32_e32 v35, v8, v21
	v_sub_f32_e32 v28, v28, v35
	global_load_dwordx2 v[35:36], v[29:30], off
	global_load_dwordx2 v[37:38], v[33:34], off
	v_mul_f32_e64 v1, v23, -v12
	v_mul_f32_e64 v27, v24, -v8
	v_fmac_f32_e32 v1, v11, v22
	v_fmac_f32_e32 v27, v7, v21
	v_sub_f32_e32 v27, v1, v27
	global_store_dwordx2 v[25:26], v[27:28], off
	s_waitcnt vmcnt(2)
	v_mul_f32_e32 v27, v16, v35
	v_mul_f32_e64 v25, v16, -v36
	v_fmac_f32_e32 v27, v36, v15
	v_fmac_f32_e32 v25, v35, v15
	s_waitcnt vmcnt(1)
	v_mul_f32_e32 v28, v16, v37
	v_mul_f32_e64 v1, v27, -v12
	v_mul_f32_e64 v26, v16, -v38
	v_fmac_f32_e32 v28, v38, v15
	v_fmac_f32_e32 v1, v11, v25
	v_mul_f32_e32 v11, v11, v27
	v_fmac_f32_e32 v26, v37, v15
	v_fmac_f32_e32 v11, v12, v25
	v_mul_f32_e64 v12, v28, -v8
	v_mul_f32_e32 v35, v28, v7
	v_fmac_f32_e32 v12, v7, v26
	v_fmac_f32_e32 v35, v8, v26
	v_sub_f32_e32 v7, v1, v12
	v_sub_f32_e32 v8, v11, v35
	global_store_dwordx2 v[29:30], v[7:8], off
	v_mul_f32_e64 v7, v23, -v3
	v_mul_f32_e32 v1, v4, v23
	v_fma_f32 v8, -v4, v22, v7
	v_mul_f32_e64 v7, v24, -v6
	v_mul_f32_e32 v11, v5, v24
	v_fma_f32 v1, -v3, v22, v1
	v_fmac_f32_e32 v7, v5, v21
	v_fmac_f32_e32 v11, v6, v21
	v_add_f32_e32 v7, v1, v7
	v_add_f32_e32 v8, v8, v11
	global_store_dwordx2 v[31:32], v[7:8], off
	v_mul_f32_e32 v1, v4, v27
	v_mul_f32_e64 v7, v27, -v3
	v_mul_f32_e64 v8, v28, -v6
	v_mul_f32_e32 v12, v5, v28
	v_fma_f32 v1, -v3, v25, v1
	v_fma_f32 v7, -v4, v25, v7
	v_fmac_f32_e32 v8, v5, v26
	v_fmac_f32_e32 v12, v6, v26
	v_add_f32_e32 v11, v1, v8
	v_add_f32_e32 v12, v7, v12
	v_mov_b32_e32 v7, 0
	v_mov_b32_e32 v1, 0
	global_store_dwordx2 v[33:34], v[11:12], off
	s_and_saveexec_b64 s[4:5], s[2:3]
	s_cbranch_execz .LBB221_16
; %bb.15:                               ;   in Loop: Header=BB221_5 Depth=1
	v_add_u32_e32 v7, v19, v18
	v_add_u32_e32 v1, s28, v7
	v_lshlrev_b64 v[11:12], 3, v[1:2]
	v_mov_b32_e32 v1, s9
	v_add_co_u32_e32 v11, vcc, s8, v11
	v_ashrrev_i32_e32 v8, 31, v7
	v_addc_co_u32_e32 v12, vcc, v1, v12, vcc
	v_add_u32_e32 v1, s29, v7
	v_lshlrev_b64 v[7:8], 3, v[7:8]
	v_mov_b32_e32 v29, s15
	v_add_co_u32_e32 v7, vcc, s14, v7
	v_addc_co_u32_e32 v8, vcc, v29, v8, vcc
	v_lshlrev_b64 v[29:30], 3, v[1:2]
	v_mov_b32_e32 v1, s9
	global_load_dwordx2 v[31:32], v[11:12], off
	global_load_dwordx2 v[33:34], v[7:8], off
	v_add_co_u32_e32 v7, vcc, s8, v29
	v_addc_co_u32_e32 v8, vcc, v1, v30, vcc
	global_load_dwordx2 v[29:30], v[7:8], off
	v_mul_f32_e32 v1, v4, v14
	v_mul_f32_e64 v35, v14, -v3
	v_mul_f32_e64 v36, v14, -v6
	v_mul_f32_e32 v37, v5, v14
	v_fma_f32 v1, -v3, v13, v1
	v_fma_f32 v3, -v4, v13, v35
	v_mul_f32_e64 v4, v6, -v14
	v_mul_f32_e32 v35, v6, v13
	v_fmac_f32_e32 v36, v5, v13
	v_fmac_f32_e32 v37, v6, v13
	;; [unrolled: 1-line block ×4, first 2 shown]
	v_mul_f32_e32 v5, v3, v23
	v_mul_f32_e64 v6, v23, -v1
	v_mul_f32_e64 v23, v24, -v37
	v_mul_f32_e32 v24, v36, v24
	v_mul_f32_e32 v13, v3, v27
	v_mul_f32_e64 v14, v27, -v1
	v_mul_f32_e64 v27, v28, -v37
	v_mul_f32_e32 v28, v36, v28
	v_fma_f32 v5, -v1, v22, v5
	v_fma_f32 v6, -v3, v22, v6
	v_mul_f32_e64 v22, v10, -v35
	v_mul_f32_e32 v10, v10, v4
	v_fmac_f32_e32 v23, v36, v21
	v_fmac_f32_e32 v24, v37, v21
	v_fma_f32 v1, -v1, v25, v13
	v_fma_f32 v3, -v3, v25, v14
	v_fmac_f32_e32 v27, v36, v26
	v_fmac_f32_e32 v28, v37, v26
	;; [unrolled: 1-line block ×4, first 2 shown]
	v_sub_f32_e32 v4, v5, v23
	v_sub_f32_e32 v5, v6, v24
	;; [unrolled: 1-line block ×4, first 2 shown]
	v_mul_f32_e64 v1, v16, -v10
	v_mul_f32_e32 v13, v16, v22
	v_fmac_f32_e32 v1, v22, v15
	v_fmac_f32_e32 v13, v10, v15
	s_waitcnt vmcnt(2)
	v_add_f32_e32 v3, v4, v31
	v_add_f32_e32 v4, v5, v32
	global_store_dwordx2 v[11:12], v[3:4], off
	s_waitcnt vmcnt(2)
	v_sub_f32_e32 v1, v33, v1
	s_waitcnt vmcnt(1)
	v_add_f32_e32 v3, v6, v29
	v_add_f32_e32 v4, v9, v30
	global_store_dwordx2 v[7:8], v[3:4], off
	v_sub_f32_e32 v7, v34, v13
.LBB221_16:                             ;   in Loop: Header=BB221_5 Depth=1
	s_or_b64 exec, exec, s[4:5]
	v_mov_b32_e32 v6, v7
	v_mov_b32_e32 v5, v1
                                        ; implicit-def: $vgpr7_vgpr8
                                        ; implicit-def: $vgpr3
                                        ; implicit-def: $vgpr11
                                        ; implicit-def: $vgpr22
                                        ; implicit-def: $vgpr21
                                        ; implicit-def: $vgpr15
.LBB221_17:                             ;   in Loop: Header=BB221_5 Depth=1
	s_or_saveexec_b64 s[2:3], s[20:21]
	v_mov_b32_e32 v8, s27
	s_xor_b64 exec, exec, s[2:3]
	s_cbranch_execz .LBB221_4
; %bb.18:                               ;   in Loop: Header=BB221_5 Depth=1
	v_mul_f32_e32 v8, v6, v6
	v_fmac_f32_e32 v8, v5, v5
	v_div_scale_f32 v9, s[4:5], v8, v8, 1.0
	v_rcp_f32_e32 v10, v9
	v_fma_f32 v13, -v9, v10, 1.0
	v_fmac_f32_e32 v10, v13, v10
	v_div_scale_f32 v13, vcc, 1.0, v8, 1.0
	v_mul_f32_e32 v14, v13, v10
	v_fma_f32 v16, -v9, v14, v13
	v_fmac_f32_e32 v14, v16, v10
	v_fma_f32 v9, -v9, v14, v13
	v_div_fmas_f32 v9, v9, v10, v14
	v_mov_b32_e32 v16, v2
	v_div_fixup_f32 v8, v9, v8, 1.0
	v_fma_f32 v9, 0, v6, v5
	v_fma_f32 v5, v5, 0, -v6
	v_mul_f32_e32 v13, v5, v8
	v_lshlrev_b64 v[5:6], 3, v[1:2]
	v_mov_b32_e32 v1, s9
	v_add_co_u32_e32 v23, vcc, s8, v5
	v_addc_co_u32_e32 v24, vcc, v1, v6, vcc
	v_mul_f32_e32 v10, v9, v8
	global_load_dwordx2 v[8:9], v[23:24], off
	s_waitcnt vmcnt(0)
	v_mul_f32_e64 v5, v13, -v9
	v_mul_f32_e32 v6, v13, v8
	v_fmac_f32_e32 v5, v8, v10
	v_fmac_f32_e32 v6, v9, v10
	v_lshlrev_b64 v[8:9], 3, v[15:16]
	v_add_co_u32_e32 v14, vcc, s8, v8
	v_addc_co_u32_e32 v15, vcc, v1, v9, vcc
	global_load_dwordx2 v[25:26], v[14:15], off
	s_waitcnt vmcnt(0)
	v_mul_f32_e64 v8, v13, -v26
	v_mul_f32_e32 v9, v13, v25
	v_fmac_f32_e32 v8, v25, v10
	v_fmac_f32_e32 v9, v26, v10
	global_store_dwordx2 v[23:24], v[5:6], off
	global_store_dwordx2 v[14:15], v[8:9], off
	s_and_saveexec_b64 s[4:5], s[0:1]
	s_cbranch_execz .LBB221_3
; %bb.19:                               ;   in Loop: Header=BB221_5 Depth=1
	v_add_u32_e32 v16, v17, v18
	v_add_u32_e32 v1, s28, v16
	v_lshlrev_b64 v[14:15], 3, v[1:2]
	v_mov_b32_e32 v1, s9
	v_add_co_u32_e32 v14, vcc, s8, v14
	v_addc_co_u32_e32 v15, vcc, v1, v15, vcc
	v_add_u32_e32 v1, s29, v16
	v_lshlrev_b64 v[25:26], 3, v[1:2]
	v_mov_b32_e32 v1, s9
	v_add_co_u32_e32 v25, vcc, s8, v25
	global_load_dwordx2 v[23:24], v[14:15], off
	v_addc_co_u32_e32 v26, vcc, v1, v26, vcc
	global_load_dwordx2 v[27:28], v[25:26], off
	s_waitcnt vmcnt(1)
	v_fma_f32 v1, -v4, v5, v24
	v_fma_f32 v23, -v3, v5, v23
	;; [unrolled: 1-line block ×3, first 2 shown]
	s_waitcnt vmcnt(0)
	v_fma_f32 v5, -v3, v8, v27
	v_fma_f32 v1, -v4, v8, v28
	v_fmac_f32_e32 v23, v4, v6
	v_fmac_f32_e32 v5, v4, v9
	v_fma_f32 v6, -v3, v9, v1
	global_store_dwordx2 v[14:15], v[23:24], off
	global_store_dwordx2 v[25:26], v[5:6], off
	s_branch .LBB221_3
.LBB221_20:
	s_or_b64 exec, exec, s[18:19]
	s_branch .LBB221_22
.LBB221_21:
	v_mov_b32_e32 v18, 0
.LBB221_22:
	v_subrev_u32_e32 v3, s22, v18
	v_add_u32_e32 v1, v3, v0
	v_ashrrev_i32_e32 v2, 31, v1
	v_lshlrev_b64 v[1:2], 2, v[1:2]
	s_waitcnt lgkmcnt(0)
	v_mov_b32_e32 v4, s17
	v_add_co_u32_e32 v1, vcc, s16, v1
	v_addc_co_u32_e32 v2, vcc, v4, v2, vcc
	s_waitcnt vmcnt(0)
	buffer_wbinvl1_vol
	global_load_dword v1, v[1:2], off
	s_waitcnt vmcnt(0)
	v_mul_lo_u32 v1, v1, s22
	v_sub_u32_e32 v7, v3, v1
	v_cmp_lt_i32_e32 vcc, -1, v7
	s_and_b64 exec, exec, vcc
	s_cbranch_execz .LBB221_29
; %bb.23:
	s_lshl_b32 s4, s24, 1
	s_add_i32 s5, s4, s23
	s_lshl_b32 s6, s22, 1
	s_mov_b64 s[0:1], 0
	v_mov_b32_e32 v8, s17
	v_mov_b32_e32 v9, s11
	;; [unrolled: 1-line block ×3, first 2 shown]
	s_branch .LBB221_25
.LBB221_24:                             ;   in Loop: Header=BB221_25 Depth=1
	s_or_b64 exec, exec, s[2:3]
	v_sub_u32_e32 v7, v7, v1
	v_cmp_gt_i32_e32 vcc, 0, v7
	s_or_b64 s[0:1], vcc, s[0:1]
	s_andn2_b64 exec, exec, s[0:1]
	s_cbranch_execz .LBB221_29
.LBB221_25:                             ; =>This Inner Loop Header: Depth=1
	v_add_u32_e32 v5, v7, v0
	v_ashrrev_i32_e32 v6, 31, v5
	s_waitcnt vmcnt(0)
	v_lshlrev_b64 v[3:4], 2, v[5:6]
	v_add_co_u32_e32 v3, vcc, s16, v3
	v_addc_co_u32_e32 v4, vcc, v8, v4, vcc
	global_load_dword v1, v[3:4], off
	v_lshlrev_b64 v[3:4], 3, v[5:6]
	v_add_co_u32_e32 v3, vcc, s10, v3
	v_addc_co_u32_e32 v4, vcc, v9, v4, vcc
	global_load_dwordx2 v[3:4], v[3:4], off
	s_waitcnt vmcnt(1)
	v_cmp_ne_u32_e32 vcc, 1, v1
	s_and_saveexec_b64 s[2:3], vcc
	s_xor_b64 s[2:3], exec, s[2:3]
	s_cbranch_execz .LBB221_27
; %bb.26:                               ;   in Loop: Header=BB221_25 Depth=1
	v_add_u32_e32 v6, v17, v7
	v_add_u32_e32 v1, s4, v6
	v_lshlrev_b64 v[10:11], 3, v[1:2]
	v_mov_b32_e32 v1, s9
	v_add_co_u32_e32 v10, vcc, s8, v10
	v_addc_co_u32_e32 v11, vcc, v1, v11, vcc
	v_add_u32_e32 v1, s5, v6
	v_lshlrev_b64 v[12:13], 3, v[1:2]
	v_add_u32_e32 v1, s4, v5
	v_lshlrev_b64 v[14:15], 3, v[1:2]
	v_mov_b32_e32 v1, s9
	v_add_co_u32_e32 v14, vcc, s8, v14
	v_addc_co_u32_e32 v15, vcc, v1, v15, vcc
	global_load_dwordx2 v[18:19], v[10:11], off
	global_load_dwordx2 v[20:21], v[14:15], off
	v_add_co_u32_e32 v10, vcc, s8, v12
	v_addc_co_u32_e32 v11, vcc, v1, v13, vcc
	v_add_u32_e32 v1, s5, v5
	v_lshlrev_b64 v[5:6], 3, v[1:2]
	v_mov_b32_e32 v12, s9
	v_add_co_u32_e32 v5, vcc, s8, v5
	v_addc_co_u32_e32 v6, vcc, v12, v6, vcc
	global_load_dwordx2 v[10:11], v[10:11], off
	v_mov_b32_e32 v22, s9
	s_waitcnt vmcnt(1)
	v_fma_f32 v12, -v3, v18, v20
	v_fma_f32 v1, -v4, v18, v21
	v_fmac_f32_e32 v12, v4, v19
	v_fma_f32 v13, -v3, v19, v1
	global_store_dwordx2 v[14:15], v[12:13], off
	global_load_dwordx2 v[12:13], v[5:6], off
	v_subrev_u32_e32 v1, s22, v7
	v_add_u32_e32 v14, v1, v0
	v_ashrrev_i32_e32 v15, 31, v14
	v_lshlrev_b64 v[15:16], 3, v[14:15]
	v_mov_b32_e32 v20, s11
	v_add_co_u32_e32 v15, vcc, s10, v15
	v_add_u32_e32 v1, s4, v14
	v_addc_co_u32_e32 v16, vcc, v20, v16, vcc
	v_lshlrev_b64 v[20:21], 3, v[1:2]
	global_load_dwordx2 v[15:16], v[15:16], off
	v_add_co_u32_e32 v20, vcc, s8, v20
	v_addc_co_u32_e32 v21, vcc, v22, v21, vcc
	s_waitcnt vmcnt(1)
	v_fma_f32 v12, -v3, v10, v12
	v_fma_f32 v1, -v4, v10, v13
	v_fmac_f32_e32 v12, v4, v11
	v_fma_f32 v13, -v3, v11, v1
	global_store_dwordx2 v[5:6], v[12:13], off
	global_load_dwordx2 v[3:4], v[20:21], off
	v_add_u32_e32 v1, s5, v14
	v_lshlrev_b64 v[5:6], 3, v[1:2]
	v_mov_b32_e32 v12, s9
	v_add_co_u32_e32 v5, vcc, s8, v5
	v_addc_co_u32_e32 v6, vcc, v12, v6, vcc
	s_waitcnt vmcnt(0)
	v_fma_f32 v3, -v15, v18, v3
	v_fma_f32 v1, -v16, v18, v4
	v_fmac_f32_e32 v3, v16, v19
	v_fma_f32 v4, -v15, v19, v1
	global_store_dwordx2 v[20:21], v[3:4], off
	global_load_dwordx2 v[3:4], v[5:6], off
	s_waitcnt vmcnt(0)
	v_fma_f32 v3, -v15, v10, v3
	v_fma_f32 v1, -v16, v10, v4
	v_fmac_f32_e32 v3, v16, v11
	v_fma_f32 v4, -v15, v11, v1
	global_store_dwordx2 v[5:6], v[3:4], off
                                        ; implicit-def: $vgpr5
                                        ; implicit-def: $vgpr3_vgpr4
.LBB221_27:                             ;   in Loop: Header=BB221_25 Depth=1
	s_or_saveexec_b64 s[2:3], s[2:3]
	v_mov_b32_e32 v1, s6
	s_xor_b64 exec, exec, s[2:3]
	s_cbranch_execz .LBB221_24
; %bb.28:                               ;   in Loop: Header=BB221_25 Depth=1
	v_add_u32_e32 v6, v17, v7
	v_add_u32_e32 v1, s4, v6
	v_lshlrev_b64 v[10:11], 3, v[1:2]
	v_mov_b32_e32 v1, s9
	v_add_co_u32_e32 v10, vcc, s8, v10
	v_addc_co_u32_e32 v11, vcc, v1, v11, vcc
	v_add_u32_e32 v1, s4, v5
	v_lshlrev_b64 v[12:13], 3, v[1:2]
	v_mov_b32_e32 v1, s9
	v_add_co_u32_e32 v12, vcc, s8, v12
	v_addc_co_u32_e32 v13, vcc, v1, v13, vcc
	global_load_dwordx2 v[14:15], v[10:11], off
	global_load_dwordx2 v[18:19], v[12:13], off
	v_add_u32_e32 v1, s5, v6
	v_lshlrev_b64 v[10:11], 3, v[1:2]
	v_add_u32_e32 v1, s5, v5
	v_mov_b32_e32 v16, s9
	v_lshlrev_b64 v[5:6], 3, v[1:2]
	v_add_co_u32_e32 v10, vcc, s8, v10
	v_addc_co_u32_e32 v11, vcc, v16, v11, vcc
	v_mov_b32_e32 v20, s9
	v_add_co_u32_e32 v5, vcc, s8, v5
	v_addc_co_u32_e32 v6, vcc, v20, v6, vcc
	s_waitcnt vmcnt(0)
	v_fma_f32 v18, -v3, v14, v18
	v_fma_f32 v1, -v4, v14, v19
	v_fmac_f32_e32 v18, v4, v15
	v_fma_f32 v19, -v3, v15, v1
	global_store_dwordx2 v[12:13], v[18:19], off
	global_load_dwordx2 v[12:13], v[10:11], off
	s_nop 0
	global_load_dwordx2 v[14:15], v[5:6], off
	s_waitcnt vmcnt(0)
	v_fma_f32 v10, -v3, v12, v14
	v_fma_f32 v1, -v4, v12, v15
	v_fmac_f32_e32 v10, v4, v13
	v_fma_f32 v11, -v3, v13, v1
	v_mov_b32_e32 v1, s22
	global_store_dwordx2 v[5:6], v[10:11], off
	s_branch .LBB221_24
.LBB221_29:
	s_endpgm
	.section	.rodata,"a",@progbits
	.p2align	6, 0x0
	.amdhsa_kernel _ZN9rocsparseL19gtsv_LBM_rhs_kernelILj256ELj16ELj2E21rocsparse_complex_numIfEEEviiiPKT2_S5_S5_PS3_S5_PKi
		.amdhsa_group_segment_fixed_size 0
		.amdhsa_private_segment_fixed_size 0
		.amdhsa_kernarg_size 64
		.amdhsa_user_sgpr_count 6
		.amdhsa_user_sgpr_private_segment_buffer 1
		.amdhsa_user_sgpr_dispatch_ptr 0
		.amdhsa_user_sgpr_queue_ptr 0
		.amdhsa_user_sgpr_kernarg_segment_ptr 1
		.amdhsa_user_sgpr_dispatch_id 0
		.amdhsa_user_sgpr_flat_scratch_init 0
		.amdhsa_user_sgpr_private_segment_size 0
		.amdhsa_uses_dynamic_stack 0
		.amdhsa_system_sgpr_private_segment_wavefront_offset 0
		.amdhsa_system_sgpr_workgroup_id_x 1
		.amdhsa_system_sgpr_workgroup_id_y 1
		.amdhsa_system_sgpr_workgroup_id_z 0
		.amdhsa_system_sgpr_workgroup_info 0
		.amdhsa_system_vgpr_workitem_id 0
		.amdhsa_next_free_vgpr 39
		.amdhsa_next_free_sgpr 30
		.amdhsa_reserve_vcc 1
		.amdhsa_reserve_flat_scratch 0
		.amdhsa_float_round_mode_32 0
		.amdhsa_float_round_mode_16_64 0
		.amdhsa_float_denorm_mode_32 3
		.amdhsa_float_denorm_mode_16_64 3
		.amdhsa_dx10_clamp 1
		.amdhsa_ieee_mode 1
		.amdhsa_fp16_overflow 0
		.amdhsa_exception_fp_ieee_invalid_op 0
		.amdhsa_exception_fp_denorm_src 0
		.amdhsa_exception_fp_ieee_div_zero 0
		.amdhsa_exception_fp_ieee_overflow 0
		.amdhsa_exception_fp_ieee_underflow 0
		.amdhsa_exception_fp_ieee_inexact 0
		.amdhsa_exception_int_div_zero 0
	.end_amdhsa_kernel
	.section	.text._ZN9rocsparseL19gtsv_LBM_rhs_kernelILj256ELj16ELj2E21rocsparse_complex_numIfEEEviiiPKT2_S5_S5_PS3_S5_PKi,"axG",@progbits,_ZN9rocsparseL19gtsv_LBM_rhs_kernelILj256ELj16ELj2E21rocsparse_complex_numIfEEEviiiPKT2_S5_S5_PS3_S5_PKi,comdat
.Lfunc_end221:
	.size	_ZN9rocsparseL19gtsv_LBM_rhs_kernelILj256ELj16ELj2E21rocsparse_complex_numIfEEEviiiPKT2_S5_S5_PS3_S5_PKi, .Lfunc_end221-_ZN9rocsparseL19gtsv_LBM_rhs_kernelILj256ELj16ELj2E21rocsparse_complex_numIfEEEviiiPKT2_S5_S5_PS3_S5_PKi
                                        ; -- End function
	.set _ZN9rocsparseL19gtsv_LBM_rhs_kernelILj256ELj16ELj2E21rocsparse_complex_numIfEEEviiiPKT2_S5_S5_PS3_S5_PKi.num_vgpr, 39
	.set _ZN9rocsparseL19gtsv_LBM_rhs_kernelILj256ELj16ELj2E21rocsparse_complex_numIfEEEviiiPKT2_S5_S5_PS3_S5_PKi.num_agpr, 0
	.set _ZN9rocsparseL19gtsv_LBM_rhs_kernelILj256ELj16ELj2E21rocsparse_complex_numIfEEEviiiPKT2_S5_S5_PS3_S5_PKi.numbered_sgpr, 30
	.set _ZN9rocsparseL19gtsv_LBM_rhs_kernelILj256ELj16ELj2E21rocsparse_complex_numIfEEEviiiPKT2_S5_S5_PS3_S5_PKi.num_named_barrier, 0
	.set _ZN9rocsparseL19gtsv_LBM_rhs_kernelILj256ELj16ELj2E21rocsparse_complex_numIfEEEviiiPKT2_S5_S5_PS3_S5_PKi.private_seg_size, 0
	.set _ZN9rocsparseL19gtsv_LBM_rhs_kernelILj256ELj16ELj2E21rocsparse_complex_numIfEEEviiiPKT2_S5_S5_PS3_S5_PKi.uses_vcc, 1
	.set _ZN9rocsparseL19gtsv_LBM_rhs_kernelILj256ELj16ELj2E21rocsparse_complex_numIfEEEviiiPKT2_S5_S5_PS3_S5_PKi.uses_flat_scratch, 0
	.set _ZN9rocsparseL19gtsv_LBM_rhs_kernelILj256ELj16ELj2E21rocsparse_complex_numIfEEEviiiPKT2_S5_S5_PS3_S5_PKi.has_dyn_sized_stack, 0
	.set _ZN9rocsparseL19gtsv_LBM_rhs_kernelILj256ELj16ELj2E21rocsparse_complex_numIfEEEviiiPKT2_S5_S5_PS3_S5_PKi.has_recursion, 0
	.set _ZN9rocsparseL19gtsv_LBM_rhs_kernelILj256ELj16ELj2E21rocsparse_complex_numIfEEEviiiPKT2_S5_S5_PS3_S5_PKi.has_indirect_call, 0
	.section	.AMDGPU.csdata,"",@progbits
; Kernel info:
; codeLenInByte = 2872
; TotalNumSgprs: 34
; NumVgprs: 39
; ScratchSize: 0
; MemoryBound: 0
; FloatMode: 240
; IeeeMode: 1
; LDSByteSize: 0 bytes/workgroup (compile time only)
; SGPRBlocks: 4
; VGPRBlocks: 9
; NumSGPRsForWavesPerEU: 34
; NumVGPRsForWavesPerEU: 39
; Occupancy: 6
; WaveLimiterHint : 0
; COMPUTE_PGM_RSRC2:SCRATCH_EN: 0
; COMPUTE_PGM_RSRC2:USER_SGPR: 6
; COMPUTE_PGM_RSRC2:TRAP_HANDLER: 0
; COMPUTE_PGM_RSRC2:TGID_X_EN: 1
; COMPUTE_PGM_RSRC2:TGID_Y_EN: 1
; COMPUTE_PGM_RSRC2:TGID_Z_EN: 0
; COMPUTE_PGM_RSRC2:TIDIG_COMP_CNT: 0
	.section	.text._ZN9rocsparseL19gtsv_LBM_rhs_kernelILj256ELj16ELj1E21rocsparse_complex_numIfEEEviiiPKT2_S5_S5_PS3_S5_PKi,"axG",@progbits,_ZN9rocsparseL19gtsv_LBM_rhs_kernelILj256ELj16ELj1E21rocsparse_complex_numIfEEEviiiPKT2_S5_S5_PS3_S5_PKi,comdat
	.globl	_ZN9rocsparseL19gtsv_LBM_rhs_kernelILj256ELj16ELj1E21rocsparse_complex_numIfEEEviiiPKT2_S5_S5_PS3_S5_PKi ; -- Begin function _ZN9rocsparseL19gtsv_LBM_rhs_kernelILj256ELj16ELj1E21rocsparse_complex_numIfEEEviiiPKT2_S5_S5_PS3_S5_PKi
	.p2align	8
	.type	_ZN9rocsparseL19gtsv_LBM_rhs_kernelILj256ELj16ELj1E21rocsparse_complex_numIfEEEviiiPKT2_S5_S5_PS3_S5_PKi,@function
_ZN9rocsparseL19gtsv_LBM_rhs_kernelILj256ELj16ELj1E21rocsparse_complex_numIfEEEviiiPKT2_S5_S5_PS3_S5_PKi: ; @_ZN9rocsparseL19gtsv_LBM_rhs_kernelILj256ELj16ELj1E21rocsparse_complex_numIfEEEviiiPKT2_S5_S5_PS3_S5_PKi
; %bb.0:
	s_load_dword s24, s[4:5], 0x0
	v_lshl_or_b32 v0, s6, 8, v0
	s_waitcnt lgkmcnt(0)
	s_lshr_b32 s22, s24, 4
	v_cmp_gt_i32_e32 vcc, s22, v0
	s_and_saveexec_b64 s[0:1], vcc
	s_cbranch_execz .LBB222_29
; %bb.1:
	s_load_dwordx4 s[8:11], s[4:5], 0x28
	s_load_dwordx2 s[16:17], s[4:5], 0x38
	s_cmp_lt_i32 s24, 1
	s_mul_i32 s23, s24, s7
	s_cbranch_scc1 .LBB222_21
; %bb.2:
	s_load_dwordx4 s[12:15], s[4:5], 0x10
	s_load_dwordx2 s[6:7], s[4:5], 0x20
	v_ashrrev_i32_e32 v1, 31, v0
	v_lshlrev_b64 v[1:2], 3, v[0:1]
	v_add_u32_e32 v18, s22, v0
	s_waitcnt lgkmcnt(0)
	v_mov_b32_e32 v3, s15
	v_add_co_u32_e32 v1, vcc, s14, v1
	v_addc_co_u32_e32 v2, vcc, v3, v2, vcc
	global_load_dwordx2 v[5:6], v[1:2], off
	s_mul_i32 s25, s22, 15
	s_mul_i32 s26, s22, 14
	s_lshl_b32 s27, s22, 1
	v_add_u32_e32 v19, s22, v18
	v_add_u32_e32 v20, s23, v18
	v_mov_b32_e32 v2, 0
	s_mov_b64 s[18:19], 0
	v_mov_b32_e32 v21, s7
	v_mov_b32_e32 v17, 0
	s_branch .LBB222_5
.LBB222_3:                              ;   in Loop: Header=BB222_5 Depth=1
	s_or_b64 exec, exec, s[4:5]
	v_fmac_f32_e32 v22, v3, v9
	v_fmac_f32_e32 v16, v4, v9
	v_mul_f32_e64 v1, v8, -v16
	v_mul_f32_e32 v3, v8, v22
	v_fmac_f32_e32 v1, v22, v7
	v_fmac_f32_e32 v3, v16, v7
	v_sub_f32_e32 v5, v11, v1
	v_sub_f32_e32 v6, v12, v3
	v_mov_b32_e32 v7, s22
.LBB222_4:                              ;   in Loop: Header=BB222_5 Depth=1
	s_or_b64 exec, exec, s[2:3]
	v_add_u32_e32 v17, v7, v17
	v_cmp_le_i32_e32 vcc, s24, v17
	s_or_b64 s[18:19], vcc, s[18:19]
	s_andn2_b64 exec, exec, s[18:19]
	s_cbranch_execz .LBB222_20
.LBB222_5:                              ; =>This Inner Loop Header: Depth=1
	v_add_u32_e32 v15, v17, v0
	v_ashrrev_i32_e32 v16, 31, v15
	v_lshlrev_b64 v[3:4], 3, v[15:16]
	v_cmp_gt_u32_e64 s[0:1], s25, v17
	v_add_co_u32_e32 v3, vcc, s6, v3
	v_addc_co_u32_e32 v4, vcc, v21, v4, vcc
	global_load_dwordx2 v[9:10], v[3:4], off
	v_add_u32_e32 v13, v18, v17
	v_mov_b32_e32 v3, 0
	v_mov_b32_e32 v4, 0
	s_and_saveexec_b64 s[2:3], s[0:1]
	s_cbranch_execz .LBB222_7
; %bb.6:                                ;   in Loop: Header=BB222_5 Depth=1
	v_ashrrev_i32_e32 v14, 31, v13
	v_lshlrev_b64 v[3:4], 3, v[13:14]
	v_mov_b32_e32 v1, s13
	v_add_co_u32_e32 v3, vcc, s12, v3
	v_addc_co_u32_e32 v4, vcc, v1, v4, vcc
	global_load_dwordx2 v[3:4], v[3:4], off
.LBB222_7:                              ;   in Loop: Header=BB222_5 Depth=1
	s_or_b64 exec, exec, s[2:3]
	v_mov_b32_e32 v7, 0
	v_mov_b32_e32 v11, 0
	;; [unrolled: 1-line block ×3, first 2 shown]
	s_and_saveexec_b64 s[2:3], s[0:1]
	s_cbranch_execz .LBB222_9
; %bb.8:                                ;   in Loop: Header=BB222_5 Depth=1
	v_ashrrev_i32_e32 v14, 31, v13
	v_lshlrev_b64 v[11:12], 3, v[13:14]
	v_mov_b32_e32 v1, s15
	v_add_co_u32_e32 v11, vcc, s14, v11
	v_addc_co_u32_e32 v12, vcc, v1, v12, vcc
	global_load_dwordx2 v[11:12], v[11:12], off
.LBB222_9:                              ;   in Loop: Header=BB222_5 Depth=1
	s_or_b64 exec, exec, s[2:3]
	v_mov_b32_e32 v8, 0
	s_and_saveexec_b64 s[2:3], s[0:1]
	s_cbranch_execz .LBB222_11
; %bb.10:                               ;   in Loop: Header=BB222_5 Depth=1
	v_ashrrev_i32_e32 v14, 31, v13
	v_lshlrev_b64 v[7:8], 3, v[13:14]
	v_mov_b32_e32 v1, s7
	v_add_co_u32_e32 v7, vcc, s6, v7
	v_addc_co_u32_e32 v8, vcc, v1, v8, vcc
	global_load_dwordx2 v[7:8], v[7:8], off
.LBB222_11:                             ;   in Loop: Header=BB222_5 Depth=1
	s_or_b64 exec, exec, s[2:3]
	v_cmp_gt_u32_e64 s[2:3], s26, v17
	v_mov_b32_e32 v13, 0
	v_mov_b32_e32 v14, 0
	s_and_saveexec_b64 s[4:5], s[2:3]
	s_cbranch_execz .LBB222_13
; %bb.12:                               ;   in Loop: Header=BB222_5 Depth=1
	v_add_u32_e32 v13, v19, v17
	v_ashrrev_i32_e32 v14, 31, v13
	v_lshlrev_b64 v[13:14], 3, v[13:14]
	v_mov_b32_e32 v1, s13
	v_add_co_u32_e32 v13, vcc, s12, v13
	v_addc_co_u32_e32 v14, vcc, v1, v14, vcc
	global_load_dwordx2 v[13:14], v[13:14], off
.LBB222_13:                             ;   in Loop: Header=BB222_5 Depth=1
	s_or_b64 exec, exec, s[4:5]
	v_lshlrev_b64 v[22:23], 2, v[15:16]
	v_mov_b32_e32 v1, s17
	v_add_co_u32_e32 v22, vcc, s16, v22
	v_addc_co_u32_e32 v23, vcc, v1, v23, vcc
	global_load_dword v1, v[22:23], off
	v_cmp_ne_u32_e32 vcc, s25, v17
	s_waitcnt vmcnt(1)
	v_mul_f32_e64 v22, v10, -v4
	v_mul_f32_e32 v16, v3, v10
	s_waitcnt vmcnt(0)
	v_cmp_ne_u32_e64 s[4:5], 1, v1
	s_and_b64 s[4:5], vcc, s[4:5]
	v_add_u32_e32 v1, s23, v15
	s_and_saveexec_b64 s[20:21], s[4:5]
	s_xor_b64 s[4:5], exec, s[20:21]
	s_cbranch_execz .LBB222_17
; %bb.14:                               ;   in Loop: Header=BB222_5 Depth=1
	v_lshlrev_b64 v[23:24], 3, v[1:2]
	v_mov_b32_e32 v1, s9
	v_add_co_u32_e32 v26, vcc, s8, v23
	v_addc_co_u32_e32 v27, vcc, v1, v24, vcc
	v_add_u32_e32 v1, v20, v17
	v_lshlrev_b64 v[23:24], 3, v[1:2]
	v_mov_b32_e32 v15, s9
	v_add_co_u32_e32 v28, vcc, s8, v23
	v_addc_co_u32_e32 v29, vcc, v15, v24, vcc
	v_mul_f32_e32 v15, v5, v12
	v_mul_f32_e64 v1, v12, -v6
	v_fmac_f32_e32 v15, v6, v11
	v_fmac_f32_e32 v16, v4, v9
	;; [unrolled: 1-line block ×4, first 2 shown]
	v_sub_f32_e32 v15, v15, v16
	v_sub_f32_e32 v1, v1, v22
	v_mul_f32_e32 v16, v15, v15
	v_fmac_f32_e32 v16, v1, v1
	v_div_scale_f32 v22, s[20:21], v16, v16, 1.0
	v_rcp_f32_e32 v23, v22
	v_fma_f32 v24, -v22, v23, 1.0
	v_fmac_f32_e32 v23, v24, v23
	v_div_scale_f32 v24, vcc, 1.0, v16, 1.0
	v_mul_f32_e32 v25, v24, v23
	v_fma_f32 v30, -v22, v25, v24
	v_fmac_f32_e32 v25, v30, v23
	v_fma_f32 v22, -v22, v25, v24
	v_div_fmas_f32 v22, v22, v23, v25
	v_fma_f32 v23, 0, v15, v1
	v_fma_f32 v1, v1, 0, -v15
	global_load_dwordx2 v[30:31], v[28:29], off
	v_div_fixup_f32 v16, v22, v16, 1.0
	v_mul_f32_e32 v15, v23, v16
	global_load_dwordx2 v[23:24], v[26:27], off
	v_mul_f32_e32 v16, v1, v16
	s_waitcnt vmcnt(1)
	v_mul_f32_e32 v25, v16, v30
	v_fmac_f32_e32 v25, v31, v15
	s_waitcnt vmcnt(0)
	v_mul_f32_e64 v22, v16, -v24
	v_fmac_f32_e32 v22, v23, v15
	v_mul_f32_e32 v23, v16, v23
	v_fmac_f32_e32 v23, v24, v15
	v_mul_f32_e64 v1, v23, -v12
	v_mul_f32_e64 v24, v16, -v31
	v_fmac_f32_e32 v1, v11, v22
	v_mul_f32_e32 v11, v11, v23
	v_fmac_f32_e32 v24, v30, v15
	v_fmac_f32_e32 v11, v12, v22
	v_mul_f32_e64 v12, v25, -v10
	v_mul_f32_e32 v30, v25, v9
	v_fmac_f32_e32 v12, v9, v24
	v_fmac_f32_e32 v30, v10, v24
	v_sub_f32_e32 v9, v1, v12
	v_sub_f32_e32 v10, v11, v30
	global_store_dwordx2 v[26:27], v[9:10], off
	v_mul_f32_e64 v9, v23, -v3
	v_mul_f32_e32 v1, v4, v23
	v_fma_f32 v10, -v4, v22, v9
	v_mul_f32_e64 v9, v25, -v6
	v_mul_f32_e32 v11, v5, v25
	v_fma_f32 v1, -v3, v22, v1
	v_fmac_f32_e32 v9, v5, v24
	v_fmac_f32_e32 v11, v6, v24
	v_add_f32_e32 v9, v1, v9
	v_add_f32_e32 v10, v10, v11
	global_store_dwordx2 v[28:29], v[9:10], off
	v_mov_b32_e32 v1, 0
	v_mov_b32_e32 v9, 0
	s_and_saveexec_b64 s[20:21], s[2:3]
	s_cbranch_execz .LBB222_16
; %bb.15:                               ;   in Loop: Header=BB222_5 Depth=1
	v_add_u32_e32 v9, v19, v17
	v_add_u32_e32 v1, s23, v9
	v_lshlrev_b64 v[10:11], 3, v[1:2]
	v_mov_b32_e32 v1, s9
	v_add_co_u32_e32 v26, vcc, s8, v10
	v_ashrrev_i32_e32 v10, 31, v9
	v_lshlrev_b64 v[9:10], 3, v[9:10]
	v_addc_co_u32_e32 v27, vcc, v1, v11, vcc
	v_mov_b32_e32 v1, s15
	v_add_co_u32_e32 v9, vcc, s14, v9
	v_addc_co_u32_e32 v10, vcc, v1, v10, vcc
	global_load_dwordx2 v[11:12], v[26:27], off
	v_mul_f32_e32 v1, v4, v14
	global_load_dwordx2 v[9:10], v[9:10], off
	v_mul_f32_e64 v28, v14, -v3
	v_fma_f32 v1, -v3, v13, v1
	v_fma_f32 v3, -v4, v13, v28
	v_mul_f32_e64 v4, v6, -v14
	v_mul_f32_e32 v28, v6, v13
	v_mul_f32_e64 v29, v14, -v6
	v_mul_f32_e32 v30, v5, v14
	v_fmac_f32_e32 v4, v13, v5
	v_fmac_f32_e32 v28, v14, v5
	;; [unrolled: 1-line block ×4, first 2 shown]
	v_mul_f32_e32 v5, v3, v23
	v_mul_f32_e64 v6, v23, -v1
	v_mul_f32_e64 v23, v8, -v28
	v_mul_f32_e32 v8, v8, v4
	v_mul_f32_e64 v13, v25, -v30
	v_mul_f32_e32 v14, v29, v25
	v_fmac_f32_e32 v23, v4, v7
	v_fmac_f32_e32 v8, v28, v7
	v_fma_f32 v1, -v1, v22, v5
	v_fma_f32 v3, -v3, v22, v6
	v_fmac_f32_e32 v13, v29, v24
	v_fmac_f32_e32 v14, v30, v24
	v_mul_f32_e64 v5, v16, -v8
	v_mul_f32_e32 v6, v16, v23
	v_sub_f32_e32 v1, v1, v13
	v_sub_f32_e32 v4, v3, v14
	v_fmac_f32_e32 v5, v23, v15
	v_fmac_f32_e32 v6, v8, v15
	s_waitcnt vmcnt(1)
	v_add_f32_e32 v3, v1, v11
	v_add_f32_e32 v4, v4, v12
	s_waitcnt vmcnt(0)
	v_sub_f32_e32 v9, v9, v5
	v_sub_f32_e32 v1, v10, v6
	global_store_dwordx2 v[26:27], v[3:4], off
.LBB222_16:                             ;   in Loop: Header=BB222_5 Depth=1
	s_or_b64 exec, exec, s[20:21]
	v_mov_b32_e32 v6, v1
	v_mov_b32_e32 v5, v9
                                        ; implicit-def: $vgpr9_vgpr10
                                        ; implicit-def: $vgpr3
                                        ; implicit-def: $vgpr11
                                        ; implicit-def: $vgpr22
                                        ; implicit-def: $vgpr16
.LBB222_17:                             ;   in Loop: Header=BB222_5 Depth=1
	s_or_saveexec_b64 s[2:3], s[4:5]
	v_mov_b32_e32 v7, s27
	s_xor_b64 exec, exec, s[2:3]
	s_cbranch_execz .LBB222_4
; %bb.18:                               ;   in Loop: Header=BB222_5 Depth=1
	v_mul_f32_e32 v7, v6, v6
	v_fmac_f32_e32 v7, v5, v5
	v_div_scale_f32 v8, s[4:5], v7, v7, 1.0
	v_rcp_f32_e32 v10, v8
	v_fma_f32 v13, -v8, v10, 1.0
	v_fmac_f32_e32 v10, v13, v10
	v_div_scale_f32 v13, vcc, 1.0, v7, 1.0
	v_mul_f32_e32 v14, v13, v10
	v_fma_f32 v15, -v8, v14, v13
	v_fmac_f32_e32 v14, v15, v10
	v_fma_f32 v8, -v8, v14, v13
	v_div_fmas_f32 v8, v8, v10, v14
	v_div_fixup_f32 v8, v8, v7, 1.0
	v_fma_f32 v7, 0, v6, v5
	v_fma_f32 v5, v5, 0, -v6
	v_mul_f32_e32 v7, v7, v8
	v_mul_f32_e32 v8, v5, v8
	v_lshlrev_b64 v[5:6], 3, v[1:2]
	v_mov_b32_e32 v1, s9
	v_add_co_u32_e32 v13, vcc, s8, v5
	v_addc_co_u32_e32 v14, vcc, v1, v6, vcc
	global_load_dwordx2 v[23:24], v[13:14], off
	s_waitcnt vmcnt(0)
	v_mul_f32_e64 v5, v8, -v24
	v_mul_f32_e32 v6, v8, v23
	v_fmac_f32_e32 v5, v23, v7
	v_fmac_f32_e32 v6, v24, v7
	global_store_dwordx2 v[13:14], v[5:6], off
	s_and_saveexec_b64 s[4:5], s[0:1]
	s_cbranch_execz .LBB222_3
; %bb.19:                               ;   in Loop: Header=BB222_5 Depth=1
	v_add_u32_e32 v1, v20, v17
	v_lshlrev_b64 v[13:14], 3, v[1:2]
	v_mov_b32_e32 v1, s9
	v_add_co_u32_e32 v13, vcc, s8, v13
	v_addc_co_u32_e32 v14, vcc, v1, v14, vcc
	global_load_dwordx2 v[23:24], v[13:14], off
	s_waitcnt vmcnt(0)
	v_fma_f32 v23, -v3, v5, v23
	v_fma_f32 v1, -v4, v5, v24
	v_fmac_f32_e32 v23, v4, v6
	v_fma_f32 v24, -v3, v6, v1
	global_store_dwordx2 v[13:14], v[23:24], off
	s_branch .LBB222_3
.LBB222_20:
	s_or_b64 exec, exec, s[18:19]
	s_branch .LBB222_22
.LBB222_21:
	v_mov_b32_e32 v17, 0
.LBB222_22:
	v_subrev_u32_e32 v3, s22, v17
	v_add_u32_e32 v1, v3, v0
	v_ashrrev_i32_e32 v2, 31, v1
	v_lshlrev_b64 v[1:2], 2, v[1:2]
	s_waitcnt lgkmcnt(0)
	v_mov_b32_e32 v4, s17
	v_add_co_u32_e32 v1, vcc, s16, v1
	v_addc_co_u32_e32 v2, vcc, v4, v2, vcc
	s_waitcnt vmcnt(0)
	buffer_wbinvl1_vol
	global_load_dword v1, v[1:2], off
	s_waitcnt vmcnt(0)
	v_mul_lo_u32 v1, v1, s22
	v_sub_u32_e32 v7, v3, v1
	v_cmp_lt_i32_e32 vcc, -1, v7
	s_and_b64 exec, exec, vcc
	s_cbranch_execz .LBB222_29
; %bb.23:
	s_add_i32 s0, s23, s22
	v_add_u32_e32 v8, s0, v0
	s_lshl_b32 s4, s22, 1
	s_mov_b64 s[0:1], 0
	v_mov_b32_e32 v9, s17
	v_mov_b32_e32 v10, s11
	v_mov_b32_e32 v2, 0
	s_branch .LBB222_25
.LBB222_24:                             ;   in Loop: Header=BB222_25 Depth=1
	s_or_b64 exec, exec, s[2:3]
	v_sub_u32_e32 v7, v7, v1
	v_cmp_gt_i32_e32 vcc, 0, v7
	s_or_b64 s[0:1], vcc, s[0:1]
	s_andn2_b64 exec, exec, s[0:1]
	s_cbranch_execz .LBB222_29
.LBB222_25:                             ; =>This Inner Loop Header: Depth=1
	v_add_u32_e32 v5, v7, v0
	v_ashrrev_i32_e32 v6, 31, v5
	s_waitcnt vmcnt(0)
	v_lshlrev_b64 v[3:4], 2, v[5:6]
	v_add_co_u32_e32 v3, vcc, s16, v3
	v_addc_co_u32_e32 v4, vcc, v9, v4, vcc
	global_load_dword v1, v[3:4], off
	v_lshlrev_b64 v[3:4], 3, v[5:6]
	v_add_co_u32_e32 v3, vcc, s10, v3
	v_addc_co_u32_e32 v4, vcc, v10, v4, vcc
	global_load_dwordx2 v[3:4], v[3:4], off
	s_waitcnt vmcnt(1)
	v_cmp_ne_u32_e32 vcc, 1, v1
	s_and_saveexec_b64 s[2:3], vcc
	s_xor_b64 s[2:3], exec, s[2:3]
	s_cbranch_execz .LBB222_27
; %bb.26:                               ;   in Loop: Header=BB222_25 Depth=1
	v_add_u32_e32 v1, v8, v7
	v_lshlrev_b64 v[11:12], 3, v[1:2]
	v_mov_b32_e32 v1, s9
	v_add_co_u32_e32 v11, vcc, s8, v11
	v_addc_co_u32_e32 v12, vcc, v1, v12, vcc
	v_add_u32_e32 v1, s23, v5
	v_lshlrev_b64 v[5:6], 3, v[1:2]
	v_mov_b32_e32 v1, s9
	v_add_co_u32_e32 v5, vcc, s8, v5
	v_addc_co_u32_e32 v6, vcc, v1, v6, vcc
	global_load_dwordx2 v[13:14], v[11:12], off
	global_load_dwordx2 v[15:16], v[5:6], off
	v_subrev_u32_e32 v1, s22, v7
	v_add_u32_e32 v11, v1, v0
	v_ashrrev_i32_e32 v12, 31, v11
	v_add_u32_e32 v1, s23, v11
	v_lshlrev_b64 v[11:12], 3, v[11:12]
	v_mov_b32_e32 v19, s11
	v_lshlrev_b64 v[17:18], 3, v[1:2]
	v_add_co_u32_e32 v11, vcc, s10, v11
	v_addc_co_u32_e32 v12, vcc, v19, v12, vcc
	v_mov_b32_e32 v20, s9
	v_add_co_u32_e32 v17, vcc, s8, v17
	v_addc_co_u32_e32 v18, vcc, v20, v18, vcc
	global_load_dwordx2 v[11:12], v[11:12], off
	s_waitcnt vmcnt(1)
	v_fma_f32 v15, -v3, v13, v15
	v_fma_f32 v1, -v4, v13, v16
	v_fmac_f32_e32 v15, v4, v14
	v_fma_f32 v16, -v3, v14, v1
	global_store_dwordx2 v[5:6], v[15:16], off
	global_load_dwordx2 v[3:4], v[17:18], off
                                        ; implicit-def: $vgpr5
	s_waitcnt vmcnt(0)
	v_fma_f32 v3, -v11, v13, v3
	v_fma_f32 v1, -v12, v13, v4
	v_fmac_f32_e32 v3, v12, v14
	v_fma_f32 v4, -v11, v14, v1
	global_store_dwordx2 v[17:18], v[3:4], off
                                        ; implicit-def: $vgpr3_vgpr4
.LBB222_27:                             ;   in Loop: Header=BB222_25 Depth=1
	s_or_saveexec_b64 s[2:3], s[2:3]
	v_mov_b32_e32 v1, s4
	s_xor_b64 exec, exec, s[2:3]
	s_cbranch_execz .LBB222_24
; %bb.28:                               ;   in Loop: Header=BB222_25 Depth=1
	v_add_u32_e32 v1, v8, v7
	v_lshlrev_b64 v[11:12], 3, v[1:2]
	v_mov_b32_e32 v1, s9
	v_add_co_u32_e32 v11, vcc, s8, v11
	v_addc_co_u32_e32 v12, vcc, v1, v12, vcc
	v_add_u32_e32 v1, s23, v5
	v_lshlrev_b64 v[5:6], 3, v[1:2]
	v_mov_b32_e32 v1, s9
	v_add_co_u32_e32 v5, vcc, s8, v5
	v_addc_co_u32_e32 v6, vcc, v1, v6, vcc
	global_load_dwordx2 v[13:14], v[11:12], off
	global_load_dwordx2 v[15:16], v[5:6], off
	s_waitcnt vmcnt(0)
	v_fma_f32 v11, -v3, v13, v15
	v_fma_f32 v1, -v4, v13, v16
	v_fmac_f32_e32 v11, v4, v14
	v_fma_f32 v12, -v3, v14, v1
	v_mov_b32_e32 v1, s22
	global_store_dwordx2 v[5:6], v[11:12], off
	s_branch .LBB222_24
.LBB222_29:
	s_endpgm
	.section	.rodata,"a",@progbits
	.p2align	6, 0x0
	.amdhsa_kernel _ZN9rocsparseL19gtsv_LBM_rhs_kernelILj256ELj16ELj1E21rocsparse_complex_numIfEEEviiiPKT2_S5_S5_PS3_S5_PKi
		.amdhsa_group_segment_fixed_size 0
		.amdhsa_private_segment_fixed_size 0
		.amdhsa_kernarg_size 64
		.amdhsa_user_sgpr_count 6
		.amdhsa_user_sgpr_private_segment_buffer 1
		.amdhsa_user_sgpr_dispatch_ptr 0
		.amdhsa_user_sgpr_queue_ptr 0
		.amdhsa_user_sgpr_kernarg_segment_ptr 1
		.amdhsa_user_sgpr_dispatch_id 0
		.amdhsa_user_sgpr_flat_scratch_init 0
		.amdhsa_user_sgpr_private_segment_size 0
		.amdhsa_uses_dynamic_stack 0
		.amdhsa_system_sgpr_private_segment_wavefront_offset 0
		.amdhsa_system_sgpr_workgroup_id_x 1
		.amdhsa_system_sgpr_workgroup_id_y 1
		.amdhsa_system_sgpr_workgroup_id_z 0
		.amdhsa_system_sgpr_workgroup_info 0
		.amdhsa_system_vgpr_workitem_id 0
		.amdhsa_next_free_vgpr 32
		.amdhsa_next_free_sgpr 28
		.amdhsa_reserve_vcc 1
		.amdhsa_reserve_flat_scratch 0
		.amdhsa_float_round_mode_32 0
		.amdhsa_float_round_mode_16_64 0
		.amdhsa_float_denorm_mode_32 3
		.amdhsa_float_denorm_mode_16_64 3
		.amdhsa_dx10_clamp 1
		.amdhsa_ieee_mode 1
		.amdhsa_fp16_overflow 0
		.amdhsa_exception_fp_ieee_invalid_op 0
		.amdhsa_exception_fp_denorm_src 0
		.amdhsa_exception_fp_ieee_div_zero 0
		.amdhsa_exception_fp_ieee_overflow 0
		.amdhsa_exception_fp_ieee_underflow 0
		.amdhsa_exception_fp_ieee_inexact 0
		.amdhsa_exception_int_div_zero 0
	.end_amdhsa_kernel
	.section	.text._ZN9rocsparseL19gtsv_LBM_rhs_kernelILj256ELj16ELj1E21rocsparse_complex_numIfEEEviiiPKT2_S5_S5_PS3_S5_PKi,"axG",@progbits,_ZN9rocsparseL19gtsv_LBM_rhs_kernelILj256ELj16ELj1E21rocsparse_complex_numIfEEEviiiPKT2_S5_S5_PS3_S5_PKi,comdat
.Lfunc_end222:
	.size	_ZN9rocsparseL19gtsv_LBM_rhs_kernelILj256ELj16ELj1E21rocsparse_complex_numIfEEEviiiPKT2_S5_S5_PS3_S5_PKi, .Lfunc_end222-_ZN9rocsparseL19gtsv_LBM_rhs_kernelILj256ELj16ELj1E21rocsparse_complex_numIfEEEviiiPKT2_S5_S5_PS3_S5_PKi
                                        ; -- End function
	.set _ZN9rocsparseL19gtsv_LBM_rhs_kernelILj256ELj16ELj1E21rocsparse_complex_numIfEEEviiiPKT2_S5_S5_PS3_S5_PKi.num_vgpr, 32
	.set _ZN9rocsparseL19gtsv_LBM_rhs_kernelILj256ELj16ELj1E21rocsparse_complex_numIfEEEviiiPKT2_S5_S5_PS3_S5_PKi.num_agpr, 0
	.set _ZN9rocsparseL19gtsv_LBM_rhs_kernelILj256ELj16ELj1E21rocsparse_complex_numIfEEEviiiPKT2_S5_S5_PS3_S5_PKi.numbered_sgpr, 28
	.set _ZN9rocsparseL19gtsv_LBM_rhs_kernelILj256ELj16ELj1E21rocsparse_complex_numIfEEEviiiPKT2_S5_S5_PS3_S5_PKi.num_named_barrier, 0
	.set _ZN9rocsparseL19gtsv_LBM_rhs_kernelILj256ELj16ELj1E21rocsparse_complex_numIfEEEviiiPKT2_S5_S5_PS3_S5_PKi.private_seg_size, 0
	.set _ZN9rocsparseL19gtsv_LBM_rhs_kernelILj256ELj16ELj1E21rocsparse_complex_numIfEEEviiiPKT2_S5_S5_PS3_S5_PKi.uses_vcc, 1
	.set _ZN9rocsparseL19gtsv_LBM_rhs_kernelILj256ELj16ELj1E21rocsparse_complex_numIfEEEviiiPKT2_S5_S5_PS3_S5_PKi.uses_flat_scratch, 0
	.set _ZN9rocsparseL19gtsv_LBM_rhs_kernelILj256ELj16ELj1E21rocsparse_complex_numIfEEEviiiPKT2_S5_S5_PS3_S5_PKi.has_dyn_sized_stack, 0
	.set _ZN9rocsparseL19gtsv_LBM_rhs_kernelILj256ELj16ELj1E21rocsparse_complex_numIfEEEviiiPKT2_S5_S5_PS3_S5_PKi.has_recursion, 0
	.set _ZN9rocsparseL19gtsv_LBM_rhs_kernelILj256ELj16ELj1E21rocsparse_complex_numIfEEEviiiPKT2_S5_S5_PS3_S5_PKi.has_indirect_call, 0
	.section	.AMDGPU.csdata,"",@progbits
; Kernel info:
; codeLenInByte = 2076
; TotalNumSgprs: 32
; NumVgprs: 32
; ScratchSize: 0
; MemoryBound: 0
; FloatMode: 240
; IeeeMode: 1
; LDSByteSize: 0 bytes/workgroup (compile time only)
; SGPRBlocks: 3
; VGPRBlocks: 7
; NumSGPRsForWavesPerEU: 32
; NumVGPRsForWavesPerEU: 32
; Occupancy: 8
; WaveLimiterHint : 0
; COMPUTE_PGM_RSRC2:SCRATCH_EN: 0
; COMPUTE_PGM_RSRC2:USER_SGPR: 6
; COMPUTE_PGM_RSRC2:TRAP_HANDLER: 0
; COMPUTE_PGM_RSRC2:TGID_X_EN: 1
; COMPUTE_PGM_RSRC2:TGID_Y_EN: 1
; COMPUTE_PGM_RSRC2:TGID_Z_EN: 0
; COMPUTE_PGM_RSRC2:TIDIG_COMP_CNT: 0
	.section	.text._ZN9rocsparseL29gtsv_spike_block_level_kernelILj256ELj16E21rocsparse_complex_numIfEEEviiiPT1_PKS3_S6_S4_S4_S4_S4_S4_,"axG",@progbits,_ZN9rocsparseL29gtsv_spike_block_level_kernelILj256ELj16E21rocsparse_complex_numIfEEEviiiPT1_PKS3_S6_S4_S4_S4_S4_S4_,comdat
	.globl	_ZN9rocsparseL29gtsv_spike_block_level_kernelILj256ELj16E21rocsparse_complex_numIfEEEviiiPT1_PKS3_S6_S4_S4_S4_S4_S4_ ; -- Begin function _ZN9rocsparseL29gtsv_spike_block_level_kernelILj256ELj16E21rocsparse_complex_numIfEEEviiiPT1_PKS3_S6_S4_S4_S4_S4_S4_
	.p2align	8
	.type	_ZN9rocsparseL29gtsv_spike_block_level_kernelILj256ELj16E21rocsparse_complex_numIfEEEviiiPT1_PKS3_S6_S4_S4_S4_S4_S4_,@function
_ZN9rocsparseL29gtsv_spike_block_level_kernelILj256ELj16E21rocsparse_complex_numIfEEEviiiPT1_PKS3_S6_S4_S4_S4_S4_S4_: ; @_ZN9rocsparseL29gtsv_spike_block_level_kernelILj256ELj16E21rocsparse_complex_numIfEEEviiiPT1_PKS3_S6_S4_S4_S4_S4_S4_
; %bb.0:
	s_load_dword s12, s[4:5], 0x0
	s_load_dwordx2 s[8:9], s[4:5], 0x18
	v_lshl_or_b32 v1, s6, 8, v0
	v_mov_b32_e32 v3, 0
	v_mov_b32_e32 v4, 0
	s_waitcnt lgkmcnt(0)
	s_lshr_b32 s20, s12, 4
	v_cmp_gt_i32_e64 s[0:1], s20, v1
	v_mov_b32_e32 v5, 0
	s_and_saveexec_b64 s[2:3], s[0:1]
	s_cbranch_execz .LBB223_2
; %bb.1:
	v_ashrrev_i32_e32 v2, 31, v1
	v_lshlrev_b64 v[4:5], 3, v[1:2]
	v_mov_b32_e32 v2, s9
	v_add_co_u32_e32 v4, vcc, s8, v4
	v_addc_co_u32_e32 v5, vcc, v2, v5, vcc
	global_load_dwordx2 v[4:5], v[4:5], off
.LBB223_2:
	s_or_b64 exec, exec, s[2:3]
	s_load_dwordx2 s[2:3], s[4:5], 0x20
	v_lshlrev_b32_e32 v8, 3, v0
	v_or_b32_e32 v9, 0x1000, v8
	s_waitcnt vmcnt(0)
	ds_write_b64 v8, v[4:5] offset:4096
	v_mov_b32_e32 v4, 0
	s_and_saveexec_b64 s[10:11], s[0:1]
	s_cbranch_execz .LBB223_4
; %bb.3:
	v_mad_u64_u32 v[2:3], s[14:15], s20, 15, v[1:2]
	v_mov_b32_e32 v3, 0
	v_mov_b32_e32 v4, s9
	v_lshlrev_b64 v[2:3], 3, v[2:3]
	v_add_co_u32_e32 v2, vcc, s8, v2
	v_addc_co_u32_e32 v3, vcc, v4, v3, vcc
	global_load_dwordx2 v[3:4], v[2:3], off
.LBB223_4:
	s_or_b64 exec, exec, s[10:11]
	s_waitcnt vmcnt(0)
	ds_write_b64 v9, v[3:4] offset:2048
	v_mov_b32_e32 v3, 0
	v_mov_b32_e32 v4, 0
	;; [unrolled: 1-line block ×3, first 2 shown]
	s_and_saveexec_b64 s[8:9], s[0:1]
	s_cbranch_execz .LBB223_6
; %bb.5:
	v_ashrrev_i32_e32 v2, 31, v1
	v_lshlrev_b64 v[4:5], 3, v[1:2]
	s_waitcnt lgkmcnt(0)
	v_mov_b32_e32 v2, s3
	v_add_co_u32_e32 v4, vcc, s2, v4
	v_addc_co_u32_e32 v5, vcc, v2, v5, vcc
	global_load_dwordx2 v[4:5], v[4:5], off
.LBB223_6:
	s_or_b64 exec, exec, s[8:9]
	s_load_dwordx2 s[16:17], s[4:5], 0x10
	s_waitcnt vmcnt(0)
	ds_write_b64 v8, v[4:5]
	v_mov_b32_e32 v4, 0
	s_and_saveexec_b64 s[8:9], s[0:1]
	s_cbranch_execz .LBB223_8
; %bb.7:
	v_mad_u64_u32 v[2:3], s[10:11], s20, 15, v[1:2]
	v_mov_b32_e32 v3, 0
	s_waitcnt lgkmcnt(0)
	v_mov_b32_e32 v4, s3
	v_lshlrev_b64 v[2:3], 3, v[2:3]
	v_add_co_u32_e32 v2, vcc, s2, v2
	v_addc_co_u32_e32 v3, vcc, v4, v3, vcc
	global_load_dwordx2 v[3:4], v[2:3], off
.LBB223_8:
	s_or_b64 exec, exec, s[8:9]
	s_mul_i32 s22, s12, s7
	s_waitcnt vmcnt(0)
	ds_write_b64 v8, v[3:4] offset:2048
	v_mov_b32_e32 v5, 0
	v_add_u32_e32 v3, s22, v1
	v_mov_b32_e32 v6, 0
	v_mov_b32_e32 v7, 0
	s_waitcnt lgkmcnt(0)
	s_and_saveexec_b64 s[2:3], s[0:1]
	s_cbranch_execz .LBB223_10
; %bb.9:
	v_ashrrev_i32_e32 v4, 31, v3
	v_lshlrev_b64 v[6:7], 3, v[3:4]
	v_mov_b32_e32 v2, s17
	v_add_co_u32_e32 v6, vcc, s16, v6
	v_addc_co_u32_e32 v7, vcc, v2, v7, vcc
	global_load_dwordx2 v[6:7], v[6:7], off
.LBB223_10:
	s_or_b64 exec, exec, s[2:3]
	s_load_dwordx2 s[2:3], s[4:5], 0x48
	s_load_dwordx8 s[8:15], s[4:5], 0x28
	v_or_b32_e32 v10, 0x2000, v8
	s_waitcnt vmcnt(0)
	ds_write_b64 v8, v[6:7] offset:8192
	s_mul_i32 s21, s20, 15
	v_mov_b32_e32 v6, 0
	s_and_saveexec_b64 s[18:19], s[0:1]
	s_cbranch_execz .LBB223_12
; %bb.11:
	s_mul_i32 s23, s20, 15
	s_add_i32 s23, s23, s22
	v_add_u32_e32 v4, s23, v1
	v_mov_b32_e32 v5, 0
	v_lshlrev_b64 v[4:5], 3, v[4:5]
	v_mov_b32_e32 v2, s17
	v_add_co_u32_e32 v4, vcc, s16, v4
	v_addc_co_u32_e32 v5, vcc, v2, v5, vcc
	global_load_dwordx2 v[5:6], v[4:5], off
.LBB223_12:
	s_or_b64 exec, exec, s[18:19]
	s_mov_b32 s22, 2
	s_waitcnt vmcnt(0)
	ds_write_b64 v10, v[5:6] offset:2048
	s_waitcnt lgkmcnt(0)
	s_barrier
	s_branch .LBB223_14
.LBB223_13:                             ;   in Loop: Header=BB223_14 Depth=1
	s_or_b64 exec, exec, s[18:19]
	s_lshl_b32 s18, s22, 1
	s_cmpk_lt_u32 s22, 0x81
	s_mov_b32 s22, s18
	s_waitcnt lgkmcnt(0)
	s_barrier
	s_cbranch_scc0 .LBB223_16
.LBB223_14:                             ; =>This Inner Loop Header: Depth=1
	s_ff1_i32_b32 s18, s22
	s_lshr_b32 s18, 0x100, s18
	v_cmp_gt_u32_e32 vcc, s18, v0
	s_and_saveexec_b64 s[18:19], vcc
	s_cbranch_execz .LBB223_13
; %bb.15:                               ;   in Loop: Header=BB223_14 Depth=1
	v_mul_lo_u32 v2, s22, v0
	s_lshr_b32 s23, s22, 1
	v_add_u32_e32 v15, s23, v2
	v_lshlrev_b32_e32 v23, 3, v15
	v_add_u32_e32 v24, 0x1000, v23
	ds_read2_b64 v[4:7], v23 offset1:255
	ds_read2_b64 v[11:14], v24 offset1:255
	v_add_u32_e32 v30, 0x2000, v23
	v_add_lshl_u32 v29, v15, s23, 3
	v_lshlrev_b32_e32 v2, 3, v2
	ds_read_b64 v[19:20], v2
	s_waitcnt lgkmcnt(1)
	v_mul_f32_e64 v16, v7, -v12
	v_mul_f32_e32 v21, v7, v11
	v_fmac_f32_e32 v16, v11, v6
	v_fmac_f32_e32 v21, v12, v6
	v_sub_f32_e32 v22, 1.0, v16
	v_mul_f32_e64 v25, -v21, -v21
	v_fmac_f32_e32 v25, v22, v22
	v_div_scale_f32 v26, s[24:25], v25, v25, 1.0
	v_div_scale_f32 v27, vcc, 1.0, v25, 1.0
	ds_read2_b64 v[15:18], v30 offset1:255
	v_sub_f32_e32 v21, 0, v21
	v_rcp_f32_e32 v28, v26
	v_fma_f32 v31, -v26, v28, 1.0
	v_fmac_f32_e32 v28, v31, v28
	v_mul_f32_e32 v31, v27, v28
	v_fma_f32 v32, -v26, v31, v27
	v_fmac_f32_e32 v31, v32, v28
	v_fma_f32 v26, -v26, v31, v27
	v_div_fmas_f32 v26, v26, v28, v31
	s_waitcnt lgkmcnt(0)
	v_mul_f32_e64 v27, v16, -v7
	v_mul_f32_e32 v32, v12, v17
	v_mul_f32_e32 v28, v16, v6
	v_mul_f32_e64 v31, v12, -v18
	v_fmac_f32_e32 v27, v6, v15
	v_fmac_f32_e32 v32, v18, v11
	;; [unrolled: 1-line block ×4, first 2 shown]
	v_sub_f32_e32 v27, v17, v27
	v_sub_f32_e32 v32, v16, v32
	v_fma_f32 v16, v22, 0, -v21
	v_sub_f32_e32 v28, v18, v28
	v_sub_f32_e32 v31, v15, v31
	v_fma_f32 v15, 0, v21, v22
	v_div_fixup_f32 v17, v26, v25, 1.0
	v_mul_f32_e32 v26, v16, v17
	v_mul_f32_e32 v25, v15, v17
	v_mul_f32_e64 v15, v26, -v28
	v_mul_f32_e32 v16, v26, v27
	v_mul_f32_e64 v17, v26, -v32
	v_mul_f32_e32 v18, v26, v31
	v_fmac_f32_e32 v15, v27, v25
	v_fmac_f32_e32 v16, v28, v25
	;; [unrolled: 1-line block ×4, first 2 shown]
	ds_write2_b64 v30, v[17:18], v[15:16] offset1:255
	v_mul_f32_e64 v27, v18, -v20
	v_mul_f32_e32 v28, v18, v19
	v_mul_f32_e32 v18, v5, v6
	v_fmac_f32_e32 v27, v19, v17
	v_fmac_f32_e32 v28, v20, v17
	v_mul_f32_e64 v17, v5, -v7
	v_fmac_f32_e32 v18, v7, v4
	v_fmac_f32_e32 v17, v6, v4
	v_mul_f32_e32 v6, v26, v18
	v_mul_f32_e64 v7, v18, -v25
	v_fma_f32 v6, -v25, v17, v6
	v_fma_f32 v7, -v26, v17, v7
	v_mul_f32_e64 v17, v5, -v26
	v_mul_f32_e32 v18, v25, v5
	v_mul_f32_e32 v5, v12, v13
	v_fmac_f32_e32 v17, v25, v4
	v_fmac_f32_e32 v18, v26, v4
	v_mul_f32_e64 v4, v12, -v14
	v_fmac_f32_e32 v5, v14, v11
	ds_read_b64 v[15:16], v2 offset:8192
	ds_read_b64 v[21:22], v29 offset:6136
	ds_write2_b64 v23, v[17:18], v[6:7] offset1:255
	v_fmac_f32_e32 v4, v13, v11
	v_mul_f32_e32 v6, v26, v5
	v_mul_f32_e64 v5, v5, -v25
	v_fma_f32 v11, -v25, v4, v6
	v_fma_f32 v12, -v26, v4, v5
	v_mul_f32_e64 v4, v14, -v26
	v_mul_f32_e32 v5, v25, v14
	v_fmac_f32_e32 v4, v25, v13
	v_fmac_f32_e32 v5, v26, v13
	ds_write2_b64 v24, v[11:12], v[4:5] offset1:255
	ds_read2st64_b64 v[4:7], v2 offset1:8
	s_waitcnt lgkmcnt(4)
	v_sub_f32_e32 v13, v15, v27
	v_sub_f32_e32 v14, v16, v28
	ds_write_b64 v2, v[13:14] offset:8192
	ds_read_b64 v[13:14], v23 offset:10232
	s_waitcnt lgkmcnt(2)
	v_mul_f32_e64 v15, v12, -v5
	v_mul_f32_e32 v12, v12, v4
	v_fmac_f32_e32 v15, v4, v11
	v_fmac_f32_e32 v12, v5, v11
	v_mul_f32_e32 v11, v18, v5
	v_fma_f32 v11, -v4, v17, v11
	v_mul_f32_e64 v4, v18, -v4
	v_sub_f32_e32 v6, v6, v15
	v_sub_f32_e32 v7, v7, v12
	v_fma_f32 v12, -v5, v17, v4
	ds_write2st64_b64 v2, v[11:12], v[6:7] offset1:8
	ds_read_b64 v[4:5], v23 offset:2040
	ds_read_b64 v[6:7], v29 offset:2040
	;; [unrolled: 1-line block ×5, first 2 shown]
	s_waitcnt lgkmcnt(6)
	v_mul_f32_e64 v2, v14, -v22
	v_fmac_f32_e32 v2, v21, v13
	v_mul_f32_e32 v14, v14, v21
	v_fmac_f32_e32 v14, v22, v13
	s_waitcnt lgkmcnt(1)
	v_sub_f32_e32 v13, v15, v2
	s_waitcnt lgkmcnt(0)
	v_mul_f32_e64 v2, v18, -v5
	v_sub_f32_e32 v14, v16, v14
	v_fmac_f32_e32 v2, v4, v17
	ds_write_b64 v29, v[13:14] offset:10232
	v_mul_f32_e32 v13, v18, v4
	v_sub_f32_e32 v4, v6, v2
	v_mul_f32_e32 v2, v18, v12
	v_fmac_f32_e32 v13, v5, v17
	v_fma_f32 v6, -v17, v11, v2
	v_mul_f32_e64 v2, v12, -v17
	v_sub_f32_e32 v5, v7, v13
	v_fma_f32 v7, -v18, v11, v2
	v_add_u32_e32 v2, 0x1f8, v29
	ds_write2st64_b64 v2, v[4:5], v[6:7] offset0:3 offset1:11
	s_branch .LBB223_13
.LBB223_16:
	s_and_saveexec_b64 s[18:19], s[0:1]
	s_cbranch_execnz .LBB223_19
; %bb.17:
	s_or_b64 exec, exec, s[18:19]
	v_cmp_eq_u32_e32 vcc, 0, v0
	s_and_saveexec_b64 s[0:1], vcc
	s_cbranch_execnz .LBB223_23
.LBB223_18:
	s_endpgm
.LBB223_19:
	s_cmp_eq_u32 s7, 0
	s_cbranch_scc1 .LBB223_27
; %bb.20:
	s_mul_i32 s20, s20, 15
	s_cbranch_execnz .LBB223_22
.LBB223_21:
	v_ashrrev_i32_e32 v2, 31, v1
	v_lshlrev_b64 v[11:12], 3, v[1:2]
	ds_read2st64_b64 v[4:7], v9 offset1:4
	v_mov_b32_e32 v2, s9
	v_add_co_u32_e32 v13, vcc, s8, v11
	v_addc_co_u32_e32 v14, vcc, v2, v12, vcc
	v_add_u32_e32 v1, s21, v1
	v_mov_b32_e32 v2, 0
	v_lshlrev_b64 v[1:2], 3, v[1:2]
	s_waitcnt lgkmcnt(0)
	global_store_dwordx2 v[13:14], v[4:5], off
	v_mov_b32_e32 v5, s9
	v_add_co_u32_e32 v4, vcc, s8, v1
	v_addc_co_u32_e32 v5, vcc, v5, v2, vcc
	global_store_dwordx2 v[4:5], v[6:7], off
	ds_read2st64_b64 v[4:7], v8 offset1:4
	v_mov_b32_e32 v9, s11
	v_add_co_u32_e32 v8, vcc, s10, v11
	v_addc_co_u32_e32 v9, vcc, v9, v12, vcc
	s_waitcnt lgkmcnt(0)
	global_store_dwordx2 v[8:9], v[4:5], off
	v_mov_b32_e32 v4, s11
	v_add_co_u32_e32 v1, vcc, s10, v1
	v_addc_co_u32_e32 v2, vcc, v4, v2, vcc
	s_mov_b32 s20, s21
	global_store_dwordx2 v[1:2], v[6:7], off
.LBB223_22:
	v_ashrrev_i32_e32 v4, 31, v3
	v_lshlrev_b64 v[1:2], 3, v[3:4]
	ds_read2st64_b64 v[4:7], v10 offset1:4
	v_mov_b32_e32 v8, s17
	v_add_co_u32_e32 v1, vcc, s16, v1
	v_addc_co_u32_e32 v2, vcc, v8, v2, vcc
	s_waitcnt lgkmcnt(0)
	global_store_dwordx2 v[1:2], v[4:5], off
	v_add_u32_e32 v1, s20, v3
	v_mov_b32_e32 v2, 0
	v_lshlrev_b64 v[1:2], 3, v[1:2]
	v_mov_b32_e32 v3, s17
	v_add_co_u32_e32 v1, vcc, s16, v1
	v_addc_co_u32_e32 v2, vcc, v3, v2, vcc
	global_store_dwordx2 v[1:2], v[6:7], off
	s_or_b64 exec, exec, s[18:19]
	v_cmp_eq_u32_e32 vcc, 0, v0
	s_and_saveexec_b64 s[0:1], vcc
	s_cbranch_execz .LBB223_18
.LBB223_23:
	s_cmp_eq_u32 s7, 0
	s_cbranch_scc1 .LBB223_28
; %bb.24:
	s_load_dword s8, s[4:5], 0x50
	s_cbranch_execnz .LBB223_26
.LBB223_25:
	v_mov_b32_e32 v0, 0xff8
	ds_read2_b64 v[0:3], v0 offset1:1
	s_mov_b32 s0, s7
	s_ashr_i32 s7, s6, 31
	s_waitcnt lgkmcnt(0)
	s_load_dword s8, s[4:5], 0x50
	s_lshl_b64 s[10:11], s[6:7], 3
	s_mov_b32 s7, s0
	s_add_u32 s0, s14, s10
	s_addc_u32 s1, s15, s11
	v_mov_b32_e32 v6, 0
	ds_read_b64 v[4:5], v6
	global_store_dwordx2 v6, v[2:3], s[0:1]
	ds_read_b64 v[2:3], v6 offset:8184
	s_waitcnt lgkmcnt(0)
	s_add_i32 s0, s8, s6
	s_mov_b32 s1, 0
	s_lshl_b64 s[0:1], s[0:1], 3
	s_add_u32 s4, s14, s0
	s_addc_u32 s5, s15, s1
	global_store_dwordx2 v6, v[2:3], s[4:5]
	s_add_u32 s4, s2, s10
	s_addc_u32 s5, s3, s11
	s_add_u32 s0, s2, s0
	s_addc_u32 s1, s3, s1
	global_store_dwordx2 v6, v[4:5], s[4:5]
	global_store_dwordx2 v6, v[0:1], s[0:1]
.LBB223_26:
	s_waitcnt lgkmcnt(0)
	s_mul_i32 s0, s8, s7
	s_lshl_b32 s0, s0, 1
	s_add_i32 s0, s0, s6
	s_mov_b32 s1, 0
	v_mov_b32_e32 v4, 0
	s_lshl_b64 s[2:3], s[0:1], 3
	ds_read_b64 v[0:1], v4 offset:8192
	ds_read_b64 v[2:3], v4 offset:12280
	s_add_u32 s2, s12, s2
	s_addc_u32 s3, s13, s3
	s_add_i32 s0, s0, s8
	s_lshl_b64 s[0:1], s[0:1], 3
	s_add_u32 s0, s12, s0
	s_addc_u32 s1, s13, s1
	s_waitcnt lgkmcnt(1)
	global_store_dwordx2 v4, v[0:1], s[2:3]
	s_waitcnt lgkmcnt(0)
	global_store_dwordx2 v4, v[2:3], s[0:1]
	s_endpgm
.LBB223_27:
                                        ; implicit-def: $sgpr20
	s_branch .LBB223_21
.LBB223_28:
                                        ; implicit-def: $sgpr8
	s_branch .LBB223_25
	.section	.rodata,"a",@progbits
	.p2align	6, 0x0
	.amdhsa_kernel _ZN9rocsparseL29gtsv_spike_block_level_kernelILj256ELj16E21rocsparse_complex_numIfEEEviiiPT1_PKS3_S6_S4_S4_S4_S4_S4_
		.amdhsa_group_segment_fixed_size 12288
		.amdhsa_private_segment_fixed_size 0
		.amdhsa_kernarg_size 336
		.amdhsa_user_sgpr_count 6
		.amdhsa_user_sgpr_private_segment_buffer 1
		.amdhsa_user_sgpr_dispatch_ptr 0
		.amdhsa_user_sgpr_queue_ptr 0
		.amdhsa_user_sgpr_kernarg_segment_ptr 1
		.amdhsa_user_sgpr_dispatch_id 0
		.amdhsa_user_sgpr_flat_scratch_init 0
		.amdhsa_user_sgpr_private_segment_size 0
		.amdhsa_uses_dynamic_stack 0
		.amdhsa_system_sgpr_private_segment_wavefront_offset 0
		.amdhsa_system_sgpr_workgroup_id_x 1
		.amdhsa_system_sgpr_workgroup_id_y 1
		.amdhsa_system_sgpr_workgroup_id_z 0
		.amdhsa_system_sgpr_workgroup_info 0
		.amdhsa_system_vgpr_workitem_id 0
		.amdhsa_next_free_vgpr 41
		.amdhsa_next_free_sgpr 98
		.amdhsa_reserve_vcc 1
		.amdhsa_reserve_flat_scratch 0
		.amdhsa_float_round_mode_32 0
		.amdhsa_float_round_mode_16_64 0
		.amdhsa_float_denorm_mode_32 3
		.amdhsa_float_denorm_mode_16_64 3
		.amdhsa_dx10_clamp 1
		.amdhsa_ieee_mode 1
		.amdhsa_fp16_overflow 0
		.amdhsa_exception_fp_ieee_invalid_op 0
		.amdhsa_exception_fp_denorm_src 0
		.amdhsa_exception_fp_ieee_div_zero 0
		.amdhsa_exception_fp_ieee_overflow 0
		.amdhsa_exception_fp_ieee_underflow 0
		.amdhsa_exception_fp_ieee_inexact 0
		.amdhsa_exception_int_div_zero 0
	.end_amdhsa_kernel
	.section	.text._ZN9rocsparseL29gtsv_spike_block_level_kernelILj256ELj16E21rocsparse_complex_numIfEEEviiiPT1_PKS3_S6_S4_S4_S4_S4_S4_,"axG",@progbits,_ZN9rocsparseL29gtsv_spike_block_level_kernelILj256ELj16E21rocsparse_complex_numIfEEEviiiPT1_PKS3_S6_S4_S4_S4_S4_S4_,comdat
.Lfunc_end223:
	.size	_ZN9rocsparseL29gtsv_spike_block_level_kernelILj256ELj16E21rocsparse_complex_numIfEEEviiiPT1_PKS3_S6_S4_S4_S4_S4_S4_, .Lfunc_end223-_ZN9rocsparseL29gtsv_spike_block_level_kernelILj256ELj16E21rocsparse_complex_numIfEEEviiiPT1_PKS3_S6_S4_S4_S4_S4_S4_
                                        ; -- End function
	.set _ZN9rocsparseL29gtsv_spike_block_level_kernelILj256ELj16E21rocsparse_complex_numIfEEEviiiPT1_PKS3_S6_S4_S4_S4_S4_S4_.num_vgpr, 33
	.set _ZN9rocsparseL29gtsv_spike_block_level_kernelILj256ELj16E21rocsparse_complex_numIfEEEviiiPT1_PKS3_S6_S4_S4_S4_S4_S4_.num_agpr, 0
	.set _ZN9rocsparseL29gtsv_spike_block_level_kernelILj256ELj16E21rocsparse_complex_numIfEEEviiiPT1_PKS3_S6_S4_S4_S4_S4_S4_.numbered_sgpr, 26
	.set _ZN9rocsparseL29gtsv_spike_block_level_kernelILj256ELj16E21rocsparse_complex_numIfEEEviiiPT1_PKS3_S6_S4_S4_S4_S4_S4_.num_named_barrier, 0
	.set _ZN9rocsparseL29gtsv_spike_block_level_kernelILj256ELj16E21rocsparse_complex_numIfEEEviiiPT1_PKS3_S6_S4_S4_S4_S4_S4_.private_seg_size, 0
	.set _ZN9rocsparseL29gtsv_spike_block_level_kernelILj256ELj16E21rocsparse_complex_numIfEEEviiiPT1_PKS3_S6_S4_S4_S4_S4_S4_.uses_vcc, 1
	.set _ZN9rocsparseL29gtsv_spike_block_level_kernelILj256ELj16E21rocsparse_complex_numIfEEEviiiPT1_PKS3_S6_S4_S4_S4_S4_S4_.uses_flat_scratch, 0
	.set _ZN9rocsparseL29gtsv_spike_block_level_kernelILj256ELj16E21rocsparse_complex_numIfEEEviiiPT1_PKS3_S6_S4_S4_S4_S4_S4_.has_dyn_sized_stack, 0
	.set _ZN9rocsparseL29gtsv_spike_block_level_kernelILj256ELj16E21rocsparse_complex_numIfEEEviiiPT1_PKS3_S6_S4_S4_S4_S4_S4_.has_recursion, 0
	.set _ZN9rocsparseL29gtsv_spike_block_level_kernelILj256ELj16E21rocsparse_complex_numIfEEEviiiPT1_PKS3_S6_S4_S4_S4_S4_S4_.has_indirect_call, 0
	.section	.AMDGPU.csdata,"",@progbits
; Kernel info:
; codeLenInByte = 1924
; TotalNumSgprs: 30
; NumVgprs: 33
; ScratchSize: 0
; MemoryBound: 0
; FloatMode: 240
; IeeeMode: 1
; LDSByteSize: 12288 bytes/workgroup (compile time only)
; SGPRBlocks: 12
; VGPRBlocks: 10
; NumSGPRsForWavesPerEU: 102
; NumVGPRsForWavesPerEU: 41
; Occupancy: 5
; WaveLimiterHint : 0
; COMPUTE_PGM_RSRC2:SCRATCH_EN: 0
; COMPUTE_PGM_RSRC2:USER_SGPR: 6
; COMPUTE_PGM_RSRC2:TRAP_HANDLER: 0
; COMPUTE_PGM_RSRC2:TGID_X_EN: 1
; COMPUTE_PGM_RSRC2:TGID_Y_EN: 1
; COMPUTE_PGM_RSRC2:TGID_Z_EN: 0
; COMPUTE_PGM_RSRC2:TIDIG_COMP_CNT: 0
	.section	.text._ZN9rocsparseL33gtsv_solve_spike_propagate_kernelILj256ELj16E21rocsparse_complex_numIfEEEviiiPT1_PKS3_S6_S6_,"axG",@progbits,_ZN9rocsparseL33gtsv_solve_spike_propagate_kernelILj256ELj16E21rocsparse_complex_numIfEEEviiiPT1_PKS3_S6_S6_,comdat
	.globl	_ZN9rocsparseL33gtsv_solve_spike_propagate_kernelILj256ELj16E21rocsparse_complex_numIfEEEviiiPT1_PKS3_S6_S6_ ; -- Begin function _ZN9rocsparseL33gtsv_solve_spike_propagate_kernelILj256ELj16E21rocsparse_complex_numIfEEEviiiPT1_PKS3_S6_S6_
	.p2align	8
	.type	_ZN9rocsparseL33gtsv_solve_spike_propagate_kernelILj256ELj16E21rocsparse_complex_numIfEEEviiiPT1_PKS3_S6_S6_,@function
_ZN9rocsparseL33gtsv_solve_spike_propagate_kernelILj256ELj16E21rocsparse_complex_numIfEEEviiiPT1_PKS3_S6_S6_: ; @_ZN9rocsparseL33gtsv_solve_spike_propagate_kernelILj256ELj16E21rocsparse_complex_numIfEEEviiiPT1_PKS3_S6_S6_
; %bb.0:
	s_load_dword s10, s[4:5], 0x0
	v_lshl_or_b32 v1, s6, 8, v0
	v_lshlrev_b32_e32 v6, 3, v0
	s_waitcnt lgkmcnt(0)
	s_lshr_b32 s14, s10, 4
	v_cmp_gt_i32_e32 vcc, s14, v1
	v_cmp_le_i32_e64 s[0:1], s14, v1
	s_and_saveexec_b64 s[2:3], s[0:1]
	s_xor_b64 s[2:3], exec, s[2:3]
; %bb.1:
	v_mov_b32_e32 v2, 0
	v_mov_b32_e32 v3, v2
	ds_write_b64 v6, v[2:3] offset:8208
; %bb.2:
	s_or_saveexec_b64 s[8:9], s[2:3]
	v_mov_b32_e32 v3, 0
	v_ashrrev_i32_e32 v2, 31, v1
	v_mov_b32_e32 v4, 0
	s_xor_b64 exec, exec, s[8:9]
	s_cbranch_execz .LBB224_4
; %bb.3:
	s_load_dwordx2 s[12:13], s[4:5], 0x18
	v_mad_u64_u32 v[7:8], s[2:3], s14, 15, v[1:2]
	v_lshlrev_b64 v[3:4], 3, v[1:2]
	v_mov_b32_e32 v8, 0
	s_waitcnt lgkmcnt(0)
	v_mov_b32_e32 v5, s13
	v_add_co_u32_e64 v9, s[2:3], s12, v3
	v_addc_co_u32_e64 v10, s[2:3], v5, v4, s[2:3]
	v_lshlrev_b64 v[3:4], 3, v[7:8]
	v_add_co_u32_e64 v7, s[2:3], s12, v3
	v_addc_co_u32_e64 v8, s[2:3], v5, v4, s[2:3]
	global_load_dwordx2 v[11:12], v[9:10], off
	global_load_dwordx2 v[3:4], v[7:8], off
	s_waitcnt vmcnt(1)
	ds_write_b64 v6, v[11:12] offset:8208
.LBB224_4:
	s_or_b64 exec, exec, s[8:9]
	s_load_dwordx2 s[2:3], s[4:5], 0x10
	s_waitcnt vmcnt(0)
	ds_write_b64 v6, v[3:4] offset:10256
	s_and_saveexec_b64 s[8:9], s[0:1]
	s_xor_b64 s[0:1], exec, s[8:9]
	s_cbranch_execz .LBB224_6
; %bb.5:
	s_mov_b32 s8, 0
	s_mov_b32 s9, s8
	v_mov_b32_e32 v2, s8
	v_mov_b32_e32 v3, s9
	v_add_u32_e32 v4, 16, v6
	ds_write2st64_b64 v4, v[2:3], v[2:3] offset0:8 offset1:12
.LBB224_6:
	s_or_saveexec_b64 s[8:9], s[0:1]
	v_mov_b32_e32 v3, 0
	s_mul_i32 s10, s10, s7
	v_mov_b32_e32 v5, 0
	v_mov_b32_e32 v4, 0
	s_xor_b64 exec, exec, s[8:9]
	s_cbranch_execz .LBB224_8
; %bb.7:
	s_load_dwordx2 s[12:13], s[4:5], 0x20
	v_mad_u64_u32 v[7:8], s[0:1], s14, 15, v[1:2]
	v_lshlrev_b64 v[4:5], 3, v[1:2]
	v_mov_b32_e32 v8, 0
	s_waitcnt lgkmcnt(0)
	v_mov_b32_e32 v2, s13
	v_add_co_u32_e64 v4, s[0:1], s12, v4
	v_lshlrev_b64 v[9:10], 3, v[7:8]
	v_addc_co_u32_e64 v5, s[0:1], v2, v5, s[0:1]
	v_add_co_u32_e64 v9, s[0:1], s12, v9
	v_add_u32_e32 v7, s10, v7
	v_addc_co_u32_e64 v10, s[0:1], v2, v10, s[0:1]
	global_load_dwordx2 v[11:12], v[4:5], off
	global_load_dwordx2 v[13:14], v[9:10], off
	v_lshlrev_b64 v[4:5], 3, v[7:8]
	v_mov_b32_e32 v2, s3
	v_add_co_u32_e64 v4, s[0:1], s2, v4
	v_addc_co_u32_e64 v5, s[0:1], v2, v5, s[0:1]
	global_load_dwordx2 v[4:5], v[4:5], off
	v_add_u32_e32 v2, 16, v6
	s_waitcnt vmcnt(1)
	ds_write2st64_b64 v2, v[11:12], v[13:14] offset0:8 offset1:12
.LBB224_8:
	s_or_b64 exec, exec, s[8:9]
	v_add_u32_e32 v1, s10, v1
	v_mov_b32_e32 v2, 0
	s_waitcnt vmcnt(0)
	ds_write_b64 v6, v[4:5] offset:8
	s_and_saveexec_b64 s[8:9], vcc
	s_cbranch_execz .LBB224_10
; %bb.9:
	v_ashrrev_i32_e32 v2, 31, v1
	v_lshlrev_b64 v[2:3], 3, v[1:2]
	s_waitcnt lgkmcnt(0)
	v_mov_b32_e32 v4, s3
	v_add_co_u32_e64 v2, s[0:1], s2, v2
	v_addc_co_u32_e64 v3, s[0:1], v4, v3, s[0:1]
	global_load_dwordx2 v[2:3], v[2:3], off
.LBB224_10:
	s_or_b64 exec, exec, s[8:9]
	s_mov_b32 s13, 0
	v_cmp_eq_u32_e64 s[0:1], 0, v0
	s_waitcnt vmcnt(0)
	ds_write_b64 v6, v[2:3] offset:2056
	s_waitcnt lgkmcnt(0)
	s_barrier
	s_and_saveexec_b64 s[8:9], s[0:1]
	s_cbranch_execz .LBB224_16
; %bb.11:
	s_load_dword s15, s[4:5], 0x30
	s_load_dwordx2 s[10:11], s[4:5], 0x28
	s_cmp_lt_i32 s6, 1
	s_mov_b32 s12, 0
	s_waitcnt lgkmcnt(0)
	s_mul_i32 s7, s7, s15
	s_cbranch_scc1 .LBB224_13
; %bb.12:
	s_lshl_b32 s4, s7, 1
	s_add_i32 s5, s6, s15
	s_add_i32 s4, s5, s4
	s_add_i32 s4, s4, -1
	s_mov_b32 s5, 0
	s_lshl_b64 s[4:5], s[4:5], 3
	s_add_u32 s4, s10, s4
	s_addc_u32 s5, s11, s5
	s_load_dwordx2 s[12:13], s[4:5], 0x0
.LBB224_13:
	s_add_i32 s4, s15, -1
	s_waitcnt lgkmcnt(0)
	v_mov_b32_e32 v3, s12
	v_mov_b32_e32 v4, s13
	;; [unrolled: 1-line block ×3, first 2 shown]
	s_mov_b32 s5, 0
	s_cmp_ge_u32 s6, s4
	s_mov_b32 s13, 0
	s_mov_b32 s12, 0
	ds_write_b64 v2, v[3:4]
	s_cbranch_scc1 .LBB224_15
; %bb.14:
	s_lshl_b32 s4, s7, 1
	s_add_i32 s4, s6, s4
	s_add_i32 s12, s4, 1
	s_lshl_b64 s[12:13], s[12:13], 3
	s_add_u32 s16, s10, s12
	s_addc_u32 s17, s11, s13
	s_load_dwordx2 s[12:13], s[16:17], 0x0
.LBB224_15:
	s_lshl_b32 s4, s7, 1
	s_add_i32 s4, s4, s6
	s_lshl_b64 s[6:7], s[4:5], 3
	s_add_u32 s6, s10, s6
	s_addc_u32 s7, s11, s7
	s_add_i32 s4, s4, s15
	s_lshl_b64 s[4:5], s[4:5], 3
	s_add_u32 s4, s10, s4
	s_addc_u32 s5, s11, s5
	s_load_dwordx2 s[10:11], s[4:5], 0x0
	s_load_dwordx2 s[16:17], s[6:7], 0x0
	s_waitcnt lgkmcnt(0)
	v_mov_b32_e32 v3, s12
	v_mov_b32_e32 v4, s13
	ds_write_b64 v2, v[3:4] offset:4104
	v_mov_b32_e32 v7, s10
	v_mov_b32_e32 v8, s11
	;; [unrolled: 1-line block ×4, first 2 shown]
	ds_write_b128 v2, v[7:10] offset:2048
.LBB224_16:
	s_or_b64 exec, exec, s[8:9]
	s_waitcnt lgkmcnt(0)
	s_barrier
	s_and_saveexec_b64 s[4:5], s[0:1]
	s_cbranch_execz .LBB224_18
; %bb.17:
	s_movk_i32 s0, 0x1410
	v_add_u32_e64 v7, s0, 0
	v_add_u32_e64 v2, 8, 0
	ds_read2st64_b64 v[2:5], v2 offset0:6 offset1:8
	ds_read2_b64 v[7:10], v7 offset1:255
	s_movk_i32 s0, 0x2410
	v_mov_b32_e32 v19, 0
	v_add_u32_e64 v15, s0, 0
	ds_read2st64_b64 v[11:14], v19 offset1:2
	ds_read2_b64 v[15:18], v15 offset1:255
	s_waitcnt lgkmcnt(2)
	v_mul_f32_e64 v20, v5, -v10
	v_fmac_f32_e32 v20, v9, v4
	v_mul_f32_e32 v9, v5, v9
	v_fmac_f32_e32 v9, v10, v4
	s_waitcnt lgkmcnt(1)
	v_sub_f32_e32 v10, v13, v20
	v_sub_f32_e32 v13, v14, v9
	s_waitcnt lgkmcnt(0)
	v_mul_f32_e64 v9, v12, -v18
	v_mul_f32_e32 v14, v12, v17
	v_fmac_f32_e32 v9, v17, v11
	v_fmac_f32_e32 v14, v18, v11
	v_sub_f32_e32 v9, v10, v9
	v_sub_f32_e32 v10, v13, v14
	ds_write_b64 v19, v[9:10] offset:1024
	v_mul_f32_e64 v9, v5, -v8
	v_mul_f32_e32 v5, v5, v7
	v_fmac_f32_e32 v5, v8, v4
	v_fmac_f32_e32 v9, v7, v4
	v_sub_f32_e32 v3, v3, v5
	v_mul_f32_e64 v4, v12, -v16
	v_mul_f32_e32 v5, v12, v15
	v_sub_f32_e32 v2, v2, v9
	v_fmac_f32_e32 v4, v15, v11
	v_fmac_f32_e32 v5, v16, v11
	v_sub_f32_e32 v2, v2, v4
	v_sub_f32_e32 v3, v3, v5
	ds_write_b64 v19, v[2:3] offset:3080
.LBB224_18:
	s_or_b64 exec, exec, s[4:5]
	v_cmp_gt_u32_e64 s[0:1], 2, v0
	s_waitcnt lgkmcnt(0)
	s_barrier
	s_and_saveexec_b64 s[4:5], s[0:1]
	s_cbranch_execz .LBB224_20
; %bb.19:
	v_lshlrev_b32_e32 v19, 10, v0
	v_add_u32_e32 v2, 0x1210, v19
	ds_read2_b64 v[2:5], v2 offset1:255
	v_add_u32_e32 v7, 8, v19
	ds_read2st64_b64 v[7:10], v7 offset0:5 offset1:6
	ds_read2st64_b64 v[11:14], v19 offset1:1
	v_add_u32_e32 v15, 0x2210, v19
	ds_read2_b64 v[15:18], v15 offset1:255
	s_waitcnt lgkmcnt(2)
	v_mul_f32_e64 v20, v10, -v5
	v_fmac_f32_e32 v20, v4, v9
	v_mul_f32_e32 v4, v10, v4
	v_fmac_f32_e32 v4, v5, v9
	s_waitcnt lgkmcnt(1)
	v_sub_f32_e32 v5, v13, v20
	v_sub_f32_e32 v13, v14, v4
	s_waitcnt lgkmcnt(0)
	v_mul_f32_e64 v4, v12, -v18
	v_mul_f32_e32 v14, v12, v17
	v_fmac_f32_e32 v4, v17, v11
	v_fmac_f32_e32 v14, v18, v11
	v_sub_f32_e32 v4, v5, v4
	v_sub_f32_e32 v5, v13, v14
	ds_write_b64 v19, v[4:5] offset:512
	v_mul_f32_e64 v4, v10, -v3
	v_fmac_f32_e32 v4, v2, v9
	v_mul_f32_e32 v2, v10, v2
	v_fmac_f32_e32 v2, v3, v9
	v_sub_f32_e32 v3, v7, v4
	v_sub_f32_e32 v4, v8, v2
	v_mul_f32_e64 v2, v12, -v16
	v_mul_f32_e32 v5, v12, v15
	v_fmac_f32_e32 v2, v15, v11
	v_fmac_f32_e32 v5, v16, v11
	v_sub_f32_e32 v2, v3, v2
	v_sub_f32_e32 v3, v4, v5
	ds_write_b64 v19, v[2:3] offset:2568
.LBB224_20:
	s_or_b64 exec, exec, s[4:5]
	v_cmp_gt_u32_e64 s[0:1], 4, v0
	s_waitcnt lgkmcnt(0)
	s_barrier
	s_and_saveexec_b64 s[4:5], s[0:1]
	s_cbranch_execz .LBB224_22
; %bb.21:
	v_lshlrev_b32_e32 v19, 9, v0
	v_add_u32_e32 v2, 0x1110, v19
	ds_read2_b64 v[2:5], v2 offset1:255
	v_add_u32_e32 v7, 0x800, v19
	ds_read2_b64 v[7:10], v7 offset0:33 offset1:65
	ds_read2_b64 v[11:14], v19 offset1:32
	v_add_u32_e32 v15, 0x2110, v19
	ds_read2_b64 v[15:18], v15 offset1:255
	s_waitcnt lgkmcnt(2)
	v_mul_f32_e64 v20, v10, -v5
	v_fmac_f32_e32 v20, v4, v9
	v_mul_f32_e32 v4, v10, v4
	v_fmac_f32_e32 v4, v5, v9
	s_waitcnt lgkmcnt(1)
	v_sub_f32_e32 v5, v13, v20
	v_sub_f32_e32 v13, v14, v4
	s_waitcnt lgkmcnt(0)
	v_mul_f32_e64 v4, v12, -v18
	v_mul_f32_e32 v14, v12, v17
	v_fmac_f32_e32 v4, v17, v11
	v_fmac_f32_e32 v14, v18, v11
	v_sub_f32_e32 v4, v5, v4
	v_sub_f32_e32 v5, v13, v14
	ds_write_b64 v19, v[4:5] offset:256
	v_mul_f32_e64 v4, v10, -v3
	v_fmac_f32_e32 v4, v2, v9
	v_mul_f32_e32 v2, v10, v2
	v_fmac_f32_e32 v2, v3, v9
	v_sub_f32_e32 v3, v7, v4
	v_sub_f32_e32 v4, v8, v2
	v_mul_f32_e64 v2, v12, -v16
	v_mul_f32_e32 v5, v12, v15
	v_fmac_f32_e32 v2, v15, v11
	v_fmac_f32_e32 v5, v16, v11
	v_sub_f32_e32 v2, v3, v2
	v_sub_f32_e32 v3, v4, v5
	ds_write_b64 v19, v[2:3] offset:2312
.LBB224_22:
	s_or_b64 exec, exec, s[4:5]
	v_cmp_gt_u32_e64 s[0:1], 8, v0
	s_waitcnt lgkmcnt(0)
	s_barrier
	s_and_saveexec_b64 s[4:5], s[0:1]
	s_cbranch_execz .LBB224_24
; %bb.23:
	v_lshlrev_b32_e32 v19, 8, v0
	v_add_u32_e32 v2, 0x1090, v19
	ds_read2_b64 v[2:5], v2 offset1:255
	v_add_u32_e32 v7, 0x800, v19
	ds_read2_b64 v[7:10], v7 offset0:17 offset1:33
	ds_read2_b64 v[11:14], v19 offset1:16
	v_add_u32_e32 v15, 0x2090, v19
	ds_read2_b64 v[15:18], v15 offset1:255
	s_waitcnt lgkmcnt(2)
	v_mul_f32_e64 v20, v10, -v5
	v_fmac_f32_e32 v20, v4, v9
	v_mul_f32_e32 v4, v10, v4
	v_fmac_f32_e32 v4, v5, v9
	s_waitcnt lgkmcnt(1)
	v_sub_f32_e32 v5, v13, v20
	v_sub_f32_e32 v13, v14, v4
	s_waitcnt lgkmcnt(0)
	v_mul_f32_e64 v4, v12, -v18
	v_mul_f32_e32 v14, v12, v17
	v_fmac_f32_e32 v4, v17, v11
	v_fmac_f32_e32 v14, v18, v11
	v_sub_f32_e32 v4, v5, v4
	v_sub_f32_e32 v5, v13, v14
	ds_write_b64 v19, v[4:5] offset:128
	v_mul_f32_e64 v4, v10, -v3
	v_fmac_f32_e32 v4, v2, v9
	v_mul_f32_e32 v2, v10, v2
	v_fmac_f32_e32 v2, v3, v9
	v_sub_f32_e32 v3, v7, v4
	v_sub_f32_e32 v4, v8, v2
	v_mul_f32_e64 v2, v12, -v16
	v_mul_f32_e32 v5, v12, v15
	v_fmac_f32_e32 v2, v15, v11
	v_fmac_f32_e32 v5, v16, v11
	v_sub_f32_e32 v2, v3, v2
	v_sub_f32_e32 v3, v4, v5
	ds_write_b64 v19, v[2:3] offset:2184
.LBB224_24:
	;; [unrolled: 45-line block ×5, first 2 shown]
	s_or_b64 exec, exec, s[4:5]
	s_movk_i32 s0, 0x80
	v_cmp_gt_u32_e64 s[0:1], s0, v0
	s_waitcnt lgkmcnt(0)
	s_barrier
	s_and_saveexec_b64 s[4:5], s[0:1]
	s_cbranch_execz .LBB224_32
; %bb.31:
	v_lshlrev_b32_e32 v0, 4, v0
	v_add_u32_e32 v2, 0x1018, v0
	ds_read2_b64 v[2:5], v2 offset1:255
	v_add_u32_e32 v7, 0x800, v0
	ds_read2_b64 v[7:10], v7 offset0:2 offset1:3
	ds_read2_b64 v[11:14], v0 offset1:1
	v_add_u32_e32 v15, 0x2018, v0
	ds_read2_b64 v[15:18], v15 offset1:255
	s_waitcnt lgkmcnt(2)
	v_mul_f32_e64 v19, v10, -v5
	v_fmac_f32_e32 v19, v4, v9
	v_mul_f32_e32 v4, v10, v4
	v_fmac_f32_e32 v4, v5, v9
	s_waitcnt lgkmcnt(1)
	v_sub_f32_e32 v5, v13, v19
	v_sub_f32_e32 v13, v14, v4
	s_waitcnt lgkmcnt(0)
	v_mul_f32_e64 v4, v12, -v18
	v_mul_f32_e32 v14, v12, v17
	v_fmac_f32_e32 v4, v17, v11
	v_fmac_f32_e32 v14, v18, v11
	v_sub_f32_e32 v4, v5, v4
	v_sub_f32_e32 v5, v13, v14
	ds_write_b64 v0, v[4:5] offset:8
	v_mul_f32_e64 v4, v10, -v3
	v_fmac_f32_e32 v4, v2, v9
	v_mul_f32_e32 v2, v10, v2
	v_fmac_f32_e32 v2, v3, v9
	v_sub_f32_e32 v3, v7, v4
	v_sub_f32_e32 v4, v8, v2
	v_mul_f32_e64 v2, v12, -v16
	v_mul_f32_e32 v5, v12, v15
	v_fmac_f32_e32 v2, v15, v11
	v_fmac_f32_e32 v5, v16, v11
	v_sub_f32_e32 v2, v3, v2
	v_sub_f32_e32 v3, v4, v5
	ds_write_b64 v0, v[2:3] offset:2064
.LBB224_32:
	s_or_b64 exec, exec, s[4:5]
	s_waitcnt lgkmcnt(0)
	s_barrier
	s_and_saveexec_b64 s[0:1], vcc
	s_cbranch_execz .LBB224_34
; %bb.33:
	v_ashrrev_i32_e32 v2, 31, v1
	v_add_u32_e32 v0, 8, v6
	v_lshlrev_b64 v[7:8], 3, v[1:2]
	ds_read2st64_b64 v[2:5], v0 offset1:4
	v_mov_b32_e32 v9, s3
	v_add_co_u32_e32 v6, vcc, s2, v7
	v_addc_co_u32_e32 v7, vcc, v9, v8, vcc
	s_waitcnt lgkmcnt(0)
	v_mad_u64_u32 v[0:1], s[0:1], s14, 15, v[1:2]
	v_mov_b32_e32 v1, 0
	global_store_dwordx2 v[6:7], v[4:5], off
	v_lshlrev_b64 v[0:1], 3, v[0:1]
	v_mov_b32_e32 v4, s3
	v_add_co_u32_e32 v0, vcc, s2, v0
	v_addc_co_u32_e32 v1, vcc, v4, v1, vcc
	global_store_dwordx2 v[0:1], v[2:3], off
.LBB224_34:
	s_endpgm
	.section	.rodata,"a",@progbits
	.p2align	6, 0x0
	.amdhsa_kernel _ZN9rocsparseL33gtsv_solve_spike_propagate_kernelILj256ELj16E21rocsparse_complex_numIfEEEviiiPT1_PKS3_S6_S6_
		.amdhsa_group_segment_fixed_size 12304
		.amdhsa_private_segment_fixed_size 0
		.amdhsa_kernarg_size 304
		.amdhsa_user_sgpr_count 6
		.amdhsa_user_sgpr_private_segment_buffer 1
		.amdhsa_user_sgpr_dispatch_ptr 0
		.amdhsa_user_sgpr_queue_ptr 0
		.amdhsa_user_sgpr_kernarg_segment_ptr 1
		.amdhsa_user_sgpr_dispatch_id 0
		.amdhsa_user_sgpr_flat_scratch_init 0
		.amdhsa_user_sgpr_private_segment_size 0
		.amdhsa_uses_dynamic_stack 0
		.amdhsa_system_sgpr_private_segment_wavefront_offset 0
		.amdhsa_system_sgpr_workgroup_id_x 1
		.amdhsa_system_sgpr_workgroup_id_y 1
		.amdhsa_system_sgpr_workgroup_id_z 0
		.amdhsa_system_sgpr_workgroup_info 0
		.amdhsa_system_vgpr_workitem_id 0
		.amdhsa_next_free_vgpr 41
		.amdhsa_next_free_sgpr 98
		.amdhsa_reserve_vcc 1
		.amdhsa_reserve_flat_scratch 0
		.amdhsa_float_round_mode_32 0
		.amdhsa_float_round_mode_16_64 0
		.amdhsa_float_denorm_mode_32 3
		.amdhsa_float_denorm_mode_16_64 3
		.amdhsa_dx10_clamp 1
		.amdhsa_ieee_mode 1
		.amdhsa_fp16_overflow 0
		.amdhsa_exception_fp_ieee_invalid_op 0
		.amdhsa_exception_fp_denorm_src 0
		.amdhsa_exception_fp_ieee_div_zero 0
		.amdhsa_exception_fp_ieee_overflow 0
		.amdhsa_exception_fp_ieee_underflow 0
		.amdhsa_exception_fp_ieee_inexact 0
		.amdhsa_exception_int_div_zero 0
	.end_amdhsa_kernel
	.section	.text._ZN9rocsparseL33gtsv_solve_spike_propagate_kernelILj256ELj16E21rocsparse_complex_numIfEEEviiiPT1_PKS3_S6_S6_,"axG",@progbits,_ZN9rocsparseL33gtsv_solve_spike_propagate_kernelILj256ELj16E21rocsparse_complex_numIfEEEviiiPT1_PKS3_S6_S6_,comdat
.Lfunc_end224:
	.size	_ZN9rocsparseL33gtsv_solve_spike_propagate_kernelILj256ELj16E21rocsparse_complex_numIfEEEviiiPT1_PKS3_S6_S6_, .Lfunc_end224-_ZN9rocsparseL33gtsv_solve_spike_propagate_kernelILj256ELj16E21rocsparse_complex_numIfEEEviiiPT1_PKS3_S6_S6_
                                        ; -- End function
	.set _ZN9rocsparseL33gtsv_solve_spike_propagate_kernelILj256ELj16E21rocsparse_complex_numIfEEEviiiPT1_PKS3_S6_S6_.num_vgpr, 21
	.set _ZN9rocsparseL33gtsv_solve_spike_propagate_kernelILj256ELj16E21rocsparse_complex_numIfEEEviiiPT1_PKS3_S6_S6_.num_agpr, 0
	.set _ZN9rocsparseL33gtsv_solve_spike_propagate_kernelILj256ELj16E21rocsparse_complex_numIfEEEviiiPT1_PKS3_S6_S6_.numbered_sgpr, 18
	.set _ZN9rocsparseL33gtsv_solve_spike_propagate_kernelILj256ELj16E21rocsparse_complex_numIfEEEviiiPT1_PKS3_S6_S6_.num_named_barrier, 0
	.set _ZN9rocsparseL33gtsv_solve_spike_propagate_kernelILj256ELj16E21rocsparse_complex_numIfEEEviiiPT1_PKS3_S6_S6_.private_seg_size, 0
	.set _ZN9rocsparseL33gtsv_solve_spike_propagate_kernelILj256ELj16E21rocsparse_complex_numIfEEEviiiPT1_PKS3_S6_S6_.uses_vcc, 1
	.set _ZN9rocsparseL33gtsv_solve_spike_propagate_kernelILj256ELj16E21rocsparse_complex_numIfEEEviiiPT1_PKS3_S6_S6_.uses_flat_scratch, 0
	.set _ZN9rocsparseL33gtsv_solve_spike_propagate_kernelILj256ELj16E21rocsparse_complex_numIfEEEviiiPT1_PKS3_S6_S6_.has_dyn_sized_stack, 0
	.set _ZN9rocsparseL33gtsv_solve_spike_propagate_kernelILj256ELj16E21rocsparse_complex_numIfEEEviiiPT1_PKS3_S6_S6_.has_recursion, 0
	.set _ZN9rocsparseL33gtsv_solve_spike_propagate_kernelILj256ELj16E21rocsparse_complex_numIfEEEviiiPT1_PKS3_S6_S6_.has_indirect_call, 0
	.section	.AMDGPU.csdata,"",@progbits
; Kernel info:
; codeLenInByte = 2740
; TotalNumSgprs: 22
; NumVgprs: 21
; ScratchSize: 0
; MemoryBound: 0
; FloatMode: 240
; IeeeMode: 1
; LDSByteSize: 12304 bytes/workgroup (compile time only)
; SGPRBlocks: 12
; VGPRBlocks: 10
; NumSGPRsForWavesPerEU: 102
; NumVGPRsForWavesPerEU: 41
; Occupancy: 5
; WaveLimiterHint : 0
; COMPUTE_PGM_RSRC2:SCRATCH_EN: 0
; COMPUTE_PGM_RSRC2:USER_SGPR: 6
; COMPUTE_PGM_RSRC2:TRAP_HANDLER: 0
; COMPUTE_PGM_RSRC2:TGID_X_EN: 1
; COMPUTE_PGM_RSRC2:TGID_Y_EN: 1
; COMPUTE_PGM_RSRC2:TGID_Z_EN: 0
; COMPUTE_PGM_RSRC2:TIDIG_COMP_CNT: 0
	.section	.text._ZN9rocsparseL39gtsv_spike_backward_substitution_kernelILj256ELj16E21rocsparse_complex_numIfEEEviiiPT1_PKS3_S6_,"axG",@progbits,_ZN9rocsparseL39gtsv_spike_backward_substitution_kernelILj256ELj16E21rocsparse_complex_numIfEEEviiiPT1_PKS3_S6_,comdat
	.globl	_ZN9rocsparseL39gtsv_spike_backward_substitution_kernelILj256ELj16E21rocsparse_complex_numIfEEEviiiPT1_PKS3_S6_ ; -- Begin function _ZN9rocsparseL39gtsv_spike_backward_substitution_kernelILj256ELj16E21rocsparse_complex_numIfEEEviiiPT1_PKS3_S6_
	.p2align	8
	.type	_ZN9rocsparseL39gtsv_spike_backward_substitution_kernelILj256ELj16E21rocsparse_complex_numIfEEEviiiPT1_PKS3_S6_,@function
_ZN9rocsparseL39gtsv_spike_backward_substitution_kernelILj256ELj16E21rocsparse_complex_numIfEEEviiiPT1_PKS3_S6_: ; @_ZN9rocsparseL39gtsv_spike_backward_substitution_kernelILj256ELj16E21rocsparse_complex_numIfEEEviiiPT1_PKS3_S6_
; %bb.0:
	s_load_dword s12, s[4:5], 0x0
	s_lshl_b32 s6, s6, 8
	v_or_b32_e32 v5, s6, v0
	s_waitcnt lgkmcnt(0)
	s_lshr_b32 s10, s12, 4
	v_cmp_gt_i32_e32 vcc, s10, v5
	s_and_saveexec_b64 s[0:1], vcc
	s_cbranch_execz .LBB225_7
; %bb.1:
	s_load_dwordx2 s[8:9], s[4:5], 0x10
	v_cmp_lt_i32_e32 vcc, 0, v5
	v_mov_b32_e32 v1, 0
	s_mul_i32 s11, s12, s7
	v_mov_b32_e32 v2, 0
	s_and_saveexec_b64 s[0:1], vcc
	s_cbranch_execz .LBB225_3
; %bb.2:
	s_mul_i32 s2, s10, 15
	s_mul_i32 s3, s12, s7
	s_add_i32 s2, s2, s3
	v_add3_u32 v1, v5, s2, -1
	v_mov_b32_e32 v2, 0
	v_lshlrev_b64 v[1:2], 3, v[1:2]
	s_waitcnt lgkmcnt(0)
	v_mov_b32_e32 v3, s9
	v_add_co_u32_e32 v1, vcc, s8, v1
	v_addc_co_u32_e32 v2, vcc, v3, v2, vcc
	global_load_dwordx2 v[1:2], v[1:2], off
.LBB225_3:
	s_or_b64 exec, exec, s[0:1]
	s_load_dwordx4 s[0:3], s[4:5], 0x18
	v_add_u32_e32 v3, 16, v5
	v_cmp_le_u32_e32 vcc, s12, v3
	s_and_saveexec_b64 s[4:5], vcc
	s_xor_b64 s[4:5], exec, s[4:5]
	s_or_saveexec_b64 s[4:5], s[4:5]
	v_mov_b32_e32 v3, 0
	v_mov_b32_e32 v9, s11
	;; [unrolled: 1-line block ×3, first 2 shown]
	s_xor_b64 exec, exec, s[4:5]
	s_cbranch_execz .LBB225_5
; %bb.4:
	s_ashr_i32 s7, s11, 31
	v_ashrrev_i32_e32 v4, 31, v5
	v_mov_b32_e32 v6, s7
	v_add_co_u32_e32 v3, vcc, s11, v5
	v_addc_co_u32_e32 v4, vcc, v4, v6, vcc
	v_lshlrev_b64 v[3:4], 3, v[3:4]
	s_waitcnt lgkmcnt(0)
	v_mov_b32_e32 v6, s9
	v_add_co_u32_e32 v3, vcc, s8, v3
	v_addc_co_u32_e32 v4, vcc, v6, v4, vcc
	global_load_dwordx2 v[3:4], v[3:4], off offset:8
	v_mov_b32_e32 v9, s11
.LBB225_5:
	s_or_b64 exec, exec, s[4:5]
	s_lshl_b32 s4, s10, 1
	s_add_i32 s6, s6, s10
	v_add_u32_e32 v5, s4, v5
	v_add_u32_e32 v7, s6, v0
	s_mov_b32 s5, 14
	s_waitcnt lgkmcnt(0)
	v_mov_b32_e32 v0, s9
	v_mov_b32_e32 v10, s1
	;; [unrolled: 1-line block ×3, first 2 shown]
.LBB225_6:                              ; =>This Inner Loop Header: Depth=1
	v_ashrrev_i32_e32 v8, 31, v7
	v_lshlrev_b64 v[14:15], 3, v[7:8]
	v_add_u32_e32 v12, v9, v7
	v_add_co_u32_e32 v16, vcc, s0, v14
	v_ashrrev_i32_e32 v13, 31, v12
	v_addc_co_u32_e32 v17, vcc, v10, v15, vcc
	v_lshlrev_b64 v[12:13], 3, v[12:13]
	v_add_co_u32_e32 v14, vcc, s2, v14
	v_addc_co_u32_e32 v15, vcc, v11, v15, vcc
	v_add_co_u32_e32 v12, vcc, s8, v12
	global_load_dwordx2 v[18:19], v[16:17], off
	global_load_dwordx2 v[20:21], v[14:15], off
	v_addc_co_u32_e32 v13, vcc, v0, v13, vcc
	global_load_dwordx2 v[14:15], v[12:13], off
	s_add_i32 s5, s5, -2
	v_add_u32_e32 v7, s4, v7
	s_cmp_lg_u32 s5, 0
	s_waitcnt vmcnt(2)
	v_mul_f32_e64 v6, v2, -v19
	v_mul_f32_e32 v8, v2, v18
	v_fmac_f32_e32 v6, v18, v1
	s_waitcnt vmcnt(1)
	v_mul_f32_e64 v16, v4, -v21
	v_fmac_f32_e32 v8, v19, v1
	v_mul_f32_e32 v17, v4, v20
	v_fmac_f32_e32 v16, v20, v3
	s_waitcnt vmcnt(0)
	v_sub_f32_e32 v18, v14, v6
	v_ashrrev_i32_e32 v6, 31, v5
	v_fmac_f32_e32 v17, v21, v3
	v_sub_f32_e32 v8, v15, v8
	v_sub_f32_e32 v16, v18, v16
	v_lshlrev_b64 v[18:19], 3, v[5:6]
	v_sub_f32_e32 v17, v8, v17
	v_add_u32_e32 v14, v9, v5
	global_store_dwordx2 v[12:13], v[16:17], off
	v_add_co_u32_e32 v12, vcc, s0, v18
	v_ashrrev_i32_e32 v15, 31, v14
	v_addc_co_u32_e32 v13, vcc, v10, v19, vcc
	v_lshlrev_b64 v[14:15], 3, v[14:15]
	v_add_co_u32_e32 v16, vcc, s2, v18
	v_addc_co_u32_e32 v17, vcc, v11, v19, vcc
	global_load_dwordx2 v[18:19], v[12:13], off
	global_load_dwordx2 v[20:21], v[16:17], off
	v_add_co_u32_e32 v12, vcc, s8, v14
	v_addc_co_u32_e32 v13, vcc, v0, v15, vcc
	global_load_dwordx2 v[14:15], v[12:13], off
	v_add_u32_e32 v5, s4, v5
	s_waitcnt vmcnt(2)
	v_mul_f32_e64 v6, v2, -v19
	v_mul_f32_e32 v8, v2, v18
	v_fmac_f32_e32 v6, v18, v1
	v_fmac_f32_e32 v8, v19, v1
	s_waitcnt vmcnt(1)
	v_mul_f32_e64 v16, v4, -v21
	v_mul_f32_e32 v17, v4, v20
	v_fmac_f32_e32 v16, v20, v3
	v_fmac_f32_e32 v17, v21, v3
	s_waitcnt vmcnt(0)
	v_sub_f32_e32 v6, v14, v6
	v_sub_f32_e32 v8, v15, v8
	;; [unrolled: 1-line block ×4, first 2 shown]
	global_store_dwordx2 v[12:13], v[14:15], off
	s_cbranch_scc1 .LBB225_6
.LBB225_7:
	s_endpgm
	.section	.rodata,"a",@progbits
	.p2align	6, 0x0
	.amdhsa_kernel _ZN9rocsparseL39gtsv_spike_backward_substitution_kernelILj256ELj16E21rocsparse_complex_numIfEEEviiiPT1_PKS3_S6_
		.amdhsa_group_segment_fixed_size 0
		.amdhsa_private_segment_fixed_size 0
		.amdhsa_kernarg_size 40
		.amdhsa_user_sgpr_count 6
		.amdhsa_user_sgpr_private_segment_buffer 1
		.amdhsa_user_sgpr_dispatch_ptr 0
		.amdhsa_user_sgpr_queue_ptr 0
		.amdhsa_user_sgpr_kernarg_segment_ptr 1
		.amdhsa_user_sgpr_dispatch_id 0
		.amdhsa_user_sgpr_flat_scratch_init 0
		.amdhsa_user_sgpr_private_segment_size 0
		.amdhsa_uses_dynamic_stack 0
		.amdhsa_system_sgpr_private_segment_wavefront_offset 0
		.amdhsa_system_sgpr_workgroup_id_x 1
		.amdhsa_system_sgpr_workgroup_id_y 1
		.amdhsa_system_sgpr_workgroup_id_z 0
		.amdhsa_system_sgpr_workgroup_info 0
		.amdhsa_system_vgpr_workitem_id 0
		.amdhsa_next_free_vgpr 22
		.amdhsa_next_free_sgpr 13
		.amdhsa_reserve_vcc 1
		.amdhsa_reserve_flat_scratch 0
		.amdhsa_float_round_mode_32 0
		.amdhsa_float_round_mode_16_64 0
		.amdhsa_float_denorm_mode_32 3
		.amdhsa_float_denorm_mode_16_64 3
		.amdhsa_dx10_clamp 1
		.amdhsa_ieee_mode 1
		.amdhsa_fp16_overflow 0
		.amdhsa_exception_fp_ieee_invalid_op 0
		.amdhsa_exception_fp_denorm_src 0
		.amdhsa_exception_fp_ieee_div_zero 0
		.amdhsa_exception_fp_ieee_overflow 0
		.amdhsa_exception_fp_ieee_underflow 0
		.amdhsa_exception_fp_ieee_inexact 0
		.amdhsa_exception_int_div_zero 0
	.end_amdhsa_kernel
	.section	.text._ZN9rocsparseL39gtsv_spike_backward_substitution_kernelILj256ELj16E21rocsparse_complex_numIfEEEviiiPT1_PKS3_S6_,"axG",@progbits,_ZN9rocsparseL39gtsv_spike_backward_substitution_kernelILj256ELj16E21rocsparse_complex_numIfEEEviiiPT1_PKS3_S6_,comdat
.Lfunc_end225:
	.size	_ZN9rocsparseL39gtsv_spike_backward_substitution_kernelILj256ELj16E21rocsparse_complex_numIfEEEviiiPT1_PKS3_S6_, .Lfunc_end225-_ZN9rocsparseL39gtsv_spike_backward_substitution_kernelILj256ELj16E21rocsparse_complex_numIfEEEviiiPT1_PKS3_S6_
                                        ; -- End function
	.set _ZN9rocsparseL39gtsv_spike_backward_substitution_kernelILj256ELj16E21rocsparse_complex_numIfEEEviiiPT1_PKS3_S6_.num_vgpr, 22
	.set _ZN9rocsparseL39gtsv_spike_backward_substitution_kernelILj256ELj16E21rocsparse_complex_numIfEEEviiiPT1_PKS3_S6_.num_agpr, 0
	.set _ZN9rocsparseL39gtsv_spike_backward_substitution_kernelILj256ELj16E21rocsparse_complex_numIfEEEviiiPT1_PKS3_S6_.numbered_sgpr, 13
	.set _ZN9rocsparseL39gtsv_spike_backward_substitution_kernelILj256ELj16E21rocsparse_complex_numIfEEEviiiPT1_PKS3_S6_.num_named_barrier, 0
	.set _ZN9rocsparseL39gtsv_spike_backward_substitution_kernelILj256ELj16E21rocsparse_complex_numIfEEEviiiPT1_PKS3_S6_.private_seg_size, 0
	.set _ZN9rocsparseL39gtsv_spike_backward_substitution_kernelILj256ELj16E21rocsparse_complex_numIfEEEviiiPT1_PKS3_S6_.uses_vcc, 1
	.set _ZN9rocsparseL39gtsv_spike_backward_substitution_kernelILj256ELj16E21rocsparse_complex_numIfEEEviiiPT1_PKS3_S6_.uses_flat_scratch, 0
	.set _ZN9rocsparseL39gtsv_spike_backward_substitution_kernelILj256ELj16E21rocsparse_complex_numIfEEEviiiPT1_PKS3_S6_.has_dyn_sized_stack, 0
	.set _ZN9rocsparseL39gtsv_spike_backward_substitution_kernelILj256ELj16E21rocsparse_complex_numIfEEEviiiPT1_PKS3_S6_.has_recursion, 0
	.set _ZN9rocsparseL39gtsv_spike_backward_substitution_kernelILj256ELj16E21rocsparse_complex_numIfEEEviiiPT1_PKS3_S6_.has_indirect_call, 0
	.section	.AMDGPU.csdata,"",@progbits
; Kernel info:
; codeLenInByte = 600
; TotalNumSgprs: 17
; NumVgprs: 22
; ScratchSize: 0
; MemoryBound: 0
; FloatMode: 240
; IeeeMode: 1
; LDSByteSize: 0 bytes/workgroup (compile time only)
; SGPRBlocks: 2
; VGPRBlocks: 5
; NumSGPRsForWavesPerEU: 17
; NumVGPRsForWavesPerEU: 22
; Occupancy: 10
; WaveLimiterHint : 0
; COMPUTE_PGM_RSRC2:SCRATCH_EN: 0
; COMPUTE_PGM_RSRC2:USER_SGPR: 6
; COMPUTE_PGM_RSRC2:TRAP_HANDLER: 0
; COMPUTE_PGM_RSRC2:TGID_X_EN: 1
; COMPUTE_PGM_RSRC2:TGID_Y_EN: 1
; COMPUTE_PGM_RSRC2:TGID_Z_EN: 0
; COMPUTE_PGM_RSRC2:TIDIG_COMP_CNT: 0
	.section	.text._ZN9rocsparseL32gtsv_transpose_back_array_kernelILj256ELj16E21rocsparse_complex_numIfEEEviiiPKT1_PS3_,"axG",@progbits,_ZN9rocsparseL32gtsv_transpose_back_array_kernelILj256ELj16E21rocsparse_complex_numIfEEEviiiPKT1_PS3_,comdat
	.globl	_ZN9rocsparseL32gtsv_transpose_back_array_kernelILj256ELj16E21rocsparse_complex_numIfEEEviiiPKT1_PS3_ ; -- Begin function _ZN9rocsparseL32gtsv_transpose_back_array_kernelILj256ELj16E21rocsparse_complex_numIfEEEviiiPKT1_PS3_
	.p2align	8
	.type	_ZN9rocsparseL32gtsv_transpose_back_array_kernelILj256ELj16E21rocsparse_complex_numIfEEEviiiPKT1_PS3_,@function
_ZN9rocsparseL32gtsv_transpose_back_array_kernelILj256ELj16E21rocsparse_complex_numIfEEEviiiPKT1_PS3_: ; @_ZN9rocsparseL32gtsv_transpose_back_array_kernelILj256ELj16E21rocsparse_complex_numIfEEEviiiPKT1_PS3_
; %bb.0:
	s_load_dwordx4 s[0:3], s[4:5], 0x0
	s_waitcnt lgkmcnt(0)
	v_cvt_f32_u32_e32 v1, s1
	s_sub_i32 s3, 0, s1
	v_rcp_iflag_f32_e32 v1, v1
	v_mul_f32_e32 v1, 0x4f7ffffe, v1
	v_cvt_u32_f32_e32 v2, v1
	v_mul_lo_u32 v1, s3, v2
	v_mul_hi_u32 v3, v2, v1
	v_lshl_or_b32 v1, s6, 8, v0
	v_lshlrev_b32_e32 v0, 4, v1
	v_add_u32_e32 v2, v2, v3
	v_mul_hi_u32 v2, v0, v2
	v_mul_lo_u32 v3, v2, s1
	v_add_u32_e32 v4, 1, v2
	v_sub_u32_e32 v3, v0, v3
	v_cmp_le_u32_e32 vcc, s1, v3
	v_cndmask_b32_e32 v2, v2, v4, vcc
	v_subrev_u32_e32 v4, s1, v3
	v_cndmask_b32_e32 v3, v3, v4, vcc
	v_add_u32_e32 v4, 1, v2
	v_cmp_le_u32_e32 vcc, s1, v3
	v_cndmask_b32_e32 v2, v2, v4, vcc
	v_mul_lo_u32 v3, v2, s1
	v_sub_u32_e32 v0, v0, v3
	v_add_u32_e32 v0, v2, v0
	v_cmp_gt_i32_e32 vcc, s0, v0
	s_and_saveexec_b64 s[8:9], vcc
	s_cbranch_execz .LBB226_2
; %bb.1:
	s_load_dwordx4 s[8:11], s[4:5], 0x10
	s_mul_i32 s0, s1, s7
	v_add_u32_e32 v1, s0, v1
	v_ashrrev_i32_e32 v2, 31, v1
	v_lshlrev_b64 v[1:2], 3, v[1:2]
	s_waitcnt lgkmcnt(0)
	v_mov_b32_e32 v3, s9
	v_add_co_u32_e32 v1, vcc, s8, v1
	v_addc_co_u32_e32 v2, vcc, v3, v2, vcc
	global_load_dwordx2 v[1:2], v[1:2], off
	s_mul_i32 s0, s2, s7
	v_add_u32_e32 v3, s0, v0
	v_ashrrev_i32_e32 v4, 31, v3
	v_lshlrev_b64 v[3:4], 3, v[3:4]
	v_mov_b32_e32 v0, s11
	v_add_co_u32_e32 v3, vcc, s10, v3
	v_addc_co_u32_e32 v4, vcc, v0, v4, vcc
	s_waitcnt vmcnt(0)
	global_store_dwordx2 v[3:4], v[1:2], off
.LBB226_2:
	s_endpgm
	.section	.rodata,"a",@progbits
	.p2align	6, 0x0
	.amdhsa_kernel _ZN9rocsparseL32gtsv_transpose_back_array_kernelILj256ELj16E21rocsparse_complex_numIfEEEviiiPKT1_PS3_
		.amdhsa_group_segment_fixed_size 0
		.amdhsa_private_segment_fixed_size 0
		.amdhsa_kernarg_size 32
		.amdhsa_user_sgpr_count 6
		.amdhsa_user_sgpr_private_segment_buffer 1
		.amdhsa_user_sgpr_dispatch_ptr 0
		.amdhsa_user_sgpr_queue_ptr 0
		.amdhsa_user_sgpr_kernarg_segment_ptr 1
		.amdhsa_user_sgpr_dispatch_id 0
		.amdhsa_user_sgpr_flat_scratch_init 0
		.amdhsa_user_sgpr_private_segment_size 0
		.amdhsa_uses_dynamic_stack 0
		.amdhsa_system_sgpr_private_segment_wavefront_offset 0
		.amdhsa_system_sgpr_workgroup_id_x 1
		.amdhsa_system_sgpr_workgroup_id_y 1
		.amdhsa_system_sgpr_workgroup_id_z 0
		.amdhsa_system_sgpr_workgroup_info 0
		.amdhsa_system_vgpr_workitem_id 0
		.amdhsa_next_free_vgpr 5
		.amdhsa_next_free_sgpr 12
		.amdhsa_reserve_vcc 1
		.amdhsa_reserve_flat_scratch 0
		.amdhsa_float_round_mode_32 0
		.amdhsa_float_round_mode_16_64 0
		.amdhsa_float_denorm_mode_32 3
		.amdhsa_float_denorm_mode_16_64 3
		.amdhsa_dx10_clamp 1
		.amdhsa_ieee_mode 1
		.amdhsa_fp16_overflow 0
		.amdhsa_exception_fp_ieee_invalid_op 0
		.amdhsa_exception_fp_denorm_src 0
		.amdhsa_exception_fp_ieee_div_zero 0
		.amdhsa_exception_fp_ieee_overflow 0
		.amdhsa_exception_fp_ieee_underflow 0
		.amdhsa_exception_fp_ieee_inexact 0
		.amdhsa_exception_int_div_zero 0
	.end_amdhsa_kernel
	.section	.text._ZN9rocsparseL32gtsv_transpose_back_array_kernelILj256ELj16E21rocsparse_complex_numIfEEEviiiPKT1_PS3_,"axG",@progbits,_ZN9rocsparseL32gtsv_transpose_back_array_kernelILj256ELj16E21rocsparse_complex_numIfEEEviiiPKT1_PS3_,comdat
.Lfunc_end226:
	.size	_ZN9rocsparseL32gtsv_transpose_back_array_kernelILj256ELj16E21rocsparse_complex_numIfEEEviiiPKT1_PS3_, .Lfunc_end226-_ZN9rocsparseL32gtsv_transpose_back_array_kernelILj256ELj16E21rocsparse_complex_numIfEEEviiiPKT1_PS3_
                                        ; -- End function
	.set _ZN9rocsparseL32gtsv_transpose_back_array_kernelILj256ELj16E21rocsparse_complex_numIfEEEviiiPKT1_PS3_.num_vgpr, 5
	.set _ZN9rocsparseL32gtsv_transpose_back_array_kernelILj256ELj16E21rocsparse_complex_numIfEEEviiiPKT1_PS3_.num_agpr, 0
	.set _ZN9rocsparseL32gtsv_transpose_back_array_kernelILj256ELj16E21rocsparse_complex_numIfEEEviiiPKT1_PS3_.numbered_sgpr, 12
	.set _ZN9rocsparseL32gtsv_transpose_back_array_kernelILj256ELj16E21rocsparse_complex_numIfEEEviiiPKT1_PS3_.num_named_barrier, 0
	.set _ZN9rocsparseL32gtsv_transpose_back_array_kernelILj256ELj16E21rocsparse_complex_numIfEEEviiiPKT1_PS3_.private_seg_size, 0
	.set _ZN9rocsparseL32gtsv_transpose_back_array_kernelILj256ELj16E21rocsparse_complex_numIfEEEviiiPKT1_PS3_.uses_vcc, 1
	.set _ZN9rocsparseL32gtsv_transpose_back_array_kernelILj256ELj16E21rocsparse_complex_numIfEEEviiiPKT1_PS3_.uses_flat_scratch, 0
	.set _ZN9rocsparseL32gtsv_transpose_back_array_kernelILj256ELj16E21rocsparse_complex_numIfEEEviiiPKT1_PS3_.has_dyn_sized_stack, 0
	.set _ZN9rocsparseL32gtsv_transpose_back_array_kernelILj256ELj16E21rocsparse_complex_numIfEEEviiiPKT1_PS3_.has_recursion, 0
	.set _ZN9rocsparseL32gtsv_transpose_back_array_kernelILj256ELj16E21rocsparse_complex_numIfEEEviiiPKT1_PS3_.has_indirect_call, 0
	.section	.AMDGPU.csdata,"",@progbits
; Kernel info:
; codeLenInByte = 248
; TotalNumSgprs: 16
; NumVgprs: 5
; ScratchSize: 0
; MemoryBound: 0
; FloatMode: 240
; IeeeMode: 1
; LDSByteSize: 0 bytes/workgroup (compile time only)
; SGPRBlocks: 1
; VGPRBlocks: 1
; NumSGPRsForWavesPerEU: 16
; NumVGPRsForWavesPerEU: 5
; Occupancy: 10
; WaveLimiterHint : 0
; COMPUTE_PGM_RSRC2:SCRATCH_EN: 0
; COMPUTE_PGM_RSRC2:USER_SGPR: 6
; COMPUTE_PGM_RSRC2:TRAP_HANDLER: 0
; COMPUTE_PGM_RSRC2:TGID_X_EN: 1
; COMPUTE_PGM_RSRC2:TGID_Y_EN: 1
; COMPUTE_PGM_RSRC2:TGID_Z_EN: 0
; COMPUTE_PGM_RSRC2:TIDIG_COMP_CNT: 0
	.section	.text._ZN9rocsparseL42gtsv_transpose_and_pad_array_shared_kernelILj256ELj32E21rocsparse_complex_numIfEEEviiiPKT1_PS3_S3_,"axG",@progbits,_ZN9rocsparseL42gtsv_transpose_and_pad_array_shared_kernelILj256ELj32E21rocsparse_complex_numIfEEEviiiPKT1_PS3_S3_,comdat
	.globl	_ZN9rocsparseL42gtsv_transpose_and_pad_array_shared_kernelILj256ELj32E21rocsparse_complex_numIfEEEviiiPKT1_PS3_S3_ ; -- Begin function _ZN9rocsparseL42gtsv_transpose_and_pad_array_shared_kernelILj256ELj32E21rocsparse_complex_numIfEEEviiiPKT1_PS3_S3_
	.p2align	8
	.type	_ZN9rocsparseL42gtsv_transpose_and_pad_array_shared_kernelILj256ELj32E21rocsparse_complex_numIfEEEviiiPKT1_PS3_S3_,@function
_ZN9rocsparseL42gtsv_transpose_and_pad_array_shared_kernelILj256ELj32E21rocsparse_complex_numIfEEEviiiPKT1_PS3_S3_: ; @_ZN9rocsparseL42gtsv_transpose_and_pad_array_shared_kernelILj256ELj32E21rocsparse_complex_numIfEEEviiiPKT1_PS3_S3_
; %bb.0:
	s_load_dwordx4 s[0:3], s[4:5], 0x0
	v_lshl_or_b32 v3, s6, 8, v0
                                        ; implicit-def: $sgpr10_sgpr11
	s_waitcnt lgkmcnt(0)
	v_cmp_le_i32_e32 vcc, s0, v3
	s_and_saveexec_b64 s[8:9], vcc
	s_xor_b64 s[8:9], exec, s[8:9]
; %bb.1:
	s_load_dwordx2 s[10:11], s[4:5], 0x20
                                        ; implicit-def: $vgpr3
; %bb.2:
	s_or_saveexec_b64 s[8:9], s[8:9]
	s_waitcnt lgkmcnt(0)
	v_mov_b32_e32 v1, s10
	v_mov_b32_e32 v2, s11
	s_xor_b64 exec, exec, s[8:9]
	s_cbranch_execz .LBB227_4
; %bb.3:
	s_load_dwordx2 s[10:11], s[4:5], 0x10
	s_mul_i32 s0, s2, s7
	v_add_u32_e32 v1, s0, v3
	v_ashrrev_i32_e32 v2, 31, v1
	v_lshlrev_b64 v[1:2], 3, v[1:2]
	s_waitcnt lgkmcnt(0)
	v_mov_b32_e32 v3, s11
	v_add_co_u32_e32 v1, vcc, s10, v1
	v_addc_co_u32_e32 v2, vcc, v3, v2, vcc
	global_load_dwordx2 v[1:2], v[1:2], off
.LBB227_4:
	s_or_b64 exec, exec, s[8:9]
	v_lshrrev_b32_e32 v3, 3, v0
	v_and_b32_e32 v4, 7, v0
	v_lshlrev_b32_e32 v0, 3, v0
	s_waitcnt vmcnt(0)
	ds_write_b64 v0, v[1:2]
	s_lshr_b32 s0, s1, 5
	v_lshl_or_b32 v0, s6, 3, v4
	v_mad_u64_u32 v[0:1], s[2:3], s0, v3, v[0:1]
	s_waitcnt lgkmcnt(0)
	s_barrier
	v_cmp_gt_i32_e32 vcc, s1, v0
	s_and_saveexec_b64 s[2:3], vcc
	s_cbranch_execz .LBB227_6
; %bb.5:
	s_load_dwordx2 s[2:3], s[4:5], 0x18
	v_lshlrev_b32_e32 v1, 3, v3
	s_mul_i32 s0, s1, s7
	v_lshl_or_b32 v2, v4, 8, v1
	v_add_u32_e32 v0, s0, v0
	v_ashrrev_i32_e32 v1, 31, v0
	ds_read_b64 v[2:3], v2
	v_lshlrev_b64 v[0:1], 3, v[0:1]
	s_waitcnt lgkmcnt(0)
	v_mov_b32_e32 v4, s3
	v_add_co_u32_e32 v0, vcc, s2, v0
	v_addc_co_u32_e32 v1, vcc, v4, v1, vcc
	global_store_dwordx2 v[0:1], v[2:3], off
.LBB227_6:
	s_endpgm
	.section	.rodata,"a",@progbits
	.p2align	6, 0x0
	.amdhsa_kernel _ZN9rocsparseL42gtsv_transpose_and_pad_array_shared_kernelILj256ELj32E21rocsparse_complex_numIfEEEviiiPKT1_PS3_S3_
		.amdhsa_group_segment_fixed_size 2048
		.amdhsa_private_segment_fixed_size 0
		.amdhsa_kernarg_size 40
		.amdhsa_user_sgpr_count 6
		.amdhsa_user_sgpr_private_segment_buffer 1
		.amdhsa_user_sgpr_dispatch_ptr 0
		.amdhsa_user_sgpr_queue_ptr 0
		.amdhsa_user_sgpr_kernarg_segment_ptr 1
		.amdhsa_user_sgpr_dispatch_id 0
		.amdhsa_user_sgpr_flat_scratch_init 0
		.amdhsa_user_sgpr_private_segment_size 0
		.amdhsa_uses_dynamic_stack 0
		.amdhsa_system_sgpr_private_segment_wavefront_offset 0
		.amdhsa_system_sgpr_workgroup_id_x 1
		.amdhsa_system_sgpr_workgroup_id_y 1
		.amdhsa_system_sgpr_workgroup_id_z 0
		.amdhsa_system_sgpr_workgroup_info 0
		.amdhsa_system_vgpr_workitem_id 0
		.amdhsa_next_free_vgpr 5
		.amdhsa_next_free_sgpr 12
		.amdhsa_reserve_vcc 1
		.amdhsa_reserve_flat_scratch 0
		.amdhsa_float_round_mode_32 0
		.amdhsa_float_round_mode_16_64 0
		.amdhsa_float_denorm_mode_32 3
		.amdhsa_float_denorm_mode_16_64 3
		.amdhsa_dx10_clamp 1
		.amdhsa_ieee_mode 1
		.amdhsa_fp16_overflow 0
		.amdhsa_exception_fp_ieee_invalid_op 0
		.amdhsa_exception_fp_denorm_src 0
		.amdhsa_exception_fp_ieee_div_zero 0
		.amdhsa_exception_fp_ieee_overflow 0
		.amdhsa_exception_fp_ieee_underflow 0
		.amdhsa_exception_fp_ieee_inexact 0
		.amdhsa_exception_int_div_zero 0
	.end_amdhsa_kernel
	.section	.text._ZN9rocsparseL42gtsv_transpose_and_pad_array_shared_kernelILj256ELj32E21rocsparse_complex_numIfEEEviiiPKT1_PS3_S3_,"axG",@progbits,_ZN9rocsparseL42gtsv_transpose_and_pad_array_shared_kernelILj256ELj32E21rocsparse_complex_numIfEEEviiiPKT1_PS3_S3_,comdat
.Lfunc_end227:
	.size	_ZN9rocsparseL42gtsv_transpose_and_pad_array_shared_kernelILj256ELj32E21rocsparse_complex_numIfEEEviiiPKT1_PS3_S3_, .Lfunc_end227-_ZN9rocsparseL42gtsv_transpose_and_pad_array_shared_kernelILj256ELj32E21rocsparse_complex_numIfEEEviiiPKT1_PS3_S3_
                                        ; -- End function
	.set _ZN9rocsparseL42gtsv_transpose_and_pad_array_shared_kernelILj256ELj32E21rocsparse_complex_numIfEEEviiiPKT1_PS3_S3_.num_vgpr, 5
	.set _ZN9rocsparseL42gtsv_transpose_and_pad_array_shared_kernelILj256ELj32E21rocsparse_complex_numIfEEEviiiPKT1_PS3_S3_.num_agpr, 0
	.set _ZN9rocsparseL42gtsv_transpose_and_pad_array_shared_kernelILj256ELj32E21rocsparse_complex_numIfEEEviiiPKT1_PS3_S3_.numbered_sgpr, 12
	.set _ZN9rocsparseL42gtsv_transpose_and_pad_array_shared_kernelILj256ELj32E21rocsparse_complex_numIfEEEviiiPKT1_PS3_S3_.num_named_barrier, 0
	.set _ZN9rocsparseL42gtsv_transpose_and_pad_array_shared_kernelILj256ELj32E21rocsparse_complex_numIfEEEviiiPKT1_PS3_S3_.private_seg_size, 0
	.set _ZN9rocsparseL42gtsv_transpose_and_pad_array_shared_kernelILj256ELj32E21rocsparse_complex_numIfEEEviiiPKT1_PS3_S3_.uses_vcc, 1
	.set _ZN9rocsparseL42gtsv_transpose_and_pad_array_shared_kernelILj256ELj32E21rocsparse_complex_numIfEEEviiiPKT1_PS3_S3_.uses_flat_scratch, 0
	.set _ZN9rocsparseL42gtsv_transpose_and_pad_array_shared_kernelILj256ELj32E21rocsparse_complex_numIfEEEviiiPKT1_PS3_S3_.has_dyn_sized_stack, 0
	.set _ZN9rocsparseL42gtsv_transpose_and_pad_array_shared_kernelILj256ELj32E21rocsparse_complex_numIfEEEviiiPKT1_PS3_S3_.has_recursion, 0
	.set _ZN9rocsparseL42gtsv_transpose_and_pad_array_shared_kernelILj256ELj32E21rocsparse_complex_numIfEEEviiiPKT1_PS3_S3_.has_indirect_call, 0
	.section	.AMDGPU.csdata,"",@progbits
; Kernel info:
; codeLenInByte = 260
; TotalNumSgprs: 16
; NumVgprs: 5
; ScratchSize: 0
; MemoryBound: 0
; FloatMode: 240
; IeeeMode: 1
; LDSByteSize: 2048 bytes/workgroup (compile time only)
; SGPRBlocks: 1
; VGPRBlocks: 1
; NumSGPRsForWavesPerEU: 16
; NumVGPRsForWavesPerEU: 5
; Occupancy: 10
; WaveLimiterHint : 0
; COMPUTE_PGM_RSRC2:SCRATCH_EN: 0
; COMPUTE_PGM_RSRC2:USER_SGPR: 6
; COMPUTE_PGM_RSRC2:TRAP_HANDLER: 0
; COMPUTE_PGM_RSRC2:TGID_X_EN: 1
; COMPUTE_PGM_RSRC2:TGID_Y_EN: 1
; COMPUTE_PGM_RSRC2:TGID_Z_EN: 0
; COMPUTE_PGM_RSRC2:TIDIG_COMP_CNT: 0
	.section	.text._ZN9rocsparseL18gtsv_LBM_wv_kernelILj256ELj32E21rocsparse_complex_numIfEEEviiiPKT1_S5_S5_PS3_S6_S6_Pi,"axG",@progbits,_ZN9rocsparseL18gtsv_LBM_wv_kernelILj256ELj32E21rocsparse_complex_numIfEEEviiiPKT1_S5_S5_PS3_S6_S6_Pi,comdat
	.globl	_ZN9rocsparseL18gtsv_LBM_wv_kernelILj256ELj32E21rocsparse_complex_numIfEEEviiiPKT1_S5_S5_PS3_S6_S6_Pi ; -- Begin function _ZN9rocsparseL18gtsv_LBM_wv_kernelILj256ELj32E21rocsparse_complex_numIfEEEviiiPKT1_S5_S5_PS3_S6_S6_Pi
	.p2align	8
	.type	_ZN9rocsparseL18gtsv_LBM_wv_kernelILj256ELj32E21rocsparse_complex_numIfEEEviiiPKT1_S5_S5_PS3_S6_S6_Pi,@function
_ZN9rocsparseL18gtsv_LBM_wv_kernelILj256ELj32E21rocsparse_complex_numIfEEEviiiPKT1_S5_S5_PS3_S6_S6_Pi: ; @_ZN9rocsparseL18gtsv_LBM_wv_kernelILj256ELj32E21rocsparse_complex_numIfEEEviiiPKT1_S5_S5_PS3_S6_S6_Pi
; %bb.0:
	s_load_dword s29, s[4:5], 0x0
	v_lshl_or_b32 v0, s6, 8, v0
	s_waitcnt lgkmcnt(0)
	s_lshr_b32 s28, s29, 5
	v_cmp_gt_i32_e32 vcc, s28, v0
	s_and_saveexec_b64 s[0:1], vcc
	s_cbranch_execz .LBB228_72
; %bb.1:
	s_load_dwordx2 s[16:17], s[4:5], 0x10
	s_load_dwordx8 s[8:15], s[4:5], 0x20
	v_ashrrev_i32_e32 v1, 31, v0
	v_lshlrev_b64 v[4:5], 3, v[0:1]
	s_mul_i32 s30, s28, 31
	s_waitcnt lgkmcnt(0)
	v_mov_b32_e32 v2, s17
	v_add_co_u32_e32 v1, vcc, s16, v4
	v_addc_co_u32_e32 v2, vcc, v2, v5, vcc
	global_load_dwordx2 v[6:7], v[1:2], off
	v_add_u32_e32 v2, s30, v0
	v_mov_b32_e32 v3, 0
	v_lshlrev_b64 v[8:9], 3, v[2:3]
	v_mov_b32_e32 v2, s9
	v_add_co_u32_e32 v1, vcc, s8, v8
	v_addc_co_u32_e32 v2, vcc, v2, v9, vcc
	global_load_dwordx2 v[10:11], v[1:2], off
	s_load_dwordx2 s[6:7], s[4:5], 0x40
	v_mov_b32_e32 v2, s11
	v_add_co_u32_e32 v1, vcc, s10, v4
	v_addc_co_u32_e32 v2, vcc, v2, v5, vcc
	s_cmp_lt_i32 s29, 1
	v_add_u32_e32 v35, s28, v0
	v_mov_b32_e32 v12, s13
	v_add_co_u32_e32 v8, vcc, s12, v8
	v_addc_co_u32_e32 v9, vcc, v12, v9, vcc
	s_waitcnt vmcnt(1)
	global_store_dwordx2 v[1:2], v[6:7], off
	s_waitcnt vmcnt(1)
	global_store_dwordx2 v[8:9], v[10:11], off
	s_cbranch_scc1 .LBB228_65
; %bb.2:
	s_load_dwordx2 s[18:19], s[4:5], 0x18
	s_mov_b32 s22, 0x372fe950
	s_mul_i32 s31, s28, 30
	s_lshl_b32 s33, s28, 1
	v_add_u32_e32 v36, s28, v35
	s_waitcnt lgkmcnt(0)
	v_mov_b32_e32 v6, s19
	v_add_co_u32_e32 v3, vcc, s18, v4
	v_addc_co_u32_e32 v4, vcc, v6, v5, vcc
	global_load_dwordx2 v[7:8], v[3:4], off
	v_mov_b32_e32 v3, 0
	s_mov_b64 s[20:21], 0
	s_mov_b32 s34, 0xf800000
	v_mov_b32_e32 v37, 0x260
	s_mov_b32 s23, 0x3fe3c6ef
	v_mov_b32_e32 v38, 2
	v_mov_b32_e32 v39, 1
	s_branch .LBB228_5
.LBB228_3:                              ;   in Loop: Header=BB228_5 Depth=1
	s_or_b64 exec, exec, s[4:5]
	v_mul_f32_e64 v5, v7, -v25
	v_mul_f32_e32 v6, v7, v24
	v_fmac_f32_e32 v5, v24, v4
	v_fmac_f32_e32 v6, v25, v4
	v_sub_f32_e32 v7, v19, v5
	v_sub_f32_e32 v8, v20, v6
	v_mov_b32_e32 v4, s28
.LBB228_4:                              ;   in Loop: Header=BB228_5 Depth=1
	s_or_b64 exec, exec, s[2:3]
	v_add_u32_e32 v3, v4, v3
	v_cmp_le_i32_e32 vcc, s29, v3
	s_or_b64 s[20:21], vcc, s[20:21]
	s_andn2_b64 exec, exec, s[20:21]
	s_cbranch_execz .LBB228_64
.LBB228_5:                              ; =>This Inner Loop Header: Depth=1
	v_add_u32_e32 v11, v3, v0
	v_ashrrev_i32_e32 v12, 31, v11
	v_lshlrev_b64 v[15:16], 3, v[11:12]
	v_mov_b32_e32 v5, s9
	v_add_co_u32_e32 v4, vcc, s8, v15
	v_addc_co_u32_e32 v5, vcc, v5, v16, vcc
	global_load_dwordx2 v[13:14], v[4:5], off
	v_cmp_gt_u32_e64 s[0:1], s30, v3
	v_mov_b32_e32 v5, 0
	v_mov_b32_e32 v6, 0
	s_and_saveexec_b64 s[2:3], s[0:1]
	s_cbranch_execz .LBB228_7
; %bb.6:                                ;   in Loop: Header=BB228_5 Depth=1
	v_add_u32_e32 v4, v35, v3
	v_ashrrev_i32_e32 v5, 31, v4
	v_lshlrev_b64 v[4:5], 3, v[4:5]
	v_mov_b32_e32 v6, s17
	v_add_co_u32_e32 v4, vcc, s16, v4
	v_addc_co_u32_e32 v5, vcc, v6, v5, vcc
	global_load_dwordx2 v[5:6], v[4:5], off
.LBB228_7:                              ;   in Loop: Header=BB228_5 Depth=1
	s_or_b64 exec, exec, s[2:3]
	v_mov_b32_e32 v9, 0
	v_mov_b32_e32 v19, 0
	;; [unrolled: 1-line block ×3, first 2 shown]
	s_and_saveexec_b64 s[2:3], s[0:1]
	s_cbranch_execz .LBB228_9
; %bb.8:                                ;   in Loop: Header=BB228_5 Depth=1
	v_add_u32_e32 v17, v35, v3
	v_ashrrev_i32_e32 v18, 31, v17
	v_lshlrev_b64 v[17:18], 3, v[17:18]
	v_mov_b32_e32 v4, s19
	v_add_co_u32_e32 v17, vcc, s18, v17
	v_addc_co_u32_e32 v18, vcc, v4, v18, vcc
	global_load_dwordx2 v[19:20], v[17:18], off
.LBB228_9:                              ;   in Loop: Header=BB228_5 Depth=1
	s_or_b64 exec, exec, s[2:3]
	v_mov_b32_e32 v10, 0
	s_and_saveexec_b64 s[2:3], s[0:1]
	s_cbranch_execz .LBB228_11
; %bb.10:                               ;   in Loop: Header=BB228_5 Depth=1
	v_add_u32_e32 v9, v35, v3
	v_ashrrev_i32_e32 v10, 31, v9
	v_lshlrev_b64 v[9:10], 3, v[9:10]
	v_mov_b32_e32 v4, s9
	v_add_co_u32_e32 v9, vcc, s8, v9
	v_addc_co_u32_e32 v10, vcc, v4, v10, vcc
	global_load_dwordx2 v[9:10], v[9:10], off
.LBB228_11:                             ;   in Loop: Header=BB228_5 Depth=1
	s_or_b64 exec, exec, s[2:3]
	v_cmp_gt_u32_e64 s[2:3], s31, v3
	v_mov_b32_e32 v17, 0
	v_mov_b32_e32 v18, 0
	s_and_saveexec_b64 s[4:5], s[2:3]
	s_cbranch_execz .LBB228_13
; %bb.12:                               ;   in Loop: Header=BB228_5 Depth=1
	v_add_u32_e32 v17, v36, v3
	v_ashrrev_i32_e32 v18, 31, v17
	v_lshlrev_b64 v[17:18], 3, v[17:18]
	v_mov_b32_e32 v4, s17
	v_add_co_u32_e32 v17, vcc, s16, v17
	v_addc_co_u32_e32 v18, vcc, v4, v18, vcc
	global_load_dwordx2 v[17:18], v[17:18], off
.LBB228_13:                             ;   in Loop: Header=BB228_5 Depth=1
	s_or_b64 exec, exec, s[4:5]
	s_waitcnt vmcnt(0)
	v_cmp_gt_f32_e32 vcc, 0, v5
	v_cndmask_b32_e64 v21, v5, -v5, vcc
	v_cmp_gt_f32_e32 vcc, 0, v6
	v_cndmask_b32_e64 v22, v6, -v6, vcc
	v_cmp_ngt_f32_e32 vcc, v21, v22
                                        ; implicit-def: $vgpr4
	s_and_saveexec_b64 s[4:5], vcc
	s_xor_b64 s[24:25], exec, s[4:5]
	s_cbranch_execz .LBB228_17
; %bb.14:                               ;   in Loop: Header=BB228_5 Depth=1
	v_mov_b32_e32 v4, 0
	v_cmp_neq_f32_e32 vcc, 0, v6
	s_and_saveexec_b64 s[26:27], vcc
	s_cbranch_execz .LBB228_16
; %bb.15:                               ;   in Loop: Header=BB228_5 Depth=1
	v_div_scale_f32 v4, s[4:5], v22, v22, v21
	v_div_scale_f32 v23, vcc, v21, v22, v21
	v_rcp_f32_e32 v24, v4
	v_fma_f32 v25, -v4, v24, 1.0
	v_fmac_f32_e32 v24, v25, v24
	v_mul_f32_e32 v25, v23, v24
	v_fma_f32 v26, -v4, v25, v23
	v_fmac_f32_e32 v25, v26, v24
	v_fma_f32 v4, -v4, v25, v23
	v_div_fmas_f32 v4, v4, v24, v25
	v_div_fixup_f32 v4, v4, v22, v21
	v_fma_f32 v4, v4, v4, 1.0
	v_mul_f32_e32 v21, 0x4f800000, v4
	v_cmp_gt_f32_e32 vcc, s34, v4
	v_cndmask_b32_e32 v4, v4, v21, vcc
	v_sqrt_f32_e32 v21, v4
	v_add_u32_e32 v23, -1, v21
	v_add_u32_e32 v24, 1, v21
	v_fma_f32 v25, -v23, v21, v4
	v_fma_f32 v26, -v24, v21, v4
	v_cmp_ge_f32_e64 s[4:5], 0, v25
	v_cndmask_b32_e64 v21, v21, v23, s[4:5]
	v_cmp_lt_f32_e64 s[4:5], 0, v26
	v_cndmask_b32_e64 v21, v21, v24, s[4:5]
	v_mul_f32_e32 v23, 0x37800000, v21
	v_cndmask_b32_e32 v21, v21, v23, vcc
	v_cmp_class_f32_e32 vcc, v4, v37
	v_cndmask_b32_e32 v4, v21, v4, vcc
	v_mul_f32_e32 v4, v22, v4
.LBB228_16:                             ;   in Loop: Header=BB228_5 Depth=1
	s_or_b64 exec, exec, s[26:27]
                                        ; implicit-def: $vgpr21
                                        ; implicit-def: $vgpr22
.LBB228_17:                             ;   in Loop: Header=BB228_5 Depth=1
	s_andn2_saveexec_b64 s[24:25], s[24:25]
	s_cbranch_execz .LBB228_19
; %bb.18:                               ;   in Loop: Header=BB228_5 Depth=1
	v_div_scale_f32 v4, s[4:5], v21, v21, v22
	v_div_scale_f32 v23, vcc, v22, v21, v22
	v_rcp_f32_e32 v24, v4
	v_fma_f32 v25, -v4, v24, 1.0
	v_fmac_f32_e32 v24, v25, v24
	v_mul_f32_e32 v25, v23, v24
	v_fma_f32 v26, -v4, v25, v23
	v_fmac_f32_e32 v25, v26, v24
	v_fma_f32 v4, -v4, v25, v23
	v_div_fmas_f32 v4, v4, v24, v25
	v_div_fixup_f32 v4, v4, v21, v22
	v_fma_f32 v4, v4, v4, 1.0
	v_mul_f32_e32 v22, 0x4f800000, v4
	v_cmp_gt_f32_e32 vcc, s34, v4
	v_cndmask_b32_e32 v4, v4, v22, vcc
	v_sqrt_f32_e32 v22, v4
	v_add_u32_e32 v23, -1, v22
	v_add_u32_e32 v24, 1, v22
	v_fma_f32 v25, -v23, v22, v4
	v_fma_f32 v26, -v24, v22, v4
	v_cmp_ge_f32_e64 s[4:5], 0, v25
	v_cndmask_b32_e64 v22, v22, v23, s[4:5]
	v_cmp_lt_f32_e64 s[4:5], 0, v26
	v_cndmask_b32_e64 v22, v22, v24, s[4:5]
	v_mul_f32_e32 v23, 0x37800000, v22
	v_cndmask_b32_e32 v22, v22, v23, vcc
	v_cmp_class_f32_e32 vcc, v4, v37
	v_cndmask_b32_e32 v4, v22, v4, vcc
	v_mul_f32_e32 v4, v21, v4
.LBB228_19:                             ;   in Loop: Header=BB228_5 Depth=1
	s_or_b64 exec, exec, s[24:25]
	v_cmp_gt_f32_e32 vcc, 0, v17
	v_cndmask_b32_e64 v22, v17, -v17, vcc
	v_cmp_gt_f32_e32 vcc, 0, v18
	v_cndmask_b32_e64 v23, v18, -v18, vcc
	v_cmp_ngt_f32_e32 vcc, v22, v23
                                        ; implicit-def: $vgpr21
	s_and_saveexec_b64 s[4:5], vcc
	s_xor_b64 s[24:25], exec, s[4:5]
	s_cbranch_execz .LBB228_23
; %bb.20:                               ;   in Loop: Header=BB228_5 Depth=1
	v_mov_b32_e32 v21, 0
	v_cmp_neq_f32_e32 vcc, 0, v18
	s_and_saveexec_b64 s[26:27], vcc
	s_cbranch_execz .LBB228_22
; %bb.21:                               ;   in Loop: Header=BB228_5 Depth=1
	v_div_scale_f32 v21, s[4:5], v23, v23, v22
	v_div_scale_f32 v24, vcc, v22, v23, v22
	v_rcp_f32_e32 v25, v21
	v_fma_f32 v26, -v21, v25, 1.0
	v_fmac_f32_e32 v25, v26, v25
	v_mul_f32_e32 v26, v24, v25
	v_fma_f32 v27, -v21, v26, v24
	v_fmac_f32_e32 v26, v27, v25
	v_fma_f32 v21, -v21, v26, v24
	v_div_fmas_f32 v21, v21, v25, v26
	v_div_fixup_f32 v21, v21, v23, v22
	v_fma_f32 v21, v21, v21, 1.0
	v_mul_f32_e32 v22, 0x4f800000, v21
	v_cmp_gt_f32_e32 vcc, s34, v21
	v_cndmask_b32_e32 v21, v21, v22, vcc
	v_sqrt_f32_e32 v22, v21
	v_add_u32_e32 v24, -1, v22
	v_add_u32_e32 v25, 1, v22
	v_fma_f32 v26, -v24, v22, v21
	v_fma_f32 v27, -v25, v22, v21
	v_cmp_ge_f32_e64 s[4:5], 0, v26
	v_cndmask_b32_e64 v22, v22, v24, s[4:5]
	v_cmp_lt_f32_e64 s[4:5], 0, v27
	v_cndmask_b32_e64 v22, v22, v25, s[4:5]
	v_mul_f32_e32 v24, 0x37800000, v22
	v_cndmask_b32_e32 v22, v22, v24, vcc
	v_cmp_class_f32_e32 vcc, v21, v37
	v_cndmask_b32_e32 v21, v22, v21, vcc
	v_mul_f32_e32 v21, v23, v21
.LBB228_22:                             ;   in Loop: Header=BB228_5 Depth=1
	s_or_b64 exec, exec, s[26:27]
                                        ; implicit-def: $vgpr22
                                        ; implicit-def: $vgpr23
.LBB228_23:                             ;   in Loop: Header=BB228_5 Depth=1
	s_andn2_saveexec_b64 s[24:25], s[24:25]
	s_cbranch_execz .LBB228_25
; %bb.24:                               ;   in Loop: Header=BB228_5 Depth=1
	v_div_scale_f32 v21, s[4:5], v22, v22, v23
	v_div_scale_f32 v24, vcc, v23, v22, v23
	v_rcp_f32_e32 v25, v21
	v_fma_f32 v26, -v21, v25, 1.0
	v_fmac_f32_e32 v25, v26, v25
	v_mul_f32_e32 v26, v24, v25
	v_fma_f32 v27, -v21, v26, v24
	v_fmac_f32_e32 v26, v27, v25
	v_fma_f32 v21, -v21, v26, v24
	v_div_fmas_f32 v21, v21, v25, v26
	v_div_fixup_f32 v21, v21, v22, v23
	v_fma_f32 v21, v21, v21, 1.0
	v_mul_f32_e32 v23, 0x4f800000, v21
	v_cmp_gt_f32_e32 vcc, s34, v21
	v_cndmask_b32_e32 v21, v21, v23, vcc
	v_sqrt_f32_e32 v23, v21
	v_add_u32_e32 v24, -1, v23
	v_add_u32_e32 v25, 1, v23
	v_fma_f32 v26, -v24, v23, v21
	v_fma_f32 v27, -v25, v23, v21
	v_cmp_ge_f32_e64 s[4:5], 0, v26
	v_cndmask_b32_e64 v23, v23, v24, s[4:5]
	v_cmp_lt_f32_e64 s[4:5], 0, v27
	v_cndmask_b32_e64 v23, v23, v25, s[4:5]
	v_mul_f32_e32 v24, 0x37800000, v23
	v_cndmask_b32_e32 v23, v23, v24, vcc
	v_cmp_class_f32_e32 vcc, v21, v37
	v_cndmask_b32_e32 v21, v23, v21, vcc
	v_mul_f32_e32 v21, v22, v21
.LBB228_25:                             ;   in Loop: Header=BB228_5 Depth=1
	s_or_b64 exec, exec, s[24:25]
	v_cmp_gt_f32_e32 vcc, 0, v19
	v_cndmask_b32_e64 v23, v19, -v19, vcc
	v_cmp_gt_f32_e32 vcc, 0, v20
	v_cndmask_b32_e64 v24, v20, -v20, vcc
	v_cmp_ngt_f32_e32 vcc, v23, v24
                                        ; implicit-def: $vgpr22
	s_and_saveexec_b64 s[4:5], vcc
	s_xor_b64 s[24:25], exec, s[4:5]
	s_cbranch_execz .LBB228_29
; %bb.26:                               ;   in Loop: Header=BB228_5 Depth=1
	v_mov_b32_e32 v22, 0
	v_cmp_neq_f32_e32 vcc, 0, v20
	s_and_saveexec_b64 s[26:27], vcc
	s_cbranch_execz .LBB228_28
; %bb.27:                               ;   in Loop: Header=BB228_5 Depth=1
	v_div_scale_f32 v22, s[4:5], v24, v24, v23
	v_div_scale_f32 v25, vcc, v23, v24, v23
	v_rcp_f32_e32 v26, v22
	v_fma_f32 v27, -v22, v26, 1.0
	v_fmac_f32_e32 v26, v27, v26
	v_mul_f32_e32 v27, v25, v26
	v_fma_f32 v28, -v22, v27, v25
	v_fmac_f32_e32 v27, v28, v26
	v_fma_f32 v22, -v22, v27, v25
	v_div_fmas_f32 v22, v22, v26, v27
	v_div_fixup_f32 v22, v22, v24, v23
	v_fma_f32 v22, v22, v22, 1.0
	v_mul_f32_e32 v23, 0x4f800000, v22
	v_cmp_gt_f32_e32 vcc, s34, v22
	v_cndmask_b32_e32 v22, v22, v23, vcc
	v_sqrt_f32_e32 v23, v22
	v_add_u32_e32 v25, -1, v23
	v_add_u32_e32 v26, 1, v23
	v_fma_f32 v27, -v25, v23, v22
	v_fma_f32 v28, -v26, v23, v22
	v_cmp_ge_f32_e64 s[4:5], 0, v27
	v_cndmask_b32_e64 v23, v23, v25, s[4:5]
	v_cmp_lt_f32_e64 s[4:5], 0, v28
	v_cndmask_b32_e64 v23, v23, v26, s[4:5]
	v_mul_f32_e32 v25, 0x37800000, v23
	v_cndmask_b32_e32 v23, v23, v25, vcc
	v_cmp_class_f32_e32 vcc, v22, v37
	v_cndmask_b32_e32 v22, v23, v22, vcc
	v_mul_f32_e32 v22, v24, v22
.LBB228_28:                             ;   in Loop: Header=BB228_5 Depth=1
	s_or_b64 exec, exec, s[26:27]
                                        ; implicit-def: $vgpr23
                                        ; implicit-def: $vgpr24
.LBB228_29:                             ;   in Loop: Header=BB228_5 Depth=1
	s_andn2_saveexec_b64 s[24:25], s[24:25]
	s_cbranch_execz .LBB228_31
; %bb.30:                               ;   in Loop: Header=BB228_5 Depth=1
	v_div_scale_f32 v22, s[4:5], v23, v23, v24
	v_div_scale_f32 v25, vcc, v24, v23, v24
	v_rcp_f32_e32 v26, v22
	v_fma_f32 v27, -v22, v26, 1.0
	v_fmac_f32_e32 v26, v27, v26
	v_mul_f32_e32 v27, v25, v26
	v_fma_f32 v28, -v22, v27, v25
	v_fmac_f32_e32 v27, v28, v26
	v_fma_f32 v22, -v22, v27, v25
	v_div_fmas_f32 v22, v22, v26, v27
	v_div_fixup_f32 v22, v22, v23, v24
	v_fma_f32 v22, v22, v22, 1.0
	v_mul_f32_e32 v24, 0x4f800000, v22
	v_cmp_gt_f32_e32 vcc, s34, v22
	v_cndmask_b32_e32 v22, v22, v24, vcc
	v_sqrt_f32_e32 v24, v22
	v_add_u32_e32 v25, -1, v24
	v_add_u32_e32 v26, 1, v24
	v_fma_f32 v27, -v25, v24, v22
	v_fma_f32 v28, -v26, v24, v22
	v_cmp_ge_f32_e64 s[4:5], 0, v27
	v_cndmask_b32_e64 v24, v24, v25, s[4:5]
	v_cmp_lt_f32_e64 s[4:5], 0, v28
	v_cndmask_b32_e64 v24, v24, v26, s[4:5]
	v_mul_f32_e32 v25, 0x37800000, v24
	v_cndmask_b32_e32 v24, v24, v25, vcc
	v_cmp_class_f32_e32 vcc, v22, v37
	v_cndmask_b32_e32 v22, v24, v22, vcc
	v_mul_f32_e32 v22, v23, v22
.LBB228_31:                             ;   in Loop: Header=BB228_5 Depth=1
	s_or_b64 exec, exec, s[24:25]
	v_cmp_gt_f32_e32 vcc, 0, v13
	v_cndmask_b32_e64 v24, v13, -v13, vcc
	v_cmp_gt_f32_e32 vcc, 0, v14
	v_cndmask_b32_e64 v25, v14, -v14, vcc
	v_cmp_ngt_f32_e32 vcc, v24, v25
                                        ; implicit-def: $vgpr23
	s_and_saveexec_b64 s[4:5], vcc
	s_xor_b64 s[24:25], exec, s[4:5]
	s_cbranch_execz .LBB228_35
; %bb.32:                               ;   in Loop: Header=BB228_5 Depth=1
	v_mov_b32_e32 v23, 0
	v_cmp_neq_f32_e32 vcc, 0, v14
	s_and_saveexec_b64 s[26:27], vcc
	s_cbranch_execz .LBB228_34
; %bb.33:                               ;   in Loop: Header=BB228_5 Depth=1
	v_div_scale_f32 v23, s[4:5], v25, v25, v24
	v_div_scale_f32 v26, vcc, v24, v25, v24
	v_rcp_f32_e32 v27, v23
	v_fma_f32 v28, -v23, v27, 1.0
	v_fmac_f32_e32 v27, v28, v27
	v_mul_f32_e32 v28, v26, v27
	v_fma_f32 v29, -v23, v28, v26
	v_fmac_f32_e32 v28, v29, v27
	v_fma_f32 v23, -v23, v28, v26
	v_div_fmas_f32 v23, v23, v27, v28
	v_div_fixup_f32 v23, v23, v25, v24
	v_fma_f32 v23, v23, v23, 1.0
	v_mul_f32_e32 v24, 0x4f800000, v23
	v_cmp_gt_f32_e32 vcc, s34, v23
	v_cndmask_b32_e32 v23, v23, v24, vcc
	v_sqrt_f32_e32 v24, v23
	v_add_u32_e32 v26, -1, v24
	v_add_u32_e32 v27, 1, v24
	v_fma_f32 v28, -v26, v24, v23
	v_fma_f32 v29, -v27, v24, v23
	v_cmp_ge_f32_e64 s[4:5], 0, v28
	v_cndmask_b32_e64 v24, v24, v26, s[4:5]
	v_cmp_lt_f32_e64 s[4:5], 0, v29
	v_cndmask_b32_e64 v24, v24, v27, s[4:5]
	v_mul_f32_e32 v26, 0x37800000, v24
	v_cndmask_b32_e32 v24, v24, v26, vcc
	v_cmp_class_f32_e32 vcc, v23, v37
	v_cndmask_b32_e32 v23, v24, v23, vcc
	v_mul_f32_e32 v23, v25, v23
.LBB228_34:                             ;   in Loop: Header=BB228_5 Depth=1
	s_or_b64 exec, exec, s[26:27]
                                        ; implicit-def: $vgpr24
                                        ; implicit-def: $vgpr25
.LBB228_35:                             ;   in Loop: Header=BB228_5 Depth=1
	s_andn2_saveexec_b64 s[24:25], s[24:25]
	s_cbranch_execz .LBB228_37
; %bb.36:                               ;   in Loop: Header=BB228_5 Depth=1
	v_div_scale_f32 v23, s[4:5], v24, v24, v25
	v_div_scale_f32 v26, vcc, v25, v24, v25
	v_rcp_f32_e32 v27, v23
	v_fma_f32 v28, -v23, v27, 1.0
	v_fmac_f32_e32 v27, v28, v27
	v_mul_f32_e32 v28, v26, v27
	v_fma_f32 v29, -v23, v28, v26
	v_fmac_f32_e32 v28, v29, v27
	v_fma_f32 v23, -v23, v28, v26
	v_div_fmas_f32 v23, v23, v27, v28
	v_div_fixup_f32 v23, v23, v24, v25
	v_fma_f32 v23, v23, v23, 1.0
	v_mul_f32_e32 v25, 0x4f800000, v23
	v_cmp_gt_f32_e32 vcc, s34, v23
	v_cndmask_b32_e32 v23, v23, v25, vcc
	v_sqrt_f32_e32 v25, v23
	v_add_u32_e32 v26, -1, v25
	v_add_u32_e32 v27, 1, v25
	v_fma_f32 v28, -v26, v25, v23
	v_fma_f32 v29, -v27, v25, v23
	v_cmp_ge_f32_e64 s[4:5], 0, v28
	v_cndmask_b32_e64 v25, v25, v26, s[4:5]
	v_cmp_lt_f32_e64 s[4:5], 0, v29
	v_cndmask_b32_e64 v25, v25, v27, s[4:5]
	v_mul_f32_e32 v26, 0x37800000, v25
	v_cndmask_b32_e32 v25, v25, v26, vcc
	v_cmp_class_f32_e32 vcc, v23, v37
	v_cndmask_b32_e32 v23, v25, v23, vcc
	v_mul_f32_e32 v23, v24, v23
.LBB228_37:                             ;   in Loop: Header=BB228_5 Depth=1
	s_or_b64 exec, exec, s[24:25]
	v_cmp_gt_f32_e32 vcc, 0, v9
	v_cndmask_b32_e64 v24, v9, -v9, vcc
	v_cmp_gt_f32_e32 vcc, 0, v10
	v_cndmask_b32_e64 v25, v10, -v10, vcc
	v_cmp_ngt_f32_e32 vcc, v24, v25
                                        ; implicit-def: $vgpr26
	s_and_saveexec_b64 s[4:5], vcc
	s_xor_b64 s[24:25], exec, s[4:5]
	s_cbranch_execz .LBB228_41
; %bb.38:                               ;   in Loop: Header=BB228_5 Depth=1
	v_mov_b32_e32 v26, 0
	v_cmp_neq_f32_e32 vcc, 0, v10
	s_and_saveexec_b64 s[26:27], vcc
	s_cbranch_execz .LBB228_40
; %bb.39:                               ;   in Loop: Header=BB228_5 Depth=1
	v_div_scale_f32 v26, s[4:5], v25, v25, v24
	v_div_scale_f32 v27, vcc, v24, v25, v24
	v_rcp_f32_e32 v28, v26
	v_fma_f32 v29, -v26, v28, 1.0
	v_fmac_f32_e32 v28, v29, v28
	v_mul_f32_e32 v29, v27, v28
	v_fma_f32 v30, -v26, v29, v27
	v_fmac_f32_e32 v29, v30, v28
	v_fma_f32 v26, -v26, v29, v27
	v_div_fmas_f32 v26, v26, v28, v29
	v_div_fixup_f32 v24, v26, v25, v24
	v_fma_f32 v24, v24, v24, 1.0
	v_mul_f32_e32 v26, 0x4f800000, v24
	v_cmp_gt_f32_e32 vcc, s34, v24
	v_cndmask_b32_e32 v24, v24, v26, vcc
	v_sqrt_f32_e32 v26, v24
	v_add_u32_e32 v27, -1, v26
	v_add_u32_e32 v28, 1, v26
	v_fma_f32 v29, -v27, v26, v24
	v_fma_f32 v30, -v28, v26, v24
	v_cmp_ge_f32_e64 s[4:5], 0, v29
	v_cndmask_b32_e64 v26, v26, v27, s[4:5]
	v_cmp_lt_f32_e64 s[4:5], 0, v30
	v_cndmask_b32_e64 v26, v26, v28, s[4:5]
	v_mul_f32_e32 v27, 0x37800000, v26
	v_cndmask_b32_e32 v26, v26, v27, vcc
	v_cmp_class_f32_e32 vcc, v24, v37
	v_cndmask_b32_e32 v24, v26, v24, vcc
	v_mul_f32_e32 v26, v25, v24
.LBB228_40:                             ;   in Loop: Header=BB228_5 Depth=1
	s_or_b64 exec, exec, s[26:27]
                                        ; implicit-def: $vgpr24
                                        ; implicit-def: $vgpr25
.LBB228_41:                             ;   in Loop: Header=BB228_5 Depth=1
	s_andn2_saveexec_b64 s[24:25], s[24:25]
	s_cbranch_execz .LBB228_43
; %bb.42:                               ;   in Loop: Header=BB228_5 Depth=1
	v_div_scale_f32 v26, s[4:5], v24, v24, v25
	v_div_scale_f32 v27, vcc, v25, v24, v25
	v_rcp_f32_e32 v28, v26
	v_fma_f32 v29, -v26, v28, 1.0
	v_fmac_f32_e32 v28, v29, v28
	v_mul_f32_e32 v29, v27, v28
	v_fma_f32 v30, -v26, v29, v27
	v_fmac_f32_e32 v29, v30, v28
	v_fma_f32 v26, -v26, v29, v27
	v_div_fmas_f32 v26, v26, v28, v29
	v_div_fixup_f32 v25, v26, v24, v25
	v_fma_f32 v25, v25, v25, 1.0
	v_mul_f32_e32 v26, 0x4f800000, v25
	v_cmp_gt_f32_e32 vcc, s34, v25
	v_cndmask_b32_e32 v25, v25, v26, vcc
	v_sqrt_f32_e32 v26, v25
	v_add_u32_e32 v27, -1, v26
	v_add_u32_e32 v28, 1, v26
	v_fma_f32 v29, -v27, v26, v25
	v_fma_f32 v30, -v28, v26, v25
	v_cmp_ge_f32_e64 s[4:5], 0, v29
	v_cndmask_b32_e64 v26, v26, v27, s[4:5]
	v_cmp_lt_f32_e64 s[4:5], 0, v30
	v_cndmask_b32_e64 v26, v26, v28, s[4:5]
	v_mul_f32_e32 v27, 0x37800000, v26
	v_cndmask_b32_e32 v26, v26, v27, vcc
	v_cmp_class_f32_e32 vcc, v25, v37
	v_cndmask_b32_e32 v25, v26, v25, vcc
	v_mul_f32_e32 v26, v24, v25
.LBB228_43:                             ;   in Loop: Header=BB228_5 Depth=1
	s_or_b64 exec, exec, s[24:25]
	v_cmp_gt_f32_e32 vcc, 0, v7
	v_cndmask_b32_e64 v24, v7, -v7, vcc
	v_cmp_gt_f32_e32 vcc, 0, v8
	v_cndmask_b32_e64 v25, v8, -v8, vcc
	v_cmp_ngt_f32_e32 vcc, v24, v25
                                        ; implicit-def: $vgpr27
	s_and_saveexec_b64 s[4:5], vcc
	s_xor_b64 s[24:25], exec, s[4:5]
	s_cbranch_execz .LBB228_47
; %bb.44:                               ;   in Loop: Header=BB228_5 Depth=1
	v_mov_b32_e32 v27, 0
	v_cmp_neq_f32_e32 vcc, 0, v8
	s_and_saveexec_b64 s[26:27], vcc
	s_cbranch_execz .LBB228_46
; %bb.45:                               ;   in Loop: Header=BB228_5 Depth=1
	v_div_scale_f32 v27, s[4:5], v25, v25, v24
	v_div_scale_f32 v28, vcc, v24, v25, v24
	v_rcp_f32_e32 v29, v27
	v_fma_f32 v30, -v27, v29, 1.0
	v_fmac_f32_e32 v29, v30, v29
	v_mul_f32_e32 v30, v28, v29
	v_fma_f32 v31, -v27, v30, v28
	v_fmac_f32_e32 v30, v31, v29
	v_fma_f32 v27, -v27, v30, v28
	v_div_fmas_f32 v27, v27, v29, v30
	v_div_fixup_f32 v24, v27, v25, v24
	v_fma_f32 v24, v24, v24, 1.0
	v_mul_f32_e32 v27, 0x4f800000, v24
	v_cmp_gt_f32_e32 vcc, s34, v24
	v_cndmask_b32_e32 v24, v24, v27, vcc
	v_sqrt_f32_e32 v27, v24
	v_add_u32_e32 v28, -1, v27
	v_add_u32_e32 v29, 1, v27
	v_fma_f32 v30, -v28, v27, v24
	v_fma_f32 v31, -v29, v27, v24
	v_cmp_ge_f32_e64 s[4:5], 0, v30
	v_cndmask_b32_e64 v27, v27, v28, s[4:5]
	v_cmp_lt_f32_e64 s[4:5], 0, v31
	v_cndmask_b32_e64 v27, v27, v29, s[4:5]
	v_mul_f32_e32 v28, 0x37800000, v27
	v_cndmask_b32_e32 v27, v27, v28, vcc
	v_cmp_class_f32_e32 vcc, v24, v37
	v_cndmask_b32_e32 v24, v27, v24, vcc
	v_mul_f32_e32 v27, v25, v24
.LBB228_46:                             ;   in Loop: Header=BB228_5 Depth=1
	s_or_b64 exec, exec, s[26:27]
                                        ; implicit-def: $vgpr24
                                        ; implicit-def: $vgpr25
.LBB228_47:                             ;   in Loop: Header=BB228_5 Depth=1
	s_andn2_saveexec_b64 s[24:25], s[24:25]
	s_cbranch_execz .LBB228_49
; %bb.48:                               ;   in Loop: Header=BB228_5 Depth=1
	v_div_scale_f32 v27, s[4:5], v24, v24, v25
	v_div_scale_f32 v28, vcc, v25, v24, v25
	v_rcp_f32_e32 v29, v27
	v_fma_f32 v30, -v27, v29, 1.0
	v_fmac_f32_e32 v29, v30, v29
	v_mul_f32_e32 v30, v28, v29
	v_fma_f32 v31, -v27, v30, v28
	v_fmac_f32_e32 v30, v31, v29
	v_fma_f32 v27, -v27, v30, v28
	v_div_fmas_f32 v27, v27, v29, v30
	v_div_fixup_f32 v25, v27, v24, v25
	v_fma_f32 v25, v25, v25, 1.0
	v_mul_f32_e32 v27, 0x4f800000, v25
	v_cmp_gt_f32_e32 vcc, s34, v25
	v_cndmask_b32_e32 v25, v25, v27, vcc
	v_sqrt_f32_e32 v27, v25
	v_add_u32_e32 v28, -1, v27
	v_add_u32_e32 v29, 1, v27
	v_fma_f32 v30, -v28, v27, v25
	v_fma_f32 v31, -v29, v27, v25
	v_cmp_ge_f32_e64 s[4:5], 0, v30
	v_cndmask_b32_e64 v27, v27, v28, s[4:5]
	v_cmp_lt_f32_e64 s[4:5], 0, v31
	v_cndmask_b32_e64 v27, v27, v29, s[4:5]
	v_mul_f32_e32 v28, 0x37800000, v27
	v_cndmask_b32_e32 v27, v27, v28, vcc
	v_cmp_class_f32_e32 vcc, v25, v37
	v_cndmask_b32_e32 v25, v27, v25, vcc
	v_mul_f32_e32 v27, v24, v25
.LBB228_49:                             ;   in Loop: Header=BB228_5 Depth=1
	s_or_b64 exec, exec, s[24:25]
	v_mul_f32_e64 v24, v14, -v6
	v_fmac_f32_e32 v24, v5, v13
	v_mul_f32_e32 v25, v5, v14
	v_fmac_f32_e32 v25, v6, v13
	v_cmp_gt_f32_e32 vcc, 0, v24
	v_cndmask_b32_e64 v28, v24, -v24, vcc
	v_cmp_gt_f32_e32 vcc, 0, v25
	v_cndmask_b32_e64 v29, v25, -v25, vcc
	v_cmp_ngt_f32_e32 vcc, v28, v29
                                        ; implicit-def: $vgpr30
	s_and_saveexec_b64 s[4:5], vcc
	s_xor_b64 s[24:25], exec, s[4:5]
	s_cbranch_execz .LBB228_53
; %bb.50:                               ;   in Loop: Header=BB228_5 Depth=1
	v_mov_b32_e32 v30, 0
	v_cmp_neq_f32_e32 vcc, 0, v25
	s_and_saveexec_b64 s[26:27], vcc
	s_cbranch_execz .LBB228_52
; %bb.51:                               ;   in Loop: Header=BB228_5 Depth=1
	v_div_scale_f32 v30, s[4:5], v29, v29, v28
	v_div_scale_f32 v31, vcc, v28, v29, v28
	v_rcp_f32_e32 v32, v30
	v_fma_f32 v33, -v30, v32, 1.0
	v_fmac_f32_e32 v32, v33, v32
	v_mul_f32_e32 v33, v31, v32
	v_fma_f32 v34, -v30, v33, v31
	v_fmac_f32_e32 v33, v34, v32
	v_fma_f32 v30, -v30, v33, v31
	v_div_fmas_f32 v30, v30, v32, v33
	v_div_fixup_f32 v28, v30, v29, v28
	v_fma_f32 v28, v28, v28, 1.0
	v_mul_f32_e32 v30, 0x4f800000, v28
	v_cmp_gt_f32_e32 vcc, s34, v28
	v_cndmask_b32_e32 v28, v28, v30, vcc
	v_sqrt_f32_e32 v30, v28
	v_add_u32_e32 v31, -1, v30
	v_add_u32_e32 v32, 1, v30
	v_fma_f32 v33, -v31, v30, v28
	v_fma_f32 v34, -v32, v30, v28
	v_cmp_ge_f32_e64 s[4:5], 0, v33
	v_cndmask_b32_e64 v30, v30, v31, s[4:5]
	v_cmp_lt_f32_e64 s[4:5], 0, v34
	v_cndmask_b32_e64 v30, v30, v32, s[4:5]
	v_mul_f32_e32 v31, 0x37800000, v30
	v_cndmask_b32_e32 v30, v30, v31, vcc
	v_cmp_class_f32_e32 vcc, v28, v37
	v_cndmask_b32_e32 v28, v30, v28, vcc
	v_mul_f32_e32 v30, v29, v28
.LBB228_52:                             ;   in Loop: Header=BB228_5 Depth=1
	s_or_b64 exec, exec, s[26:27]
                                        ; implicit-def: $vgpr28
                                        ; implicit-def: $vgpr29
.LBB228_53:                             ;   in Loop: Header=BB228_5 Depth=1
	s_andn2_saveexec_b64 s[24:25], s[24:25]
	s_cbranch_execz .LBB228_55
; %bb.54:                               ;   in Loop: Header=BB228_5 Depth=1
	v_div_scale_f32 v30, s[4:5], v28, v28, v29
	v_div_scale_f32 v31, vcc, v29, v28, v29
	v_rcp_f32_e32 v32, v30
	v_fma_f32 v33, -v30, v32, 1.0
	v_fmac_f32_e32 v32, v33, v32
	v_mul_f32_e32 v33, v31, v32
	v_fma_f32 v34, -v30, v33, v31
	v_fmac_f32_e32 v33, v34, v32
	v_fma_f32 v30, -v30, v33, v31
	v_div_fmas_f32 v30, v30, v32, v33
	v_div_fixup_f32 v29, v30, v28, v29
	v_fma_f32 v29, v29, v29, 1.0
	v_mul_f32_e32 v30, 0x4f800000, v29
	v_cmp_gt_f32_e32 vcc, s34, v29
	v_cndmask_b32_e32 v29, v29, v30, vcc
	v_sqrt_f32_e32 v30, v29
	v_add_u32_e32 v31, -1, v30
	v_add_u32_e32 v32, 1, v30
	v_fma_f32 v33, -v31, v30, v29
	v_fma_f32 v34, -v32, v30, v29
	v_cmp_ge_f32_e64 s[4:5], 0, v33
	v_cndmask_b32_e64 v30, v30, v31, s[4:5]
	v_cmp_lt_f32_e64 s[4:5], 0, v34
	v_cndmask_b32_e64 v30, v30, v32, s[4:5]
	v_mul_f32_e32 v31, 0x37800000, v30
	v_cndmask_b32_e32 v30, v30, v31, vcc
	v_cmp_class_f32_e32 vcc, v29, v37
	v_cndmask_b32_e32 v29, v30, v29, vcc
	v_mul_f32_e32 v30, v28, v29
.LBB228_55:                             ;   in Loop: Header=BB228_5 Depth=1
	s_or_b64 exec, exec, s[24:25]
	v_cmp_lt_f32_e32 vcc, v4, v21
	v_cndmask_b32_e32 v4, v4, v21, vcc
	v_cmp_lt_f32_e32 vcc, v22, v4
	v_cndmask_b32_e32 v4, v22, v4, vcc
	;; [unrolled: 2-line block ×4, first 2 shown]
	v_cvt_f64_f32_e32 v[21:22], v4
	v_cvt_f64_f32_e32 v[26:27], v27
	v_cvt_f64_f32_e32 v[28:29], v30
	v_cmp_ne_u32_e64 s[4:5], s30, v3
	v_mul_f64 v[21:22], v[21:22], v[26:27]
	v_mul_f64 v[26:27], v[28:29], s[22:23]
	v_cmp_nge_f64_e32 vcc, v[21:22], v[26:27]
	s_and_b64 s[4:5], s[4:5], vcc
	s_and_saveexec_b64 s[24:25], s[4:5]
	s_xor_b64 s[4:5], exec, s[24:25]
	s_cbranch_execz .LBB228_61
; %bb.56:                               ;   in Loop: Header=BB228_5 Depth=1
	v_mul_f32_e64 v4, v20, -v8
	v_mul_f32_e32 v21, v7, v20
	v_fmac_f32_e32 v4, v7, v19
	v_fmac_f32_e32 v21, v8, v19
	v_sub_f32_e32 v23, v4, v24
	v_sub_f32_e32 v24, v21, v25
	v_mul_f32_e32 v33, v24, v24
	v_fmac_f32_e32 v33, v23, v23
	v_div_scale_f32 v21, s[24:25], v33, v33, 1.0
	v_div_scale_f32 v22, vcc, 1.0, v33, 1.0
	v_ashrrev_i32_e32 v4, 31, v3
	v_mov_b32_e32 v30, s11
	v_lshlrev_b64 v[11:12], 2, v[11:12]
	v_rcp_f32_e32 v25, v21
	v_fma_f32 v26, -v21, v25, 1.0
	v_fmac_f32_e32 v25, v26, v25
	v_mul_f32_e32 v26, v22, v25
	v_fma_f32 v27, -v21, v26, v22
	v_fmac_f32_e32 v26, v27, v25
	v_fma_f32 v21, -v21, v26, v22
	v_div_fmas_f32 v34, v21, v25, v26
	v_add_u32_e32 v25, v35, v3
	v_lshlrev_b64 v[21:22], 3, v[3:4]
	v_ashrrev_i32_e32 v26, 31, v25
	v_add_co_u32_e32 v31, vcc, v1, v21
	v_lshlrev_b64 v[27:28], 3, v[25:26]
	v_addc_co_u32_e32 v32, vcc, v2, v22, vcc
	v_add_co_u32_e32 v29, vcc, s10, v27
	v_fma_f32 v4, 0, v24, v23
	v_fma_f32 v23, v23, 0, -v24
	v_addc_co_u32_e32 v30, vcc, v30, v28, vcc
	v_div_fixup_f32 v21, v34, v33, 1.0
	v_mul_f32_e32 v4, v4, v21
	v_mul_f32_e32 v40, v23, v21
	global_load_dwordx2 v[21:22], v[31:32], off
	global_load_dwordx2 v[23:24], v[29:30], off
	s_waitcnt vmcnt(1)
	v_mul_f32_e64 v33, v22, -v20
	s_waitcnt vmcnt(0)
	v_mul_f32_e64 v34, v24, -v14
	v_fmac_f32_e32 v33, v19, v21
	v_fmac_f32_e32 v34, v13, v23
	v_sub_f32_e32 v41, v33, v34
	v_mul_f32_e32 v33, v19, v22
	v_mul_f32_e32 v34, v24, v13
	v_fmac_f32_e32 v33, v20, v21
	v_fmac_f32_e32 v34, v14, v23
	v_sub_f32_e32 v42, v33, v34
	v_mul_f32_e64 v33, v40, -v42
	v_mul_f32_e32 v34, v40, v41
	v_fmac_f32_e32 v33, v41, v4
	v_fmac_f32_e32 v34, v42, v4
	global_store_dwordx2 v[31:32], v[33:34], off
	v_mov_b32_e32 v31, s13
	v_add_co_u32_e32 v41, vcc, s12, v15
	v_addc_co_u32_e32 v42, vcc, v31, v16, vcc
	global_load_dwordx2 v[31:32], v[41:42], off
	s_waitcnt vmcnt(0)
	v_mul_f32_e64 v43, v32, -v20
	v_mul_f32_e32 v44, v19, v32
	v_fmac_f32_e32 v43, v19, v31
	v_fmac_f32_e32 v44, v20, v31
	v_mov_b32_e32 v20, s13
	v_add_co_u32_e32 v19, vcc, s12, v27
	v_addc_co_u32_e32 v20, vcc, v20, v28, vcc
	global_load_dwordx2 v[33:34], v[19:20], off
	v_add_co_u32_e32 v15, vcc, s14, v15
	s_waitcnt vmcnt(0)
	v_mul_f32_e64 v45, v34, -v14
	v_fmac_f32_e32 v45, v13, v33
	v_sub_f32_e32 v45, v43, v45
	v_mul_f32_e32 v43, v34, v13
	v_fmac_f32_e32 v43, v14, v33
	v_sub_f32_e32 v46, v44, v43
	v_mul_f32_e64 v43, v40, -v46
	v_mul_f32_e32 v44, v40, v45
	v_fmac_f32_e32 v43, v45, v4
	v_fmac_f32_e32 v44, v46, v4
	global_store_dwordx2 v[41:42], v[43:44], off
	v_mov_b32_e32 v41, s15
	v_addc_co_u32_e32 v16, vcc, v41, v16, vcc
	v_mul_f32_e32 v41, v10, v14
	v_fma_f32 v41, -v13, v9, v41
	v_mul_f32_e64 v13, v10, -v13
	v_fma_f32 v42, -v14, v9, v13
	v_mul_f32_e64 v13, v40, -v42
	v_mul_f32_e32 v14, v40, v41
	v_fmac_f32_e32 v13, v41, v4
	v_fmac_f32_e32 v14, v42, v4
	global_store_dwordx2 v[15:16], v[13:14], off
	v_mov_b32_e32 v13, s7
	v_add_co_u32_e32 v11, vcc, s6, v11
	v_addc_co_u32_e32 v12, vcc, v13, v12, vcc
	global_store_dword v[11:12], v38, off
	s_and_saveexec_b64 s[24:25], s[0:1]
	s_cbranch_execz .LBB228_58
; %bb.57:                               ;   in Loop: Header=BB228_5 Depth=1
	v_mul_f32_e32 v11, v6, v22
	v_mul_f32_e64 v12, v22, -v5
	v_mul_f32_e64 v13, v24, -v8
	v_mul_f32_e32 v14, v7, v24
	v_fma_f32 v11, -v5, v21, v11
	v_fma_f32 v12, -v6, v21, v12
	v_fmac_f32_e32 v13, v7, v23
	v_fmac_f32_e32 v14, v8, v23
	v_add_f32_e32 v13, v11, v13
	v_add_f32_e32 v14, v12, v14
	v_mul_f32_e64 v11, v40, -v14
	v_mul_f32_e32 v12, v40, v13
	v_fmac_f32_e32 v11, v13, v4
	v_fmac_f32_e32 v12, v14, v4
	global_store_dwordx2 v[29:30], v[11:12], off
	v_mul_f32_e32 v11, v6, v32
	v_mul_f32_e64 v12, v32, -v5
	v_mul_f32_e64 v13, v34, -v8
	v_mul_f32_e32 v14, v7, v34
	v_fma_f32 v11, -v5, v31, v11
	v_fma_f32 v12, -v6, v31, v12
	v_fmac_f32_e32 v13, v7, v33
	v_fmac_f32_e32 v14, v8, v33
	v_add_f32_e32 v13, v11, v13
	v_add_f32_e32 v14, v12, v14
	v_mul_f32_e64 v11, v40, -v14
	v_mul_f32_e32 v12, v40, v13
	v_fmac_f32_e32 v11, v13, v4
	v_fmac_f32_e32 v12, v14, v4
	v_mul_f32_e32 v13, v7, v10
	global_store_dwordx2 v[19:20], v[11:12], off
	v_mul_f32_e64 v12, v10, -v8
	v_fmac_f32_e32 v13, v8, v9
	v_fmac_f32_e32 v12, v7, v9
	v_mul_f32_e64 v11, v40, -v13
	v_fmac_f32_e32 v11, v12, v4
	v_mul_f32_e32 v12, v40, v12
	v_fmac_f32_e32 v12, v13, v4
	v_mov_b32_e32 v14, s15
	v_add_co_u32_e32 v13, vcc, s14, v27
	v_addc_co_u32_e32 v14, vcc, v14, v28, vcc
	global_store_dwordx2 v[13:14], v[11:12], off
	v_lshlrev_b64 v[11:12], 2, v[25:26]
	v_mov_b32_e32 v13, s7
	v_add_co_u32_e32 v11, vcc, s6, v11
	v_addc_co_u32_e32 v12, vcc, v13, v12, vcc
	global_store_dword v[11:12], v38, off
.LBB228_58:                             ;   in Loop: Header=BB228_5 Depth=1
	s_or_b64 exec, exec, s[24:25]
	v_mov_b32_e32 v12, 0
	v_mov_b32_e32 v11, 0
	s_and_saveexec_b64 s[24:25], s[2:3]
	s_cbranch_execz .LBB228_60
; %bb.59:                               ;   in Loop: Header=BB228_5 Depth=1
	v_add_u32_e32 v11, v36, v3
	v_ashrrev_i32_e32 v12, 31, v11
	v_lshlrev_b64 v[11:12], 3, v[11:12]
	v_mov_b32_e32 v14, s11
	v_add_co_u32_e32 v13, vcc, s10, v11
	v_addc_co_u32_e32 v14, vcc, v14, v12, vcc
	v_mov_b32_e32 v19, s19
	v_add_co_u32_e32 v11, vcc, s18, v11
	v_addc_co_u32_e32 v12, vcc, v19, v12, vcc
	global_load_dwordx2 v[15:16], v[13:14], off
	v_mul_f32_e32 v19, v6, v18
	global_load_dwordx2 v[11:12], v[11:12], off
	v_mul_f32_e64 v20, v18, -v5
	v_mul_f32_e64 v25, v18, -v8
	v_mul_f32_e32 v26, v7, v18
	v_mul_f32_e64 v27, v8, -v18
	v_mul_f32_e32 v28, v8, v17
	v_fma_f32 v5, -v5, v17, v19
	v_fma_f32 v6, -v6, v17, v20
	v_fmac_f32_e32 v25, v7, v17
	v_fmac_f32_e32 v26, v8, v17
	;; [unrolled: 1-line block ×4, first 2 shown]
	v_mul_f32_e64 v7, v40, -v6
	v_mul_f32_e32 v8, v40, v5
	v_mul_f32_e64 v17, v40, -v26
	v_mul_f32_e32 v18, v40, v25
	;; [unrolled: 2-line block ×3, first 2 shown]
	v_fmac_f32_e32 v7, v5, v4
	v_fmac_f32_e32 v8, v6, v4
	;; [unrolled: 1-line block ×6, first 2 shown]
	v_mul_f32_e32 v5, v8, v22
	v_mul_f32_e64 v6, v22, -v7
	v_mul_f32_e64 v9, v24, -v18
	v_mul_f32_e32 v20, v17, v24
	v_mul_f32_e64 v22, v40, -v10
	v_mul_f32_e32 v24, v40, v19
	v_fma_f32 v5, -v7, v21, v5
	v_fma_f32 v6, -v8, v21, v6
	v_fmac_f32_e32 v9, v17, v23
	v_fmac_f32_e32 v20, v18, v23
	;; [unrolled: 1-line block ×4, first 2 shown]
	v_sub_f32_e32 v4, v5, v9
	v_sub_f32_e32 v5, v6, v20
	s_waitcnt vmcnt(1)
	v_add_f32_e32 v4, v4, v15
	v_add_f32_e32 v5, v5, v16
	s_waitcnt vmcnt(0)
	v_sub_f32_e32 v11, v11, v22
	v_sub_f32_e32 v12, v12, v24
	global_store_dwordx2 v[13:14], v[4:5], off
.LBB228_60:                             ;   in Loop: Header=BB228_5 Depth=1
	s_or_b64 exec, exec, s[24:25]
	v_mov_b32_e32 v8, v12
	v_mov_b32_e32 v7, v11
                                        ; implicit-def: $vgpr13_vgpr14
                                        ; implicit-def: $vgpr5
                                        ; implicit-def: $vgpr19
                                        ; implicit-def: $vgpr24
                                        ; implicit-def: $vgpr25
                                        ; implicit-def: $vgpr11_vgpr12
                                        ; implicit-def: $vgpr15_vgpr16
.LBB228_61:                             ;   in Loop: Header=BB228_5 Depth=1
	s_or_saveexec_b64 s[2:3], s[4:5]
	v_mov_b32_e32 v4, s33
	s_xor_b64 exec, exec, s[2:3]
	s_cbranch_execz .LBB228_4
; %bb.62:                               ;   in Loop: Header=BB228_5 Depth=1
	v_ashrrev_i32_e32 v4, 31, v3
	v_lshlrev_b64 v[9:10], 3, v[3:4]
	v_mov_b32_e32 v4, s13
	v_add_co_u32_e32 v17, vcc, s12, v15
	v_addc_co_u32_e32 v18, vcc, v4, v16, vcc
	v_add_co_u32_e32 v26, vcc, v1, v9
	v_addc_co_u32_e32 v27, vcc, v2, v10, vcc
	global_load_dwordx2 v[21:22], v[17:18], off
	global_load_dwordx2 v[9:10], v[26:27], off
	v_mul_f32_e32 v4, v8, v8
	v_fmac_f32_e32 v4, v7, v7
	v_div_scale_f32 v23, s[4:5], v4, v4, 1.0
	v_div_scale_f32 v28, vcc, 1.0, v4, 1.0
	v_rcp_f32_e32 v29, v23
	v_fma_f32 v30, -v23, v29, 1.0
	v_fmac_f32_e32 v29, v30, v29
	v_mul_f32_e32 v30, v28, v29
	v_fma_f32 v31, -v23, v30, v28
	v_fmac_f32_e32 v30, v31, v29
	v_fma_f32 v23, -v23, v30, v28
	v_div_fmas_f32 v23, v23, v29, v30
	v_fma_f32 v28, 0, v8, v7
	v_fma_f32 v29, v7, 0, -v8
	v_mov_b32_e32 v30, s15
	v_lshlrev_b64 v[7:8], 2, v[11:12]
	v_add_co_u32_e32 v11, vcc, s14, v15
	v_addc_co_u32_e32 v12, vcc, v30, v16, vcc
	v_add_co_u32_e32 v15, vcc, s6, v7
	v_mov_b32_e32 v31, s7
	v_addc_co_u32_e32 v16, vcc, v31, v8, vcc
	v_div_fixup_f32 v7, v23, v4, 1.0
	v_mul_f32_e32 v4, v28, v7
	v_mul_f32_e32 v7, v29, v7
	v_mul_f32_e64 v28, v7, -v14
	v_mul_f32_e32 v29, v7, v13
	v_fmac_f32_e32 v28, v13, v4
	v_fmac_f32_e32 v29, v14, v4
	global_store_dwordx2 v[11:12], v[28:29], off
	s_waitcnt vmcnt(2)
	v_mul_f32_e64 v11, v7, -v22
	v_mul_f32_e32 v12, v7, v21
	s_waitcnt vmcnt(1)
	v_mul_f32_e64 v13, v7, -v10
	v_mul_f32_e32 v14, v7, v9
	v_fmac_f32_e32 v11, v21, v4
	v_fmac_f32_e32 v12, v22, v4
	;; [unrolled: 1-line block ×4, first 2 shown]
	global_store_dwordx2 v[17:18], v[11:12], off
	global_store_dwordx2 v[26:27], v[13:14], off
	global_store_dword v[15:16], v39, off
	s_and_saveexec_b64 s[4:5], s[0:1]
	s_cbranch_execz .LBB228_3
; %bb.63:                               ;   in Loop: Header=BB228_5 Depth=1
	v_add_u32_e32 v11, v35, v3
	v_ashrrev_i32_e32 v12, 31, v11
	v_lshlrev_b64 v[11:12], 3, v[11:12]
	v_mov_b32_e32 v8, s11
	v_add_co_u32_e32 v11, vcc, s10, v11
	v_addc_co_u32_e32 v12, vcc, v8, v12, vcc
	global_load_dwordx2 v[13:14], v[11:12], off
	v_mul_f32_e32 v8, v7, v5
	v_mul_f32_e64 v15, v7, -v6
	v_fmac_f32_e32 v8, v6, v4
	v_fmac_f32_e32 v15, v5, v4
	v_mul_f32_e32 v5, v8, v10
	v_mul_f32_e64 v6, v10, -v15
	v_fma_f32 v5, -v15, v9, v5
	v_fma_f32 v6, -v8, v9, v6
	s_waitcnt vmcnt(0)
	v_add_f32_e32 v5, v5, v13
	v_add_f32_e32 v6, v6, v14
	global_store_dwordx2 v[11:12], v[5:6], off
	s_branch .LBB228_3
.LBB228_64:
	s_or_b64 exec, exec, s[20:21]
.LBB228_65:
	v_subrev_u32_e32 v5, s28, v3
	v_add_u32_e32 v3, v5, v0
	v_ashrrev_i32_e32 v4, 31, v3
	v_lshlrev_b64 v[3:4], 2, v[3:4]
	s_waitcnt lgkmcnt(0)
	v_mov_b32_e32 v6, s7
	v_add_co_u32_e32 v3, vcc, s6, v3
	v_addc_co_u32_e32 v4, vcc, v6, v4, vcc
	s_waitcnt vmcnt(0)
	buffer_wbinvl1_vol
	global_load_dword v3, v[3:4], off
	s_waitcnt vmcnt(0)
	v_mul_lo_u32 v3, v3, s28
	v_sub_u32_e32 v3, v5, v3
	v_cmp_lt_i32_e32 vcc, -1, v3
	s_and_b64 exec, exec, vcc
	s_cbranch_execz .LBB228_72
; %bb.66:
	v_subrev_u32_e32 v11, s28, v0
	s_lshl_b32 s4, s28, 1
	s_mov_b64 s[0:1], 0
	v_mov_b32_e32 v12, s7
	v_mov_b32_e32 v13, s15
	s_branch .LBB228_68
.LBB228_67:                             ;   in Loop: Header=BB228_68 Depth=1
	s_or_b64 exec, exec, s[2:3]
	s_waitcnt vmcnt(0)
	v_lshlrev_b64 v[5:6], 3, v[7:8]
	v_mov_b32_e32 v7, s13
	v_add_co_u32_e32 v5, vcc, s12, v5
	v_addc_co_u32_e32 v6, vcc, v7, v6, vcc
	global_load_dwordx2 v[7:8], v[5:6], off
	v_sub_u32_e32 v3, v3, v9
	v_cmp_gt_i32_e32 vcc, 0, v3
	s_or_b64 s[0:1], vcc, s[0:1]
	s_waitcnt vmcnt(0)
	v_add_f32_e32 v7, v7, v4
	v_add_f32_e32 v8, v14, v8
	global_store_dwordx2 v[5:6], v[7:8], off
	s_andn2_b64 exec, exec, s[0:1]
	s_cbranch_execz .LBB228_72
.LBB228_68:                             ; =>This Inner Loop Header: Depth=1
	v_add_u32_e32 v7, v3, v0
	v_ashrrev_i32_e32 v8, 31, v7
	v_lshlrev_b64 v[4:5], 2, v[7:8]
	v_lshlrev_b64 v[9:10], 3, v[7:8]
	v_add_co_u32_e32 v4, vcc, s6, v4
	v_addc_co_u32_e32 v5, vcc, v12, v5, vcc
	global_load_dword v14, v[4:5], off
	v_add_co_u32_e32 v4, vcc, s14, v9
	v_addc_co_u32_e32 v5, vcc, v13, v10, vcc
	global_load_dwordx2 v[5:6], v[4:5], off
                                        ; implicit-def: $vgpr4
	s_waitcnt vmcnt(1)
	v_cmp_ne_u32_e32 vcc, 1, v14
                                        ; implicit-def: $vgpr14
	s_and_saveexec_b64 s[2:3], vcc
	s_xor_b64 s[2:3], exec, s[2:3]
	s_cbranch_execz .LBB228_70
; %bb.69:                               ;   in Loop: Header=BB228_68 Depth=1
	v_add_u32_e32 v7, v35, v3
	v_ashrrev_i32_e32 v8, 31, v7
	v_lshlrev_b64 v[7:8], 3, v[7:8]
	v_mov_b32_e32 v4, s11
	v_add_co_u32_e32 v14, vcc, s10, v7
	v_addc_co_u32_e32 v15, vcc, v4, v8, vcc
	v_ashrrev_i32_e32 v4, 31, v3
	v_lshlrev_b64 v[18:19], 3, v[3:4]
	v_mov_b32_e32 v4, s13
	v_add_co_u32_e32 v20, vcc, s12, v7
	v_addc_co_u32_e32 v21, vcc, v4, v8, vcc
	global_load_dwordx2 v[16:17], v[14:15], off
	v_add_co_u32_e32 v18, vcc, v1, v18
	global_load_dwordx2 v[22:23], v[20:21], off
	v_addc_co_u32_e32 v19, vcc, v2, v19, vcc
	global_load_dwordx2 v[24:25], v[18:19], off
	v_add_co_u32_e32 v9, vcc, s12, v9
	v_addc_co_u32_e32 v10, vcc, v4, v10, vcc
	global_load_dwordx2 v[26:27], v[9:10], off
	v_add_u32_e32 v7, v11, v3
	v_ashrrev_i32_e32 v8, 31, v7
	v_lshlrev_b64 v[28:29], 3, v[7:8]
	v_mov_b32_e32 v4, s15
	v_add_co_u32_e32 v30, vcc, s14, v28
	v_addc_co_u32_e32 v31, vcc, v4, v29, vcc
	v_mov_b32_e32 v32, s11
	global_load_dwordx2 v[30:31], v[30:31], off
	s_waitcnt vmcnt(4)
	v_mul_f32_e32 v4, v6, v17
	v_mul_f32_e64 v17, v17, -v5
	v_fma_f32 v4, -v5, v16, v4
	s_waitcnt vmcnt(3)
	v_mul_f32_e32 v33, v6, v23
	v_fma_f32 v16, -v6, v16, v17
	v_mul_f32_e64 v23, v23, -v5
	v_fma_f32 v17, -v5, v22, v33
	s_waitcnt vmcnt(2)
	v_add_f32_e32 v4, v24, v4
	v_add_f32_e32 v5, v16, v25
	v_fma_f32 v6, -v6, v22, v23
	global_store_dwordx2 v[18:19], v[4:5], off
	s_waitcnt vmcnt(2)
	v_add_f32_e32 v16, v26, v17
	v_add_f32_e32 v17, v6, v27
	global_load_dwordx2 v[4:5], v[14:15], off
	v_add_co_u32_e32 v14, vcc, s10, v28
	global_store_dwordx2 v[9:10], v[16:17], off
	v_addc_co_u32_e32 v15, vcc, v32, v29, vcc
	global_load_dwordx2 v[9:10], v[20:21], off
	global_load_dwordx2 v[16:17], v[14:15], off
	s_waitcnt vmcnt(3)
	v_mul_f32_e32 v6, v31, v5
	v_mul_f32_e64 v5, v5, -v30
	v_fma_f32 v6, -v30, v4, v6
	v_fma_f32 v19, -v31, v4, v5
	s_waitcnt vmcnt(1)
	v_mul_f32_e32 v18, v31, v10
	v_mul_f32_e64 v10, v10, -v30
	s_waitcnt vmcnt(0)
	v_add_f32_e32 v5, v16, v6
	v_add_f32_e32 v6, v19, v17
	v_fma_f32 v4, -v30, v9, v18
	global_store_dwordx2 v[14:15], v[5:6], off
	v_fma_f32 v14, -v31, v9, v10
                                        ; implicit-def: $vgpr5_vgpr6
.LBB228_70:                             ;   in Loop: Header=BB228_68 Depth=1
	s_or_saveexec_b64 s[2:3], s[2:3]
	v_mov_b32_e32 v9, s4
	s_xor_b64 exec, exec, s[2:3]
	s_cbranch_execz .LBB228_67
; %bb.71:                               ;   in Loop: Header=BB228_68 Depth=1
	v_add_u32_e32 v9, v35, v3
	v_ashrrev_i32_e32 v10, 31, v9
	v_lshlrev_b64 v[9:10], 3, v[9:10]
	v_mov_b32_e32 v4, s11
	v_add_co_u32_e32 v14, vcc, s10, v9
	v_addc_co_u32_e32 v15, vcc, v4, v10, vcc
	v_ashrrev_i32_e32 v4, 31, v3
	v_mov_b32_e32 v16, s13
	v_add_co_u32_e32 v9, vcc, s12, v9
	v_addc_co_u32_e32 v10, vcc, v16, v10, vcc
	v_lshlrev_b64 v[16:17], 3, v[3:4]
	global_load_dwordx2 v[14:15], v[14:15], off
	v_add_co_u32_e32 v16, vcc, v1, v16
	global_load_dwordx2 v[9:10], v[9:10], off
	v_addc_co_u32_e32 v17, vcc, v2, v17, vcc
	global_load_dwordx2 v[18:19], v[16:17], off
	s_waitcnt vmcnt(2)
	v_mul_f32_e32 v4, v6, v15
	v_mul_f32_e64 v15, v15, -v5
	v_fma_f32 v21, -v5, v14, v4
	s_waitcnt vmcnt(1)
	v_mul_f32_e32 v20, v6, v10
	v_mul_f32_e64 v10, v10, -v5
	v_fma_f32 v15, -v6, v14, v15
	v_fma_f32 v4, -v5, v9, v20
	;; [unrolled: 1-line block ×3, first 2 shown]
	s_waitcnt vmcnt(0)
	v_add_f32_e32 v5, v18, v21
	v_add_f32_e32 v6, v15, v19
	v_mov_b32_e32 v9, s28
	global_store_dwordx2 v[16:17], v[5:6], off
	s_branch .LBB228_67
.LBB228_72:
	s_endpgm
	.section	.rodata,"a",@progbits
	.p2align	6, 0x0
	.amdhsa_kernel _ZN9rocsparseL18gtsv_LBM_wv_kernelILj256ELj32E21rocsparse_complex_numIfEEEviiiPKT1_S5_S5_PS3_S6_S6_Pi
		.amdhsa_group_segment_fixed_size 0
		.amdhsa_private_segment_fixed_size 0
		.amdhsa_kernarg_size 72
		.amdhsa_user_sgpr_count 6
		.amdhsa_user_sgpr_private_segment_buffer 1
		.amdhsa_user_sgpr_dispatch_ptr 0
		.amdhsa_user_sgpr_queue_ptr 0
		.amdhsa_user_sgpr_kernarg_segment_ptr 1
		.amdhsa_user_sgpr_dispatch_id 0
		.amdhsa_user_sgpr_flat_scratch_init 0
		.amdhsa_user_sgpr_private_segment_size 0
		.amdhsa_uses_dynamic_stack 0
		.amdhsa_system_sgpr_private_segment_wavefront_offset 0
		.amdhsa_system_sgpr_workgroup_id_x 1
		.amdhsa_system_sgpr_workgroup_id_y 0
		.amdhsa_system_sgpr_workgroup_id_z 0
		.amdhsa_system_sgpr_workgroup_info 0
		.amdhsa_system_vgpr_workitem_id 0
		.amdhsa_next_free_vgpr 47
		.amdhsa_next_free_sgpr 35
		.amdhsa_reserve_vcc 1
		.amdhsa_reserve_flat_scratch 0
		.amdhsa_float_round_mode_32 0
		.amdhsa_float_round_mode_16_64 0
		.amdhsa_float_denorm_mode_32 3
		.amdhsa_float_denorm_mode_16_64 3
		.amdhsa_dx10_clamp 1
		.amdhsa_ieee_mode 1
		.amdhsa_fp16_overflow 0
		.amdhsa_exception_fp_ieee_invalid_op 0
		.amdhsa_exception_fp_denorm_src 0
		.amdhsa_exception_fp_ieee_div_zero 0
		.amdhsa_exception_fp_ieee_overflow 0
		.amdhsa_exception_fp_ieee_underflow 0
		.amdhsa_exception_fp_ieee_inexact 0
		.amdhsa_exception_int_div_zero 0
	.end_amdhsa_kernel
	.section	.text._ZN9rocsparseL18gtsv_LBM_wv_kernelILj256ELj32E21rocsparse_complex_numIfEEEviiiPKT1_S5_S5_PS3_S6_S6_Pi,"axG",@progbits,_ZN9rocsparseL18gtsv_LBM_wv_kernelILj256ELj32E21rocsparse_complex_numIfEEEviiiPKT1_S5_S5_PS3_S6_S6_Pi,comdat
.Lfunc_end228:
	.size	_ZN9rocsparseL18gtsv_LBM_wv_kernelILj256ELj32E21rocsparse_complex_numIfEEEviiiPKT1_S5_S5_PS3_S6_S6_Pi, .Lfunc_end228-_ZN9rocsparseL18gtsv_LBM_wv_kernelILj256ELj32E21rocsparse_complex_numIfEEEviiiPKT1_S5_S5_PS3_S6_S6_Pi
                                        ; -- End function
	.set _ZN9rocsparseL18gtsv_LBM_wv_kernelILj256ELj32E21rocsparse_complex_numIfEEEviiiPKT1_S5_S5_PS3_S6_S6_Pi.num_vgpr, 47
	.set _ZN9rocsparseL18gtsv_LBM_wv_kernelILj256ELj32E21rocsparse_complex_numIfEEEviiiPKT1_S5_S5_PS3_S6_S6_Pi.num_agpr, 0
	.set _ZN9rocsparseL18gtsv_LBM_wv_kernelILj256ELj32E21rocsparse_complex_numIfEEEviiiPKT1_S5_S5_PS3_S6_S6_Pi.numbered_sgpr, 35
	.set _ZN9rocsparseL18gtsv_LBM_wv_kernelILj256ELj32E21rocsparse_complex_numIfEEEviiiPKT1_S5_S5_PS3_S6_S6_Pi.num_named_barrier, 0
	.set _ZN9rocsparseL18gtsv_LBM_wv_kernelILj256ELj32E21rocsparse_complex_numIfEEEviiiPKT1_S5_S5_PS3_S6_S6_Pi.private_seg_size, 0
	.set _ZN9rocsparseL18gtsv_LBM_wv_kernelILj256ELj32E21rocsparse_complex_numIfEEEviiiPKT1_S5_S5_PS3_S6_S6_Pi.uses_vcc, 1
	.set _ZN9rocsparseL18gtsv_LBM_wv_kernelILj256ELj32E21rocsparse_complex_numIfEEEviiiPKT1_S5_S5_PS3_S6_S6_Pi.uses_flat_scratch, 0
	.set _ZN9rocsparseL18gtsv_LBM_wv_kernelILj256ELj32E21rocsparse_complex_numIfEEEviiiPKT1_S5_S5_PS3_S6_S6_Pi.has_dyn_sized_stack, 0
	.set _ZN9rocsparseL18gtsv_LBM_wv_kernelILj256ELj32E21rocsparse_complex_numIfEEEviiiPKT1_S5_S5_PS3_S6_S6_Pi.has_recursion, 0
	.set _ZN9rocsparseL18gtsv_LBM_wv_kernelILj256ELj32E21rocsparse_complex_numIfEEEviiiPKT1_S5_S5_PS3_S6_S6_Pi.has_indirect_call, 0
	.section	.AMDGPU.csdata,"",@progbits
; Kernel info:
; codeLenInByte = 6088
; TotalNumSgprs: 39
; NumVgprs: 47
; ScratchSize: 0
; MemoryBound: 0
; FloatMode: 240
; IeeeMode: 1
; LDSByteSize: 0 bytes/workgroup (compile time only)
; SGPRBlocks: 4
; VGPRBlocks: 11
; NumSGPRsForWavesPerEU: 39
; NumVGPRsForWavesPerEU: 47
; Occupancy: 5
; WaveLimiterHint : 0
; COMPUTE_PGM_RSRC2:SCRATCH_EN: 0
; COMPUTE_PGM_RSRC2:USER_SGPR: 6
; COMPUTE_PGM_RSRC2:TRAP_HANDLER: 0
; COMPUTE_PGM_RSRC2:TGID_X_EN: 1
; COMPUTE_PGM_RSRC2:TGID_Y_EN: 0
; COMPUTE_PGM_RSRC2:TGID_Z_EN: 0
; COMPUTE_PGM_RSRC2:TIDIG_COMP_CNT: 0
	.section	.text._ZN9rocsparseL19gtsv_LBM_rhs_kernelILj256ELj32ELj8E21rocsparse_complex_numIfEEEviiiPKT2_S5_S5_PS3_S5_PKi,"axG",@progbits,_ZN9rocsparseL19gtsv_LBM_rhs_kernelILj256ELj32ELj8E21rocsparse_complex_numIfEEEviiiPKT2_S5_S5_PS3_S5_PKi,comdat
	.globl	_ZN9rocsparseL19gtsv_LBM_rhs_kernelILj256ELj32ELj8E21rocsparse_complex_numIfEEEviiiPKT2_S5_S5_PS3_S5_PKi ; -- Begin function _ZN9rocsparseL19gtsv_LBM_rhs_kernelILj256ELj32ELj8E21rocsparse_complex_numIfEEEviiiPKT2_S5_S5_PS3_S5_PKi
	.p2align	8
	.type	_ZN9rocsparseL19gtsv_LBM_rhs_kernelILj256ELj32ELj8E21rocsparse_complex_numIfEEEviiiPKT2_S5_S5_PS3_S5_PKi,@function
_ZN9rocsparseL19gtsv_LBM_rhs_kernelILj256ELj32ELj8E21rocsparse_complex_numIfEEEviiiPKT2_S5_S5_PS3_S5_PKi: ; @_ZN9rocsparseL19gtsv_LBM_rhs_kernelILj256ELj32ELj8E21rocsparse_complex_numIfEEEviiiPKT2_S5_S5_PS3_S5_PKi
; %bb.0:
	s_load_dword s23, s[4:5], 0x0
	v_lshl_or_b32 v0, s6, 8, v0
	s_waitcnt lgkmcnt(0)
	s_lshr_b32 s22, s23, 5
	v_cmp_gt_i32_e32 vcc, s22, v0
	s_and_saveexec_b64 s[0:1], vcc
	s_cbranch_execz .LBB229_29
; %bb.1:
	s_load_dwordx4 s[8:11], s[4:5], 0x28
	s_load_dwordx2 s[16:17], s[4:5], 0x38
	s_cmp_lt_i32 s23, 1
	v_add_u32_e32 v25, s22, v0
	s_mul_i32 s24, s7, s23
	s_cbranch_scc1 .LBB229_21
; %bb.2:
	s_load_dwordx4 s[12:15], s[4:5], 0x10
	s_load_dwordx2 s[6:7], s[4:5], 0x20
	v_ashrrev_i32_e32 v1, 31, v0
	v_lshlrev_b64 v[1:2], 3, v[0:1]
	s_lshl_b32 s28, s24, 3
	s_waitcnt lgkmcnt(0)
	v_mov_b32_e32 v3, s15
	v_add_co_u32_e32 v1, vcc, s14, v1
	v_addc_co_u32_e32 v2, vcc, v3, v2, vcc
	global_load_dwordx2 v[3:4], v[1:2], off
	s_add_i32 s29, s28, s23
	s_add_i32 s30, s29, s23
	;; [unrolled: 1-line block ×6, first 2 shown]
	s_mul_i32 s25, s22, 31
	s_mul_i32 s26, s22, 30
	s_lshl_b32 s27, s22, 1
	v_add_u32_e32 v26, s22, v25
	s_add_i32 s36, s35, s23
	v_mov_b32_e32 v2, 0
	s_mov_b64 s[18:19], 0
	v_mov_b32_e32 v28, s7
	v_mov_b32_e32 v27, 0
	s_branch .LBB229_5
.LBB229_3:                              ;   in Loop: Header=BB229_5 Depth=1
	s_or_b64 exec, exec, s[4:5]
	v_fmac_f32_e32 v30, v5, v7
	v_fmac_f32_e32 v29, v6, v7
	v_mul_f32_e64 v1, v31, -v29
	v_mul_f32_e32 v4, v31, v30
	v_fmac_f32_e32 v1, v30, v8
	v_fmac_f32_e32 v4, v29, v8
	v_sub_f32_e32 v3, v9, v1
	v_sub_f32_e32 v4, v10, v4
	v_mov_b32_e32 v8, s22
.LBB229_4:                              ;   in Loop: Header=BB229_5 Depth=1
	s_or_b64 exec, exec, s[2:3]
	v_add_u32_e32 v27, v8, v27
	v_cmp_le_i32_e32 vcc, s23, v27
	s_or_b64 s[18:19], vcc, s[18:19]
	s_andn2_b64 exec, exec, s[18:19]
	s_cbranch_execz .LBB229_20
.LBB229_5:                              ; =>This Inner Loop Header: Depth=1
	v_add_u32_e32 v15, v27, v0
	v_ashrrev_i32_e32 v16, 31, v15
	v_lshlrev_b64 v[5:6], 3, v[15:16]
	v_cmp_gt_u32_e64 s[0:1], s25, v27
	v_add_co_u32_e32 v5, vcc, s6, v5
	v_addc_co_u32_e32 v6, vcc, v28, v6, vcc
	global_load_dwordx2 v[7:8], v[5:6], off
	v_mov_b32_e32 v5, 0
	v_mov_b32_e32 v6, 0
	s_and_saveexec_b64 s[2:3], s[0:1]
	s_cbranch_execz .LBB229_7
; %bb.6:                                ;   in Loop: Header=BB229_5 Depth=1
	v_add_u32_e32 v5, v25, v27
	v_ashrrev_i32_e32 v6, 31, v5
	v_lshlrev_b64 v[5:6], 3, v[5:6]
	v_mov_b32_e32 v1, s13
	v_add_co_u32_e32 v5, vcc, s12, v5
	v_addc_co_u32_e32 v6, vcc, v1, v6, vcc
	global_load_dwordx2 v[5:6], v[5:6], off
.LBB229_7:                              ;   in Loop: Header=BB229_5 Depth=1
	s_or_b64 exec, exec, s[2:3]
	v_mov_b32_e32 v11, 0
	v_mov_b32_e32 v9, 0
	;; [unrolled: 1-line block ×3, first 2 shown]
	s_and_saveexec_b64 s[2:3], s[0:1]
	s_cbranch_execz .LBB229_9
; %bb.8:                                ;   in Loop: Header=BB229_5 Depth=1
	v_add_u32_e32 v9, v25, v27
	v_ashrrev_i32_e32 v10, 31, v9
	v_lshlrev_b64 v[9:10], 3, v[9:10]
	v_mov_b32_e32 v1, s15
	v_add_co_u32_e32 v9, vcc, s14, v9
	v_addc_co_u32_e32 v10, vcc, v1, v10, vcc
	global_load_dwordx2 v[9:10], v[9:10], off
.LBB229_9:                              ;   in Loop: Header=BB229_5 Depth=1
	s_or_b64 exec, exec, s[2:3]
	v_mov_b32_e32 v12, 0
	s_and_saveexec_b64 s[2:3], s[0:1]
	s_cbranch_execz .LBB229_11
; %bb.10:                               ;   in Loop: Header=BB229_5 Depth=1
	v_add_u32_e32 v11, v25, v27
	v_ashrrev_i32_e32 v12, 31, v11
	v_lshlrev_b64 v[11:12], 3, v[11:12]
	v_mov_b32_e32 v1, s7
	v_add_co_u32_e32 v11, vcc, s6, v11
	v_addc_co_u32_e32 v12, vcc, v1, v12, vcc
	global_load_dwordx2 v[11:12], v[11:12], off
.LBB229_11:                             ;   in Loop: Header=BB229_5 Depth=1
	s_or_b64 exec, exec, s[2:3]
	v_cmp_gt_u32_e64 s[2:3], s26, v27
	v_mov_b32_e32 v13, 0
	v_mov_b32_e32 v14, 0
	s_and_saveexec_b64 s[4:5], s[2:3]
	s_cbranch_execz .LBB229_13
; %bb.12:                               ;   in Loop: Header=BB229_5 Depth=1
	v_add_u32_e32 v13, v26, v27
	v_ashrrev_i32_e32 v14, 31, v13
	v_lshlrev_b64 v[13:14], 3, v[13:14]
	v_mov_b32_e32 v1, s13
	v_add_co_u32_e32 v13, vcc, s12, v13
	v_addc_co_u32_e32 v14, vcc, v1, v14, vcc
	global_load_dwordx2 v[13:14], v[13:14], off
.LBB229_13:                             ;   in Loop: Header=BB229_5 Depth=1
	s_or_b64 exec, exec, s[4:5]
	v_lshlrev_b64 v[16:17], 2, v[15:16]
	v_mov_b32_e32 v1, s17
	v_add_co_u32_e32 v16, vcc, s16, v16
	v_addc_co_u32_e32 v17, vcc, v1, v17, vcc
	global_load_dword v20, v[16:17], off
	v_cmp_ne_u32_e32 vcc, s25, v27
	s_waitcnt vmcnt(1)
	v_mul_f32_e64 v30, v8, -v6
	v_mul_f32_e32 v29, v5, v8
	v_add_u32_e32 v1, s28, v15
	v_add_u32_e32 v23, s29, v15
	;; [unrolled: 1-line block ×8, first 2 shown]
	s_waitcnt vmcnt(0)
	v_cmp_ne_u32_e64 s[4:5], 1, v20
	s_and_b64 s[4:5], vcc, s[4:5]
	s_and_saveexec_b64 s[20:21], s[4:5]
	s_xor_b64 s[4:5], exec, s[20:21]
	s_cbranch_execz .LBB229_17
; %bb.14:                               ;   in Loop: Header=BB229_5 Depth=1
	v_mul_f32_e32 v22, v3, v10
	v_mul_f32_e64 v20, v10, -v4
	v_fmac_f32_e32 v22, v4, v9
	v_fmac_f32_e32 v29, v6, v7
	;; [unrolled: 1-line block ×4, first 2 shown]
	v_sub_f32_e32 v33, v22, v29
	v_sub_f32_e32 v20, v20, v30
	v_mul_f32_e32 v35, v33, v33
	v_fmac_f32_e32 v35, v20, v20
	v_div_scale_f32 v31, s[20:21], v35, v35, 1.0
	v_div_scale_f32 v32, vcc, 1.0, v35, 1.0
	v_lshlrev_b64 v[29:30], 3, v[1:2]
	v_mov_b32_e32 v24, v2
	v_mov_b32_e32 v1, s9
	v_lshlrev_b64 v[23:24], 3, v[23:24]
	v_mov_b32_e32 v36, s9
	v_mov_b32_e32 v22, v2
	;; [unrolled: 1-line block ×3, first 2 shown]
	v_rcp_f32_e32 v34, v31
	v_fma_f32 v37, -v31, v34, 1.0
	v_fmac_f32_e32 v34, v37, v34
	v_mul_f32_e32 v37, v32, v34
	v_fma_f32 v38, -v31, v37, v32
	v_fmac_f32_e32 v37, v38, v34
	v_fma_f32 v31, -v31, v37, v32
	v_div_fmas_f32 v39, v31, v34, v37
	v_add_co_u32_e32 v29, vcc, s8, v29
	v_addc_co_u32_e32 v30, vcc, v1, v30, vcc
	v_add_co_u32_e32 v23, vcc, s8, v23
	v_fma_f32 v1, 0, v33, v20
	v_fma_f32 v20, v20, 0, -v33
	v_addc_co_u32_e32 v24, vcc, v36, v24, vcc
	global_load_dwordx2 v[33:34], v[29:30], off
	global_load_dwordx2 v[37:38], v[23:24], off
	v_lshlrev_b64 v[31:32], 3, v[21:22]
	v_add_co_u32_e32 v31, vcc, s8, v31
	v_div_fixup_f32 v22, v39, v35, 1.0
	v_mul_f32_e32 v21, v1, v22
	v_mul_f32_e32 v22, v20, v22
	v_mov_b32_e32 v20, v2
	v_lshlrev_b64 v[19:20], 3, v[19:20]
	v_addc_co_u32_e32 v32, vcc, v40, v32, vcc
	v_add_co_u32_e32 v42, vcc, s8, v19
	v_mov_b32_e32 v19, v2
	v_mov_b32_e32 v1, s9
	v_lshlrev_b64 v[18:19], 3, v[18:19]
	v_addc_co_u32_e32 v43, vcc, v1, v20, vcc
	v_add_co_u32_e32 v53, vcc, s8, v18
	v_add_u32_e32 v39, v25, v27
	v_addc_co_u32_e32 v54, vcc, v1, v19, vcc
	v_add_u32_e32 v1, s28, v39
	v_lshlrev_b64 v[19:20], 3, v[1:2]
	v_mov_b32_e32 v18, v2
	v_mov_b32_e32 v1, s9
	v_add_co_u32_e32 v55, vcc, s8, v19
	v_lshlrev_b64 v[17:18], 3, v[17:18]
	v_addc_co_u32_e32 v56, vcc, v1, v20, vcc
	v_add_co_u32_e32 v57, vcc, s8, v17
	v_mov_b32_e32 v17, v2
	v_lshlrev_b64 v[16:17], 3, v[16:17]
	v_addc_co_u32_e32 v58, vcc, v1, v18, vcc
	v_add_co_u32_e32 v59, vcc, s8, v16
	v_addc_co_u32_e32 v60, vcc, v1, v17, vcc
	v_add_u32_e32 v1, s29, v39
	v_lshlrev_b64 v[17:18], 3, v[1:2]
	v_mov_b32_e32 v16, v2
	v_lshlrev_b64 v[15:16], 3, v[15:16]
	v_mov_b32_e32 v1, s9
	v_add_co_u32_e32 v61, vcc, s8, v17
	v_addc_co_u32_e32 v62, vcc, v1, v18, vcc
	v_mov_b32_e32 v35, s9
	v_add_co_u32_e32 v63, vcc, s8, v15
	v_add_u32_e32 v1, s30, v39
	v_addc_co_u32_e32 v64, vcc, v35, v16, vcc
	v_lshlrev_b64 v[15:16], 3, v[1:2]
	v_mov_b32_e32 v1, s9
	v_add_co_u32_e32 v65, vcc, s8, v15
	global_load_dwordx2 v[19:20], v[55:56], off
	global_load_dwordx2 v[46:47], v[31:32], off
	;; [unrolled: 1-line block ×3, first 2 shown]
	v_addc_co_u32_e32 v66, vcc, v1, v16, vcc
	v_add_u32_e32 v1, s31, v39
	v_lshlrev_b64 v[15:16], 3, v[1:2]
	global_load_dwordx2 v[17:18], v[61:62], off
	v_mov_b32_e32 v1, s9
	v_add_co_u32_e32 v67, vcc, s8, v15
	v_addc_co_u32_e32 v68, vcc, v1, v16, vcc
	v_add_u32_e32 v1, s33, v39
	v_lshlrev_b64 v[35:36], 3, v[1:2]
	global_load_dwordx2 v[15:16], v[65:66], off
	global_load_dwordx2 v[75:76], v[67:68], off
	v_mov_b32_e32 v1, s9
	v_add_co_u32_e32 v69, vcc, s8, v35
	v_addc_co_u32_e32 v70, vcc, v1, v36, vcc
	v_add_u32_e32 v1, s34, v39
	v_lshlrev_b64 v[35:36], 3, v[1:2]
	v_mov_b32_e32 v1, s9
	v_add_co_u32_e32 v71, vcc, s8, v35
	v_addc_co_u32_e32 v72, vcc, v1, v36, vcc
	v_add_u32_e32 v1, s35, v39
	v_lshlrev_b64 v[35:36], 3, v[1:2]
	s_waitcnt vmcnt(7)
	v_mul_f32_e64 v45, v22, -v34
	v_mul_f32_e32 v48, v22, v33
	v_mov_b32_e32 v1, s9
	v_add_co_u32_e32 v77, vcc, s8, v35
	v_fmac_f32_e32 v45, v33, v21
	v_fmac_f32_e32 v48, v34, v21
	global_load_dwordx2 v[33:34], v[53:54], off
	global_load_dwordx2 v[81:82], v[69:70], off
	v_addc_co_u32_e32 v78, vcc, v1, v36, vcc
	v_add_u32_e32 v1, s36, v39
	v_lshlrev_b64 v[35:36], 3, v[1:2]
	v_mov_b32_e32 v1, s9
	v_add_co_u32_e32 v79, vcc, s8, v35
	v_addc_co_u32_e32 v80, vcc, v1, v36, vcc
	global_load_dwordx2 v[83:84], v[57:58], off
	global_load_dwordx2 v[85:86], v[59:60], off
	;; [unrolled: 1-line block ×6, first 2 shown]
	v_mul_f32_e64 v1, v48, -v10
	v_fmac_f32_e32 v1, v9, v45
	s_waitcnt vmcnt(14)
	v_mul_f32_e32 v39, v22, v37
	v_mul_f32_e64 v36, v22, -v38
	v_fmac_f32_e32 v39, v38, v21
	v_fmac_f32_e32 v36, v37, v21
	s_waitcnt vmcnt(13)
	v_mul_f32_e32 v52, v22, v19
	v_mul_f32_e64 v51, v22, -v20
	v_fmac_f32_e32 v52, v20, v21
	v_fmac_f32_e32 v51, v19, v21
	v_mul_f32_e32 v20, v9, v48
	v_mul_f32_e64 v19, v52, -v8
	v_mul_f32_e32 v35, v52, v7
	v_fmac_f32_e32 v20, v10, v45
	v_fmac_f32_e32 v19, v7, v51
	;; [unrolled: 1-line block ×3, first 2 shown]
	s_waitcnt vmcnt(10)
	v_mul_f32_e32 v41, v22, v17
	v_sub_f32_e32 v19, v1, v19
	v_sub_f32_e32 v20, v20, v35
	v_mul_f32_e64 v38, v22, -v18
	v_fmac_f32_e32 v41, v18, v21
	global_store_dwordx2 v[29:30], v[19:20], off
	v_fmac_f32_e32 v38, v17, v21
	v_mul_f32_e64 v1, v39, -v10
	v_mul_f32_e32 v18, v9, v39
	v_mul_f32_e64 v17, v41, -v8
	v_mul_f32_e32 v19, v41, v7
	v_fmac_f32_e32 v1, v9, v36
	v_fmac_f32_e32 v18, v10, v36
	;; [unrolled: 1-line block ×4, first 2 shown]
	v_mul_f32_e32 v49, v22, v46
	s_waitcnt vmcnt(10)
	v_mul_f32_e32 v50, v22, v15
	v_sub_f32_e32 v17, v1, v17
	v_sub_f32_e32 v18, v18, v19
	v_mul_f32_e64 v44, v22, -v47
	v_fmac_f32_e32 v49, v47, v21
	v_mul_f32_e64 v47, v22, -v16
	v_fmac_f32_e32 v50, v16, v21
	global_store_dwordx2 v[23:24], v[17:18], off
	v_fmac_f32_e32 v44, v46, v21
	v_fmac_f32_e32 v47, v15, v21
	v_mul_f32_e64 v1, v49, -v10
	v_mul_f32_e32 v16, v9, v49
	v_mul_f32_e64 v15, v50, -v8
	v_mul_f32_e32 v17, v50, v7
	v_fmac_f32_e32 v1, v9, v44
	v_fmac_f32_e32 v16, v10, v44
	;; [unrolled: 1-line block ×4, first 2 shown]
	v_sub_f32_e32 v15, v1, v15
	v_sub_f32_e32 v16, v16, v17
	v_mul_f32_e32 v35, v22, v73
	s_waitcnt vmcnt(10)
	v_mul_f32_e32 v37, v22, v75
	global_store_dwordx2 v[31:32], v[15:16], off
	v_mul_f32_e64 v30, v22, -v74
	v_fmac_f32_e32 v35, v74, v21
	v_mul_f32_e64 v32, v22, -v76
	v_fmac_f32_e32 v37, v76, v21
	v_fmac_f32_e32 v30, v73, v21
	;; [unrolled: 1-line block ×3, first 2 shown]
	v_mul_f32_e64 v1, v35, -v10
	v_mul_f32_e32 v16, v9, v35
	v_mul_f32_e64 v15, v37, -v8
	v_mul_f32_e32 v17, v37, v7
	v_fmac_f32_e32 v1, v9, v30
	v_fmac_f32_e32 v16, v10, v30
	;; [unrolled: 1-line block ×4, first 2 shown]
	v_sub_f32_e32 v15, v1, v15
	v_sub_f32_e32 v16, v16, v17
	global_store_dwordx2 v[42:43], v[15:16], off
	s_waitcnt vmcnt(11)
	v_mul_f32_e32 v43, v22, v33
	s_waitcnt vmcnt(10)
	v_mul_f32_e32 v46, v22, v81
	v_mul_f32_e64 v40, v22, -v34
	v_fmac_f32_e32 v43, v34, v21
	v_mul_f32_e64 v42, v22, -v82
	v_fmac_f32_e32 v46, v82, v21
	v_fmac_f32_e32 v40, v33, v21
	;; [unrolled: 1-line block ×3, first 2 shown]
	v_mul_f32_e64 v1, v43, -v10
	v_mul_f32_e32 v16, v9, v43
	v_mul_f32_e64 v15, v46, -v8
	v_mul_f32_e32 v17, v46, v7
	v_fmac_f32_e32 v1, v9, v40
	v_fmac_f32_e32 v16, v10, v40
	;; [unrolled: 1-line block ×4, first 2 shown]
	s_waitcnt vmcnt(9)
	v_mul_f32_e32 v33, v22, v83
	s_waitcnt vmcnt(6)
	v_mul_f32_e32 v34, v22, v89
	v_sub_f32_e32 v15, v1, v15
	v_sub_f32_e32 v16, v16, v17
	v_mul_f32_e64 v29, v22, -v84
	v_fmac_f32_e32 v33, v84, v21
	v_mul_f32_e64 v31, v22, -v90
	v_fmac_f32_e32 v34, v90, v21
	global_store_dwordx2 v[53:54], v[15:16], off
	v_fmac_f32_e32 v29, v83, v21
	v_fmac_f32_e32 v31, v89, v21
	v_mul_f32_e64 v1, v33, -v10
	v_mul_f32_e32 v16, v9, v33
	v_mul_f32_e64 v15, v34, -v8
	v_mul_f32_e32 v17, v34, v7
	v_fmac_f32_e32 v1, v9, v29
	v_fmac_f32_e32 v16, v10, v29
	;; [unrolled: 1-line block ×4, first 2 shown]
	v_mul_f32_e32 v23, v22, v85
	s_waitcnt vmcnt(6)
	v_mul_f32_e32 v24, v22, v91
	v_sub_f32_e32 v15, v1, v15
	v_sub_f32_e32 v16, v16, v17
	v_mul_f32_e64 v17, v22, -v86
	v_fmac_f32_e32 v23, v86, v21
	v_mul_f32_e64 v19, v22, -v92
	v_fmac_f32_e32 v24, v92, v21
	global_store_dwordx2 v[57:58], v[15:16], off
	v_fmac_f32_e32 v17, v85, v21
	v_fmac_f32_e32 v19, v91, v21
	v_mul_f32_e64 v1, v23, -v10
	v_mul_f32_e32 v16, v9, v23
	v_mul_f32_e64 v15, v24, -v8
	v_mul_f32_e32 v18, v24, v7
	v_fmac_f32_e32 v1, v9, v17
	v_fmac_f32_e32 v16, v10, v17
	;; [unrolled: 1-line block ×4, first 2 shown]
	v_sub_f32_e32 v15, v1, v15
	v_sub_f32_e32 v16, v16, v18
	v_mul_f32_e32 v18, v22, v87
	global_store_dwordx2 v[59:60], v[15:16], off
	v_mul_f32_e64 v15, v22, -v88
	v_fmac_f32_e32 v18, v88, v21
	v_fmac_f32_e32 v15, v87, v21
	s_waitcnt vmcnt(7)
	v_mul_f32_e32 v20, v22, v93
	v_mul_f32_e64 v1, v18, -v10
	v_mul_f32_e64 v16, v22, -v94
	v_fmac_f32_e32 v20, v94, v21
	v_fmac_f32_e32 v1, v9, v15
	v_mul_f32_e32 v9, v9, v18
	v_fmac_f32_e32 v16, v93, v21
	v_fmac_f32_e32 v9, v10, v15
	v_mul_f32_e64 v10, v20, -v8
	v_mul_f32_e32 v53, v20, v7
	v_fmac_f32_e32 v10, v7, v16
	v_fmac_f32_e32 v53, v8, v16
	v_sub_f32_e32 v7, v1, v10
	v_sub_f32_e32 v8, v9, v53
	global_store_dwordx2 v[63:64], v[7:8], off
	v_mul_f32_e64 v7, v48, -v5
	v_mul_f32_e32 v1, v6, v48
	v_fma_f32 v8, -v6, v45, v7
	v_mul_f32_e64 v7, v52, -v4
	v_mul_f32_e32 v9, v3, v52
	v_fma_f32 v1, -v5, v45, v1
	v_fmac_f32_e32 v7, v3, v51
	v_fmac_f32_e32 v9, v4, v51
	v_add_f32_e32 v7, v1, v7
	v_add_f32_e32 v8, v8, v9
	global_store_dwordx2 v[55:56], v[7:8], off
	v_mul_f32_e64 v7, v39, -v5
	v_mul_f32_e32 v1, v6, v39
	v_fma_f32 v8, -v6, v36, v7
	v_mul_f32_e64 v7, v41, -v4
	v_mul_f32_e32 v9, v3, v41
	v_fma_f32 v1, -v5, v36, v1
	v_fmac_f32_e32 v7, v3, v38
	v_fmac_f32_e32 v9, v4, v38
	v_add_f32_e32 v7, v1, v7
	v_add_f32_e32 v8, v8, v9
	global_store_dwordx2 v[61:62], v[7:8], off
	v_mul_f32_e32 v7, v6, v49
	v_mul_f32_e64 v8, v49, -v5
	v_mul_f32_e64 v9, v50, -v4
	v_mul_f32_e32 v10, v3, v50
	v_fma_f32 v7, -v5, v44, v7
	v_fma_f32 v8, -v6, v44, v8
	v_fmac_f32_e32 v9, v3, v47
	v_fmac_f32_e32 v10, v4, v47
	v_add_f32_e32 v7, v7, v9
	v_add_f32_e32 v8, v8, v10
	global_store_dwordx2 v[65:66], v[7:8], off
	v_mul_f32_e32 v7, v6, v35
	v_mul_f32_e64 v8, v35, -v5
	v_mul_f32_e64 v9, v37, -v4
	v_mul_f32_e32 v10, v3, v37
	v_fma_f32 v7, -v5, v30, v7
	;; [unrolled: 11-line block ×6, first 2 shown]
	v_fma_f32 v8, -v6, v15, v8
	v_fmac_f32_e32 v9, v3, v16
	v_fmac_f32_e32 v10, v4, v16
	v_add_f32_e32 v7, v7, v9
	v_add_f32_e32 v8, v8, v10
	v_mov_b32_e32 v1, 0
	global_store_dwordx2 v[79:80], v[7:8], off
	v_mov_b32_e32 v7, 0
	s_and_saveexec_b64 s[20:21], s[2:3]
	s_cbranch_execz .LBB229_16
; %bb.15:                               ;   in Loop: Header=BB229_5 Depth=1
	v_add_u32_e32 v7, v26, v27
	v_add_u32_e32 v1, s28, v7
	v_lshlrev_b64 v[8:9], 3, v[1:2]
	v_mov_b32_e32 v1, s9
	v_add_co_u32_e32 v8, vcc, s8, v8
	v_addc_co_u32_e32 v9, vcc, v1, v9, vcc
	global_load_dwordx2 v[53:54], v[8:9], off
	v_mul_f32_e32 v1, v6, v14
	v_mul_f32_e64 v10, v14, -v5
	v_mul_f32_e64 v57, v14, -v4
	v_mul_f32_e32 v58, v3, v14
	v_fma_f32 v60, -v5, v13, v1
	v_fma_f32 v10, -v6, v13, v10
	v_fmac_f32_e32 v57, v3, v13
	v_fmac_f32_e32 v58, v4, v13
	v_mul_f32_e32 v5, v10, v48
	v_mul_f32_e64 v6, v48, -v60
	v_add_u32_e32 v1, s29, v7
	v_mul_f32_e64 v48, v52, -v58
	v_mul_f32_e32 v52, v57, v52
	v_fma_f32 v56, -v60, v45, v5
	v_fma_f32 v45, -v10, v45, v6
	v_lshlrev_b64 v[5:6], 3, v[1:2]
	v_fmac_f32_e32 v52, v58, v51
	v_add_u32_e32 v1, s30, v7
	v_mov_b32_e32 v55, s9
	v_fmac_f32_e32 v48, v57, v51
	v_sub_f32_e32 v45, v45, v52
	v_lshlrev_b64 v[51:52], 3, v[1:2]
	v_add_co_u32_e32 v5, vcc, s8, v5
	v_sub_f32_e32 v48, v56, v48
	v_addc_co_u32_e32 v6, vcc, v55, v6, vcc
	v_mov_b32_e32 v59, s9
	global_load_dwordx2 v[55:56], v[5:6], off
	v_add_co_u32_e32 v51, vcc, s8, v51
	v_addc_co_u32_e32 v52, vcc, v59, v52, vcc
	v_mul_f32_e32 v1, v10, v39
	v_mul_f32_e64 v39, v39, -v60
	v_mul_f32_e64 v59, v50, -v58
	v_mul_f32_e32 v50, v57, v50
	v_fma_f32 v1, -v60, v36, v1
	v_fma_f32 v36, -v10, v36, v39
	v_fmac_f32_e32 v59, v57, v47
	v_fmac_f32_e32 v50, v58, v47
	s_waitcnt vmcnt(1)
	v_add_f32_e32 v53, v48, v53
	v_add_f32_e32 v54, v45, v54
	global_store_dwordx2 v[8:9], v[53:54], off
	global_load_dwordx2 v[8:9], v[51:52], off
	v_mul_f32_e64 v45, v41, -v58
	v_mul_f32_e32 v41, v57, v41
	v_mul_f32_e32 v54, v10, v49
	v_mul_f32_e64 v49, v49, -v60
	v_fmac_f32_e32 v45, v57, v38
	v_fmac_f32_e32 v41, v58, v38
	v_fma_f32 v38, -v60, v44, v54
	v_fma_f32 v39, -v10, v44, v49
	v_sub_f32_e32 v47, v1, v45
	v_add_u32_e32 v1, s31, v7
	v_sub_f32_e32 v36, v36, v41
	v_sub_f32_e32 v41, v38, v59
	;; [unrolled: 1-line block ×3, first 2 shown]
	v_lshlrev_b64 v[38:39], 3, v[1:2]
	v_add_u32_e32 v1, s33, v7
	v_mov_b32_e32 v48, s9
	v_lshlrev_b64 v[44:45], 3, v[1:2]
	v_add_co_u32_e32 v38, vcc, s8, v38
	v_addc_co_u32_e32 v39, vcc, v48, v39, vcc
	v_mov_b32_e32 v53, s9
	v_add_co_u32_e32 v44, vcc, s8, v44
	v_addc_co_u32_e32 v45, vcc, v53, v45, vcc
	s_waitcnt vmcnt(2)
	v_add_f32_e32 v47, v47, v55
	v_add_f32_e32 v48, v36, v56
	global_store_dwordx2 v[5:6], v[47:48], off
	global_load_dwordx2 v[5:6], v[38:39], off
	v_mul_f32_e32 v1, v10, v35
	v_mul_f32_e64 v36, v37, -v58
	v_mul_f32_e64 v35, v35, -v60
	v_mul_f32_e32 v37, v57, v37
	v_mul_f32_e32 v47, v10, v43
	v_mul_f32_e64 v43, v43, -v60
	v_mul_f32_e64 v48, v46, -v58
	v_mul_f32_e32 v46, v57, v46
	v_fma_f32 v1, -v60, v30, v1
	v_fmac_f32_e32 v36, v57, v32
	v_fma_f32 v30, -v10, v30, v35
	v_fmac_f32_e32 v37, v58, v32
	v_fma_f32 v32, -v60, v40, v47
	v_fma_f32 v35, -v10, v40, v43
	v_fmac_f32_e32 v46, v58, v42
	v_sub_f32_e32 v40, v1, v36
	v_add_u32_e32 v1, s34, v7
	v_fmac_f32_e32 v48, v57, v42
	v_sub_f32_e32 v30, v30, v37
	v_sub_f32_e32 v37, v35, v46
	v_lshlrev_b64 v[35:36], 3, v[1:2]
	v_sub_f32_e32 v32, v32, v48
	v_add_co_u32_e32 v35, vcc, s8, v35
	v_mul_f32_e32 v1, v10, v33
	v_fma_f32 v1, -v60, v29, v1
	s_waitcnt vmcnt(2)
	v_add_f32_e32 v8, v41, v8
	v_add_f32_e32 v9, v49, v9
	global_store_dwordx2 v[51:52], v[8:9], off
	global_load_dwordx2 v[8:9], v[44:45], off
	v_mov_b32_e32 v41, s9
	v_addc_co_u32_e32 v36, vcc, v41, v36, vcc
	s_waitcnt vmcnt(2)
	v_add_f32_e32 v5, v40, v5
	v_add_f32_e32 v6, v30, v6
	global_store_dwordx2 v[38:39], v[5:6], off
	v_mov_b32_e32 v30, s9
	s_waitcnt vmcnt(1)
	v_add_f32_e32 v5, v32, v8
	v_add_f32_e32 v6, v37, v9
	global_store_dwordx2 v[44:45], v[5:6], off
	global_load_dwordx2 v[5:6], v[35:36], off
	v_mul_f32_e64 v9, v34, -v58
	v_mul_f32_e64 v8, v33, -v60
	v_mul_f32_e32 v32, v57, v34
	v_fmac_f32_e32 v9, v57, v31
	v_fma_f32 v8, -v10, v29, v8
	v_fmac_f32_e32 v32, v58, v31
	v_sub_f32_e32 v31, v1, v9
	v_add_u32_e32 v1, s35, v7
	v_sub_f32_e32 v32, v8, v32
	v_lshlrev_b64 v[8:9], 3, v[1:2]
	v_mov_b32_e32 v1, s15
	v_add_co_u32_e32 v29, vcc, s8, v8
	v_addc_co_u32_e32 v30, vcc, v30, v9, vcc
	v_ashrrev_i32_e32 v8, 31, v7
	v_lshlrev_b64 v[8:9], 3, v[7:8]
	v_mul_f32_e64 v33, v24, -v58
	v_mul_f32_e32 v24, v57, v24
	v_add_co_u32_e32 v8, vcc, s14, v8
	v_fmac_f32_e32 v24, v58, v19
	v_addc_co_u32_e32 v9, vcc, v1, v9, vcc
	v_add_u32_e32 v1, s36, v7
	v_fmac_f32_e32 v33, v57, v19
	global_load_dwordx2 v[8:9], v[8:9], off
	v_mul_f32_e64 v7, v18, -v60
	v_fma_f32 v7, -v10, v15, v7
	s_waitcnt vmcnt(1)
	v_add_f32_e32 v5, v31, v5
	v_add_f32_e32 v6, v32, v6
	global_store_dwordx2 v[35:36], v[5:6], off
	global_load_dwordx2 v[5:6], v[29:30], off
	v_mul_f32_e32 v32, v10, v23
	v_mul_f32_e64 v23, v23, -v60
	v_fma_f32 v32, -v60, v17, v32
	v_fma_f32 v17, -v10, v17, v23
	v_sub_f32_e32 v17, v17, v24
	v_lshlrev_b64 v[23:24], 3, v[1:2]
	v_sub_f32_e32 v19, v32, v33
	v_mov_b32_e32 v31, s9
	v_add_co_u32_e32 v23, vcc, s8, v23
	v_addc_co_u32_e32 v24, vcc, v31, v24, vcc
	v_mul_f32_e64 v1, v4, -v14
	v_mul_f32_e32 v4, v4, v13
	v_fmac_f32_e32 v1, v13, v3
	v_fmac_f32_e32 v4, v14, v3
	v_mul_f32_e32 v3, v10, v18
	v_mul_f32_e64 v13, v20, -v58
	v_mul_f32_e32 v14, v57, v20
	v_fma_f32 v3, -v60, v15, v3
	v_fmac_f32_e32 v13, v57, v16
	v_fmac_f32_e32 v14, v58, v16
	s_waitcnt vmcnt(0)
	v_add_f32_e32 v5, v19, v5
	v_add_f32_e32 v6, v17, v6
	global_store_dwordx2 v[29:30], v[5:6], off
	global_load_dwordx2 v[5:6], v[23:24], off
	v_mul_f32_e64 v17, v12, -v4
	v_mul_f32_e32 v12, v12, v1
	v_fmac_f32_e32 v17, v1, v11
	v_fmac_f32_e32 v12, v4, v11
	v_sub_f32_e32 v1, v3, v13
	v_mul_f32_e64 v3, v22, -v12
	v_mul_f32_e32 v10, v22, v17
	v_sub_f32_e32 v4, v7, v14
	v_fmac_f32_e32 v3, v17, v21
	v_fmac_f32_e32 v10, v12, v21
	v_sub_f32_e32 v7, v8, v3
	s_waitcnt vmcnt(0)
	v_add_f32_e32 v3, v1, v5
	v_add_f32_e32 v4, v4, v6
	v_sub_f32_e32 v1, v9, v10
	global_store_dwordx2 v[23:24], v[3:4], off
.LBB229_16:                             ;   in Loop: Header=BB229_5 Depth=1
	s_or_b64 exec, exec, s[20:21]
	v_mov_b32_e32 v4, v1
	v_mov_b32_e32 v3, v7
                                        ; implicit-def: $vgpr7_vgpr8
                                        ; implicit-def: $vgpr5
                                        ; implicit-def: $vgpr9
                                        ; implicit-def: $vgpr30
                                        ; implicit-def: $vgpr29
                                        ; implicit-def: $vgpr23
                                        ; implicit-def: $vgpr21
                                        ; implicit-def: $vgpr19
                                        ; implicit-def: $vgpr18
                                        ; implicit-def: $vgpr17
                                        ; implicit-def: $vgpr16
                                        ; implicit-def: $vgpr15
.LBB229_17:                             ;   in Loop: Header=BB229_5 Depth=1
	s_or_saveexec_b64 s[2:3], s[4:5]
	v_mov_b32_e32 v8, s27
	s_xor_b64 exec, exec, s[2:3]
	s_cbranch_execz .LBB229_4
; %bb.18:                               ;   in Loop: Header=BB229_5 Depth=1
	v_lshlrev_b64 v[11:12], 3, v[1:2]
	v_mov_b32_e32 v24, v2
	v_mov_b32_e32 v1, s9
	v_lshlrev_b64 v[13:14], 3, v[23:24]
	v_add_co_u32_e32 v32, vcc, s8, v11
	v_mov_b32_e32 v22, v2
	v_addc_co_u32_e32 v33, vcc, v1, v12, vcc
	v_mov_b32_e32 v8, s9
	v_lshlrev_b64 v[21:22], 3, v[21:22]
	v_add_co_u32_e32 v34, vcc, s8, v13
	v_mov_b32_e32 v20, v2
	v_addc_co_u32_e32 v35, vcc, v8, v14, vcc
	v_mov_b32_e32 v31, s9
	v_lshlrev_b64 v[19:20], 3, v[19:20]
	v_add_co_u32_e32 v36, vcc, s8, v21
	v_addc_co_u32_e32 v37, vcc, v31, v22, vcc
	v_add_co_u32_e32 v38, vcc, s8, v19
	v_mov_b32_e32 v19, v2
	v_mov_b32_e32 v39, s9
	v_lshlrev_b64 v[13:14], 3, v[18:19]
	v_addc_co_u32_e32 v39, vcc, v39, v20, vcc
	v_add_co_u32_e32 v40, vcc, s8, v13
	v_mov_b32_e32 v18, v2
	v_addc_co_u32_e32 v41, vcc, v1, v14, vcc
	v_lshlrev_b64 v[13:14], 3, v[17:18]
	v_mov_b32_e32 v17, v2
	v_add_co_u32_e32 v44, vcc, s8, v13
	v_addc_co_u32_e32 v45, vcc, v1, v14, vcc
	v_lshlrev_b64 v[13:14], 3, v[16:17]
	v_mov_b32_e32 v16, v2
	v_add_co_u32_e32 v50, vcc, s8, v13
	v_addc_co_u32_e32 v51, vcc, v1, v14, vcc
	v_lshlrev_b64 v[13:14], 3, v[15:16]
	global_load_dwordx2 v[11:12], v[32:33], off
	v_add_co_u32_e32 v56, vcc, s8, v13
	v_addc_co_u32_e32 v57, vcc, v1, v14, vcc
	global_load_dwordx2 v[18:19], v[34:35], off
	global_load_dwordx2 v[42:43], v[36:37], off
	;; [unrolled: 1-line block ×7, first 2 shown]
	v_mul_f32_e32 v1, v4, v4
	v_fmac_f32_e32 v1, v3, v3
	v_div_scale_f32 v8, s[4:5], v1, v1, 1.0
	v_div_scale_f32 v13, vcc, 1.0, v1, 1.0
	v_rcp_f32_e32 v14, v8
	v_fma_f32 v15, -v8, v14, 1.0
	v_fmac_f32_e32 v14, v15, v14
	v_mul_f32_e32 v15, v13, v14
	v_fma_f32 v16, -v8, v15, v13
	v_fmac_f32_e32 v15, v16, v14
	v_fma_f32 v8, -v8, v15, v13
	v_div_fmas_f32 v8, v8, v14, v15
	v_fma_f32 v13, 0, v4, v3
	v_fma_f32 v3, v3, 0, -v4
	v_div_fixup_f32 v1, v8, v1, 1.0
	v_mul_f32_e32 v31, v3, v1
	v_mul_f32_e32 v8, v13, v1
	s_waitcnt vmcnt(7)
	v_mul_f32_e64 v23, v31, -v12
	v_mul_f32_e32 v24, v31, v11
	v_fmac_f32_e32 v23, v11, v8
	v_fmac_f32_e32 v24, v12, v8
	s_waitcnt vmcnt(6)
	v_mul_f32_e64 v21, v31, -v19
	v_mul_f32_e32 v22, v31, v18
	v_fmac_f32_e32 v21, v18, v8
	v_fmac_f32_e32 v22, v19, v8
	s_waitcnt vmcnt(5)
	v_mul_f32_e64 v19, v31, -v43
	v_mul_f32_e32 v20, v31, v42
	s_waitcnt vmcnt(4)
	v_mul_f32_e64 v17, v31, -v47
	v_mul_f32_e32 v18, v31, v46
	;; [unrolled: 3-line block ×6, first 2 shown]
	v_fmac_f32_e32 v19, v42, v8
	v_fmac_f32_e32 v20, v43, v8
	;; [unrolled: 1-line block ×12, first 2 shown]
	global_store_dwordx2 v[32:33], v[23:24], off
	global_store_dwordx2 v[34:35], v[21:22], off
	;; [unrolled: 1-line block ×8, first 2 shown]
	s_and_saveexec_b64 s[4:5], s[0:1]
	s_cbranch_execz .LBB229_3
; %bb.19:                               ;   in Loop: Header=BB229_5 Depth=1
	v_add_u32_e32 v42, v25, v27
	v_add_u32_e32 v1, s28, v42
	v_lshlrev_b64 v[32:33], 3, v[1:2]
	v_mov_b32_e32 v1, s9
	v_add_co_u32_e32 v32, vcc, s8, v32
	v_addc_co_u32_e32 v33, vcc, v1, v33, vcc
	global_load_dwordx2 v[34:35], v[32:33], off
	v_add_u32_e32 v1, s29, v42
	v_lshlrev_b64 v[36:37], 3, v[1:2]
	v_mov_b32_e32 v40, s9
	v_add_u32_e32 v1, s30, v42
	v_add_co_u32_e32 v36, vcc, s8, v36
	v_lshlrev_b64 v[38:39], 3, v[1:2]
	v_addc_co_u32_e32 v37, vcc, v40, v37, vcc
	global_load_dwordx2 v[40:41], v[36:37], off
	v_mov_b32_e32 v43, s9
	v_add_co_u32_e32 v38, vcc, s8, v38
	v_addc_co_u32_e32 v39, vcc, v43, v39, vcc
	v_mov_b32_e32 v44, s9
	s_waitcnt vmcnt(1)
	v_fma_f32 v34, -v5, v23, v34
	v_fma_f32 v1, -v6, v23, v35
	v_fmac_f32_e32 v34, v6, v24
	v_fma_f32 v35, -v5, v24, v1
	global_store_dwordx2 v[32:33], v[34:35], off
	global_load_dwordx2 v[23:24], v[38:39], off
	v_add_u32_e32 v1, s31, v42
	v_lshlrev_b64 v[32:33], 3, v[1:2]
	v_add_u32_e32 v1, s33, v42
	v_lshlrev_b64 v[34:35], 3, v[1:2]
	v_add_co_u32_e32 v32, vcc, s8, v32
	s_waitcnt vmcnt(2)
	v_fma_f32 v40, -v5, v21, v40
	v_fma_f32 v1, -v6, v21, v41
	v_addc_co_u32_e32 v33, vcc, v43, v33, vcc
	v_fmac_f32_e32 v40, v6, v22
	v_fma_f32 v41, -v5, v22, v1
	v_add_co_u32_e32 v34, vcc, s8, v34
	global_store_dwordx2 v[36:37], v[40:41], off
	v_addc_co_u32_e32 v35, vcc, v44, v35, vcc
	global_load_dwordx2 v[21:22], v[32:33], off
	v_mov_b32_e32 v36, s9
	s_waitcnt vmcnt(2)
	v_fma_f32 v23, -v5, v19, v23
	v_fma_f32 v1, -v6, v19, v24
	v_fmac_f32_e32 v23, v6, v20
	v_fma_f32 v24, -v5, v20, v1
	global_store_dwordx2 v[38:39], v[23:24], off
	global_load_dwordx2 v[19:20], v[34:35], off
	v_add_u32_e32 v1, s34, v42
	v_lshlrev_b64 v[23:24], 3, v[1:2]
	v_add_co_u32_e32 v23, vcc, s8, v23
	v_addc_co_u32_e32 v24, vcc, v36, v24, vcc
	s_waitcnt vmcnt(2)
	v_fma_f32 v1, -v6, v17, v22
	v_fma_f32 v21, -v5, v17, v21
	;; [unrolled: 1-line block ×3, first 2 shown]
	v_fmac_f32_e32 v21, v6, v18
	global_store_dwordx2 v[32:33], v[21:22], off
	s_waitcnt vmcnt(1)
	v_fma_f32 v17, -v5, v15, v19
	v_fma_f32 v1, -v6, v15, v20
	v_fmac_f32_e32 v17, v6, v16
	v_fma_f32 v18, -v5, v16, v1
	global_store_dwordx2 v[34:35], v[17:18], off
	global_load_dwordx2 v[15:16], v[23:24], off
	v_add_u32_e32 v1, s35, v42
	v_lshlrev_b64 v[17:18], 3, v[1:2]
	v_mov_b32_e32 v19, s9
	v_add_co_u32_e32 v17, vcc, s8, v17
	v_addc_co_u32_e32 v18, vcc, v19, v18, vcc
	s_waitcnt vmcnt(0)
	v_fma_f32 v15, -v5, v13, v15
	v_fma_f32 v1, -v6, v13, v16
	v_fmac_f32_e32 v15, v6, v14
	v_fma_f32 v16, -v5, v14, v1
	global_store_dwordx2 v[23:24], v[15:16], off
	global_load_dwordx2 v[13:14], v[17:18], off
	v_add_u32_e32 v1, s36, v42
	v_lshlrev_b64 v[15:16], 3, v[1:2]
	v_add_co_u32_e32 v15, vcc, s8, v15
	v_addc_co_u32_e32 v16, vcc, v19, v16, vcc
	s_waitcnt vmcnt(0)
	v_fma_f32 v13, -v5, v11, v13
	v_fma_f32 v1, -v6, v11, v14
	v_fmac_f32_e32 v13, v6, v12
	v_fma_f32 v14, -v5, v12, v1
	global_store_dwordx2 v[17:18], v[13:14], off
	global_load_dwordx2 v[11:12], v[15:16], off
	s_waitcnt vmcnt(0)
	v_fma_f32 v11, -v5, v3, v11
	v_fma_f32 v1, -v6, v3, v12
	v_fmac_f32_e32 v11, v6, v4
	v_fma_f32 v12, -v5, v4, v1
	global_store_dwordx2 v[15:16], v[11:12], off
	s_branch .LBB229_3
.LBB229_20:
	s_or_b64 exec, exec, s[18:19]
	s_branch .LBB229_22
.LBB229_21:
	v_mov_b32_e32 v27, 0
.LBB229_22:
	v_subrev_u32_e32 v3, s22, v27
	v_add_u32_e32 v1, v3, v0
	v_ashrrev_i32_e32 v2, 31, v1
	v_lshlrev_b64 v[1:2], 2, v[1:2]
	s_waitcnt lgkmcnt(0)
	v_mov_b32_e32 v4, s17
	v_add_co_u32_e32 v1, vcc, s16, v1
	v_addc_co_u32_e32 v2, vcc, v4, v2, vcc
	s_waitcnt vmcnt(0)
	buffer_wbinvl1_vol
	global_load_dword v1, v[1:2], off
	s_waitcnt vmcnt(0)
	v_mul_lo_u32 v1, v1, s22
	v_sub_u32_e32 v7, v3, v1
	v_cmp_lt_i32_e32 vcc, -1, v7
	s_and_b64 exec, exec, vcc
	s_cbranch_execz .LBB229_29
; %bb.23:
	s_lshl_b32 s4, s24, 3
	s_add_i32 s5, s4, s23
	s_add_i32 s6, s5, s23
	;; [unrolled: 1-line block ×7, first 2 shown]
	s_lshl_b32 s18, s22, 1
	s_mov_b64 s[0:1], 0
	v_mov_b32_e32 v8, s17
	v_mov_b32_e32 v9, s11
	;; [unrolled: 1-line block ×3, first 2 shown]
	s_branch .LBB229_25
.LBB229_24:                             ;   in Loop: Header=BB229_25 Depth=1
	s_or_b64 exec, exec, s[2:3]
	v_sub_u32_e32 v7, v7, v1
	v_cmp_gt_i32_e32 vcc, 0, v7
	s_or_b64 s[0:1], vcc, s[0:1]
	s_andn2_b64 exec, exec, s[0:1]
	s_cbranch_execz .LBB229_29
.LBB229_25:                             ; =>This Inner Loop Header: Depth=1
	v_add_u32_e32 v5, v7, v0
	v_ashrrev_i32_e32 v6, 31, v5
	s_waitcnt vmcnt(0)
	v_lshlrev_b64 v[3:4], 2, v[5:6]
	v_add_co_u32_e32 v3, vcc, s16, v3
	v_addc_co_u32_e32 v4, vcc, v8, v4, vcc
	global_load_dword v1, v[3:4], off
	v_lshlrev_b64 v[3:4], 3, v[5:6]
	v_add_co_u32_e32 v3, vcc, s10, v3
	v_addc_co_u32_e32 v4, vcc, v9, v4, vcc
	global_load_dwordx2 v[3:4], v[3:4], off
	s_waitcnt vmcnt(1)
	v_cmp_ne_u32_e32 vcc, 1, v1
	s_and_saveexec_b64 s[2:3], vcc
	s_xor_b64 s[2:3], exec, s[2:3]
	s_cbranch_execz .LBB229_27
; %bb.26:                               ;   in Loop: Header=BB229_25 Depth=1
	v_add_u32_e32 v6, v25, v7
	v_add_u32_e32 v1, s4, v6
	v_lshlrev_b64 v[10:11], 3, v[1:2]
	v_mov_b32_e32 v1, s9
	v_add_co_u32_e32 v10, vcc, s8, v10
	v_addc_co_u32_e32 v11, vcc, v1, v11, vcc
	v_add_u32_e32 v1, s5, v6
	v_lshlrev_b64 v[12:13], 3, v[1:2]
	v_add_u32_e32 v1, s6, v6
	v_lshlrev_b64 v[14:15], 3, v[1:2]
	;; [unrolled: 2-line block ×8, first 2 shown]
	v_mov_b32_e32 v1, s9
	v_add_co_u32_e32 v28, vcc, s8, v28
	v_addc_co_u32_e32 v29, vcc, v1, v29, vcc
	global_load_dwordx2 v[10:11], v[10:11], off
	v_add_co_u32_e32 v12, vcc, s8, v12
	global_load_dwordx2 v[30:31], v[28:29], off
	v_addc_co_u32_e32 v13, vcc, v1, v13, vcc
	v_mov_b32_e32 v6, s9
	v_add_co_u32_e32 v14, vcc, s8, v14
	v_addc_co_u32_e32 v15, vcc, v6, v15, vcc
	v_mov_b32_e32 v24, s9
	v_add_co_u32_e32 v16, vcc, s8, v16
	v_addc_co_u32_e32 v17, vcc, v24, v17, vcc
	v_mov_b32_e32 v38, s9
	global_load_dwordx2 v[32:33], v[12:13], off
	global_load_dwordx2 v[34:35], v[14:15], off
	;; [unrolled: 1-line block ×3, first 2 shown]
	v_add_co_u32_e32 v12, vcc, s8, v18
	v_addc_co_u32_e32 v13, vcc, v38, v19, vcc
	v_mov_b32_e32 v39, s9
	v_add_co_u32_e32 v14, vcc, s8, v20
	v_addc_co_u32_e32 v15, vcc, v39, v21, vcc
	v_mov_b32_e32 v40, s9
	v_add_co_u32_e32 v16, vcc, s8, v22
	v_addc_co_u32_e32 v17, vcc, v40, v23, vcc
	v_add_u32_e32 v1, s5, v5
	v_mov_b32_e32 v41, s9
	v_add_co_u32_e32 v18, vcc, s8, v26
	v_lshlrev_b64 v[20:21], 3, v[1:2]
	v_addc_co_u32_e32 v19, vcc, v41, v27, vcc
	global_load_dwordx2 v[22:23], v[12:13], off
	global_load_dwordx2 v[26:27], v[14:15], off
	;; [unrolled: 1-line block ×4, first 2 shown]
	v_mov_b32_e32 v42, s9
	v_add_co_u32_e32 v12, vcc, s8, v20
	v_addc_co_u32_e32 v13, vcc, v42, v21, vcc
	v_mov_b32_e32 v19, s9
	s_waitcnt vmcnt(7)
	v_fma_f32 v14, -v3, v10, v30
	v_fma_f32 v1, -v4, v10, v31
	v_fmac_f32_e32 v14, v4, v11
	v_fma_f32 v15, -v3, v11, v1
	global_store_dwordx2 v[28:29], v[14:15], off
	global_load_dwordx2 v[14:15], v[12:13], off
	v_add_u32_e32 v1, s6, v5
	v_lshlrev_b64 v[16:17], 3, v[1:2]
	v_add_co_u32_e32 v16, vcc, s8, v16
	v_addc_co_u32_e32 v17, vcc, v6, v17, vcc
	s_waitcnt vmcnt(0)
	v_fma_f32 v14, -v3, v32, v14
	v_fma_f32 v1, -v4, v32, v15
	v_fmac_f32_e32 v14, v4, v33
	v_fma_f32 v15, -v3, v33, v1
	global_store_dwordx2 v[12:13], v[14:15], off
	global_load_dwordx2 v[12:13], v[16:17], off
	v_add_u32_e32 v1, s7, v5
	v_lshlrev_b64 v[14:15], 3, v[1:2]
	v_add_co_u32_e32 v14, vcc, s8, v14
	v_addc_co_u32_e32 v15, vcc, v6, v15, vcc
	;; [unrolled: 11-line block ×5, first 2 shown]
	s_waitcnt vmcnt(0)
	v_fma_f32 v12, -v3, v26, v12
	v_fma_f32 v1, -v4, v26, v13
	v_fmac_f32_e32 v12, v4, v27
	v_fma_f32 v13, -v3, v27, v1
	global_store_dwordx2 v[14:15], v[12:13], off
	global_load_dwordx2 v[12:13], v[16:17], off
	v_add_u32_e32 v1, s15, v5
	v_lshlrev_b64 v[5:6], 3, v[1:2]
	v_mov_b32_e32 v14, s9
	v_add_co_u32_e32 v5, vcc, s8, v5
	v_addc_co_u32_e32 v6, vcc, v14, v6, vcc
	s_waitcnt vmcnt(0)
	v_fma_f32 v12, -v3, v38, v12
	v_fma_f32 v1, -v4, v38, v13
	v_fmac_f32_e32 v12, v4, v39
	v_fma_f32 v13, -v3, v39, v1
	global_store_dwordx2 v[16:17], v[12:13], off
	global_load_dwordx2 v[12:13], v[5:6], off
	v_subrev_u32_e32 v1, s22, v7
	v_add_u32_e32 v14, v1, v0
	v_ashrrev_i32_e32 v15, 31, v14
	v_lshlrev_b64 v[15:16], 3, v[14:15]
	v_mov_b32_e32 v17, s11
	v_add_co_u32_e32 v15, vcc, s10, v15
	v_add_u32_e32 v1, s4, v14
	v_addc_co_u32_e32 v16, vcc, v17, v16, vcc
	v_lshlrev_b64 v[17:18], 3, v[1:2]
	global_load_dwordx2 v[15:16], v[15:16], off
	v_add_co_u32_e32 v17, vcc, s8, v17
	v_addc_co_u32_e32 v18, vcc, v19, v18, vcc
	s_waitcnt vmcnt(1)
	v_fma_f32 v12, -v3, v40, v12
	v_fma_f32 v1, -v4, v40, v13
	v_fmac_f32_e32 v12, v4, v41
	v_fma_f32 v13, -v3, v41, v1
	global_store_dwordx2 v[5:6], v[12:13], off
	global_load_dwordx2 v[3:4], v[17:18], off
	v_add_u32_e32 v1, s5, v14
	v_lshlrev_b64 v[5:6], 3, v[1:2]
	v_mov_b32_e32 v12, s9
	v_add_co_u32_e32 v5, vcc, s8, v5
	v_addc_co_u32_e32 v6, vcc, v12, v6, vcc
	s_waitcnt vmcnt(0)
	v_fma_f32 v3, -v15, v10, v3
	v_fma_f32 v1, -v16, v10, v4
	v_fmac_f32_e32 v3, v16, v11
	v_fma_f32 v4, -v15, v11, v1
	global_store_dwordx2 v[17:18], v[3:4], off
	global_load_dwordx2 v[3:4], v[5:6], off
	v_add_u32_e32 v1, s6, v14
	v_lshlrev_b64 v[10:11], 3, v[1:2]
	v_add_co_u32_e32 v10, vcc, s8, v10
	v_addc_co_u32_e32 v11, vcc, v12, v11, vcc
	s_waitcnt vmcnt(0)
	v_fma_f32 v3, -v15, v32, v3
	v_fma_f32 v1, -v16, v32, v4
	v_fmac_f32_e32 v3, v16, v33
	v_fma_f32 v4, -v15, v33, v1
	global_store_dwordx2 v[5:6], v[3:4], off
	global_load_dwordx2 v[3:4], v[10:11], off
	v_add_u32_e32 v1, s7, v14
	v_lshlrev_b64 v[5:6], 3, v[1:2]
	;; [unrolled: 11-line block ×6, first 2 shown]
	v_add_co_u32_e32 v5, vcc, s8, v5
	v_addc_co_u32_e32 v6, vcc, v12, v6, vcc
	s_waitcnt vmcnt(0)
	v_fma_f32 v3, -v15, v38, v3
	v_fma_f32 v1, -v16, v38, v4
	v_fmac_f32_e32 v3, v16, v39
	v_fma_f32 v4, -v15, v39, v1
	global_store_dwordx2 v[10:11], v[3:4], off
	global_load_dwordx2 v[3:4], v[5:6], off
	s_waitcnt vmcnt(0)
	v_fma_f32 v3, -v15, v40, v3
	v_fma_f32 v1, -v16, v40, v4
	v_fmac_f32_e32 v3, v16, v41
	v_fma_f32 v4, -v15, v41, v1
	global_store_dwordx2 v[5:6], v[3:4], off
                                        ; implicit-def: $vgpr5
                                        ; implicit-def: $vgpr3_vgpr4
.LBB229_27:                             ;   in Loop: Header=BB229_25 Depth=1
	s_or_saveexec_b64 s[2:3], s[2:3]
	v_mov_b32_e32 v1, s18
	s_xor_b64 exec, exec, s[2:3]
	s_cbranch_execz .LBB229_24
; %bb.28:                               ;   in Loop: Header=BB229_25 Depth=1
	v_add_u32_e32 v6, v25, v7
	v_add_u32_e32 v1, s4, v6
	v_lshlrev_b64 v[10:11], 3, v[1:2]
	v_mov_b32_e32 v1, s9
	v_add_co_u32_e32 v10, vcc, s8, v10
	v_addc_co_u32_e32 v11, vcc, v1, v11, vcc
	v_add_u32_e32 v1, s4, v5
	v_lshlrev_b64 v[12:13], 3, v[1:2]
	v_mov_b32_e32 v1, s9
	v_add_co_u32_e32 v12, vcc, s8, v12
	v_addc_co_u32_e32 v13, vcc, v1, v13, vcc
	global_load_dwordx2 v[14:15], v[10:11], off
	global_load_dwordx2 v[16:17], v[12:13], off
	v_add_u32_e32 v1, s5, v6
	v_lshlrev_b64 v[10:11], 3, v[1:2]
	v_add_u32_e32 v1, s5, v5
	v_mov_b32_e32 v20, s9
	v_lshlrev_b64 v[18:19], 3, v[1:2]
	v_add_co_u32_e32 v10, vcc, s8, v10
	v_addc_co_u32_e32 v11, vcc, v20, v11, vcc
	v_mov_b32_e32 v21, s9
	v_add_co_u32_e32 v18, vcc, s8, v18
	v_addc_co_u32_e32 v19, vcc, v21, v19, vcc
	s_waitcnt vmcnt(0)
	v_fma_f32 v16, -v3, v14, v16
	v_fma_f32 v1, -v4, v14, v17
	v_fmac_f32_e32 v16, v4, v15
	v_fma_f32 v17, -v3, v15, v1
	global_store_dwordx2 v[12:13], v[16:17], off
	global_load_dwordx2 v[12:13], v[10:11], off
	s_nop 0
	global_load_dwordx2 v[14:15], v[18:19], off
	v_add_u32_e32 v1, s6, v6
	v_lshlrev_b64 v[10:11], 3, v[1:2]
	v_add_u32_e32 v1, s6, v5
	v_lshlrev_b64 v[16:17], 3, v[1:2]
	v_add_co_u32_e32 v10, vcc, s8, v10
	v_addc_co_u32_e32 v11, vcc, v20, v11, vcc
	v_add_co_u32_e32 v16, vcc, s8, v16
	v_addc_co_u32_e32 v17, vcc, v21, v17, vcc
	s_waitcnt vmcnt(0)
	v_fma_f32 v14, -v3, v12, v14
	v_fma_f32 v1, -v4, v12, v15
	v_fmac_f32_e32 v14, v4, v13
	v_fma_f32 v15, -v3, v13, v1
	global_store_dwordx2 v[18:19], v[14:15], off
	global_load_dwordx2 v[12:13], v[10:11], off
	s_nop 0
	global_load_dwordx2 v[14:15], v[16:17], off
	v_add_u32_e32 v1, s7, v6
	v_lshlrev_b64 v[10:11], 3, v[1:2]
	v_add_u32_e32 v1, s7, v5
	v_lshlrev_b64 v[18:19], 3, v[1:2]
	v_add_co_u32_e32 v10, vcc, s8, v10
	v_addc_co_u32_e32 v11, vcc, v20, v11, vcc
	;; [unrolled: 17-line block ×5, first 2 shown]
	v_add_co_u32_e32 v16, vcc, s8, v16
	v_addc_co_u32_e32 v17, vcc, v21, v17, vcc
	s_waitcnt vmcnt(0)
	v_fma_f32 v14, -v3, v12, v14
	v_fma_f32 v1, -v4, v12, v15
	v_fmac_f32_e32 v14, v4, v13
	v_fma_f32 v15, -v3, v13, v1
	global_store_dwordx2 v[18:19], v[14:15], off
	global_load_dwordx2 v[12:13], v[10:11], off
	s_nop 0
	global_load_dwordx2 v[14:15], v[16:17], off
	v_add_u32_e32 v1, s15, v6
	v_lshlrev_b64 v[10:11], 3, v[1:2]
	v_add_u32_e32 v1, s15, v5
	v_mov_b32_e32 v18, s9
	v_lshlrev_b64 v[5:6], 3, v[1:2]
	v_add_co_u32_e32 v10, vcc, s8, v10
	v_addc_co_u32_e32 v11, vcc, v18, v11, vcc
	v_mov_b32_e32 v19, s9
	v_add_co_u32_e32 v5, vcc, s8, v5
	v_addc_co_u32_e32 v6, vcc, v19, v6, vcc
	s_waitcnt vmcnt(0)
	v_fma_f32 v14, -v3, v12, v14
	v_fma_f32 v1, -v4, v12, v15
	v_fmac_f32_e32 v14, v4, v13
	v_fma_f32 v15, -v3, v13, v1
	global_store_dwordx2 v[16:17], v[14:15], off
	global_load_dwordx2 v[12:13], v[10:11], off
	s_nop 0
	global_load_dwordx2 v[14:15], v[5:6], off
	s_waitcnt vmcnt(0)
	v_fma_f32 v10, -v3, v12, v14
	v_fma_f32 v1, -v4, v12, v15
	v_fmac_f32_e32 v10, v4, v13
	v_fma_f32 v11, -v3, v13, v1
	v_mov_b32_e32 v1, s22
	global_store_dwordx2 v[5:6], v[10:11], off
	s_branch .LBB229_24
.LBB229_29:
	s_endpgm
	.section	.rodata,"a",@progbits
	.p2align	6, 0x0
	.amdhsa_kernel _ZN9rocsparseL19gtsv_LBM_rhs_kernelILj256ELj32ELj8E21rocsparse_complex_numIfEEEviiiPKT2_S5_S5_PS3_S5_PKi
		.amdhsa_group_segment_fixed_size 0
		.amdhsa_private_segment_fixed_size 0
		.amdhsa_kernarg_size 64
		.amdhsa_user_sgpr_count 6
		.amdhsa_user_sgpr_private_segment_buffer 1
		.amdhsa_user_sgpr_dispatch_ptr 0
		.amdhsa_user_sgpr_queue_ptr 0
		.amdhsa_user_sgpr_kernarg_segment_ptr 1
		.amdhsa_user_sgpr_dispatch_id 0
		.amdhsa_user_sgpr_flat_scratch_init 0
		.amdhsa_user_sgpr_private_segment_size 0
		.amdhsa_uses_dynamic_stack 0
		.amdhsa_system_sgpr_private_segment_wavefront_offset 0
		.amdhsa_system_sgpr_workgroup_id_x 1
		.amdhsa_system_sgpr_workgroup_id_y 1
		.amdhsa_system_sgpr_workgroup_id_z 0
		.amdhsa_system_sgpr_workgroup_info 0
		.amdhsa_system_vgpr_workitem_id 0
		.amdhsa_next_free_vgpr 95
		.amdhsa_next_free_sgpr 37
		.amdhsa_reserve_vcc 1
		.amdhsa_reserve_flat_scratch 0
		.amdhsa_float_round_mode_32 0
		.amdhsa_float_round_mode_16_64 0
		.amdhsa_float_denorm_mode_32 3
		.amdhsa_float_denorm_mode_16_64 3
		.amdhsa_dx10_clamp 1
		.amdhsa_ieee_mode 1
		.amdhsa_fp16_overflow 0
		.amdhsa_exception_fp_ieee_invalid_op 0
		.amdhsa_exception_fp_denorm_src 0
		.amdhsa_exception_fp_ieee_div_zero 0
		.amdhsa_exception_fp_ieee_overflow 0
		.amdhsa_exception_fp_ieee_underflow 0
		.amdhsa_exception_fp_ieee_inexact 0
		.amdhsa_exception_int_div_zero 0
	.end_amdhsa_kernel
	.section	.text._ZN9rocsparseL19gtsv_LBM_rhs_kernelILj256ELj32ELj8E21rocsparse_complex_numIfEEEviiiPKT2_S5_S5_PS3_S5_PKi,"axG",@progbits,_ZN9rocsparseL19gtsv_LBM_rhs_kernelILj256ELj32ELj8E21rocsparse_complex_numIfEEEviiiPKT2_S5_S5_PS3_S5_PKi,comdat
.Lfunc_end229:
	.size	_ZN9rocsparseL19gtsv_LBM_rhs_kernelILj256ELj32ELj8E21rocsparse_complex_numIfEEEviiiPKT2_S5_S5_PS3_S5_PKi, .Lfunc_end229-_ZN9rocsparseL19gtsv_LBM_rhs_kernelILj256ELj32ELj8E21rocsparse_complex_numIfEEEviiiPKT2_S5_S5_PS3_S5_PKi
                                        ; -- End function
	.set _ZN9rocsparseL19gtsv_LBM_rhs_kernelILj256ELj32ELj8E21rocsparse_complex_numIfEEEviiiPKT2_S5_S5_PS3_S5_PKi.num_vgpr, 95
	.set _ZN9rocsparseL19gtsv_LBM_rhs_kernelILj256ELj32ELj8E21rocsparse_complex_numIfEEEviiiPKT2_S5_S5_PS3_S5_PKi.num_agpr, 0
	.set _ZN9rocsparseL19gtsv_LBM_rhs_kernelILj256ELj32ELj8E21rocsparse_complex_numIfEEEviiiPKT2_S5_S5_PS3_S5_PKi.numbered_sgpr, 37
	.set _ZN9rocsparseL19gtsv_LBM_rhs_kernelILj256ELj32ELj8E21rocsparse_complex_numIfEEEviiiPKT2_S5_S5_PS3_S5_PKi.num_named_barrier, 0
	.set _ZN9rocsparseL19gtsv_LBM_rhs_kernelILj256ELj32ELj8E21rocsparse_complex_numIfEEEviiiPKT2_S5_S5_PS3_S5_PKi.private_seg_size, 0
	.set _ZN9rocsparseL19gtsv_LBM_rhs_kernelILj256ELj32ELj8E21rocsparse_complex_numIfEEEviiiPKT2_S5_S5_PS3_S5_PKi.uses_vcc, 1
	.set _ZN9rocsparseL19gtsv_LBM_rhs_kernelILj256ELj32ELj8E21rocsparse_complex_numIfEEEviiiPKT2_S5_S5_PS3_S5_PKi.uses_flat_scratch, 0
	.set _ZN9rocsparseL19gtsv_LBM_rhs_kernelILj256ELj32ELj8E21rocsparse_complex_numIfEEEviiiPKT2_S5_S5_PS3_S5_PKi.has_dyn_sized_stack, 0
	.set _ZN9rocsparseL19gtsv_LBM_rhs_kernelILj256ELj32ELj8E21rocsparse_complex_numIfEEEviiiPKT2_S5_S5_PS3_S5_PKi.has_recursion, 0
	.set _ZN9rocsparseL19gtsv_LBM_rhs_kernelILj256ELj32ELj8E21rocsparse_complex_numIfEEEviiiPKT2_S5_S5_PS3_S5_PKi.has_indirect_call, 0
	.section	.AMDGPU.csdata,"",@progbits
; Kernel info:
; codeLenInByte = 7356
; TotalNumSgprs: 41
; NumVgprs: 95
; ScratchSize: 0
; MemoryBound: 0
; FloatMode: 240
; IeeeMode: 1
; LDSByteSize: 0 bytes/workgroup (compile time only)
; SGPRBlocks: 5
; VGPRBlocks: 23
; NumSGPRsForWavesPerEU: 41
; NumVGPRsForWavesPerEU: 95
; Occupancy: 2
; WaveLimiterHint : 0
; COMPUTE_PGM_RSRC2:SCRATCH_EN: 0
; COMPUTE_PGM_RSRC2:USER_SGPR: 6
; COMPUTE_PGM_RSRC2:TRAP_HANDLER: 0
; COMPUTE_PGM_RSRC2:TGID_X_EN: 1
; COMPUTE_PGM_RSRC2:TGID_Y_EN: 1
; COMPUTE_PGM_RSRC2:TGID_Z_EN: 0
; COMPUTE_PGM_RSRC2:TIDIG_COMP_CNT: 0
	.section	.text._ZN9rocsparseL19gtsv_LBM_rhs_kernelILj256ELj32ELj4E21rocsparse_complex_numIfEEEviiiPKT2_S5_S5_PS3_S5_PKi,"axG",@progbits,_ZN9rocsparseL19gtsv_LBM_rhs_kernelILj256ELj32ELj4E21rocsparse_complex_numIfEEEviiiPKT2_S5_S5_PS3_S5_PKi,comdat
	.globl	_ZN9rocsparseL19gtsv_LBM_rhs_kernelILj256ELj32ELj4E21rocsparse_complex_numIfEEEviiiPKT2_S5_S5_PS3_S5_PKi ; -- Begin function _ZN9rocsparseL19gtsv_LBM_rhs_kernelILj256ELj32ELj4E21rocsparse_complex_numIfEEEviiiPKT2_S5_S5_PS3_S5_PKi
	.p2align	8
	.type	_ZN9rocsparseL19gtsv_LBM_rhs_kernelILj256ELj32ELj4E21rocsparse_complex_numIfEEEviiiPKT2_S5_S5_PS3_S5_PKi,@function
_ZN9rocsparseL19gtsv_LBM_rhs_kernelILj256ELj32ELj4E21rocsparse_complex_numIfEEEviiiPKT2_S5_S5_PS3_S5_PKi: ; @_ZN9rocsparseL19gtsv_LBM_rhs_kernelILj256ELj32ELj4E21rocsparse_complex_numIfEEEviiiPKT2_S5_S5_PS3_S5_PKi
; %bb.0:
	s_load_dword s23, s[4:5], 0x0
	v_lshl_or_b32 v0, s6, 8, v0
	s_waitcnt lgkmcnt(0)
	s_lshr_b32 s22, s23, 5
	v_cmp_gt_i32_e32 vcc, s22, v0
	s_and_saveexec_b64 s[0:1], vcc
	s_cbranch_execz .LBB230_29
; %bb.1:
	s_load_dwordx4 s[8:11], s[4:5], 0x28
	s_load_dwordx2 s[16:17], s[4:5], 0x38
	s_cmp_lt_i32 s23, 1
	v_add_u32_e32 v19, s22, v0
	s_mul_i32 s24, s7, s23
	s_cbranch_scc1 .LBB230_21
; %bb.2:
	s_load_dwordx4 s[12:15], s[4:5], 0x10
	s_load_dwordx2 s[6:7], s[4:5], 0x20
	v_ashrrev_i32_e32 v1, 31, v0
	v_lshlrev_b64 v[1:2], 3, v[0:1]
	s_lshl_b32 s28, s24, 2
	s_waitcnt lgkmcnt(0)
	v_mov_b32_e32 v3, s15
	v_add_co_u32_e32 v1, vcc, s14, v1
	v_addc_co_u32_e32 v2, vcc, v3, v2, vcc
	global_load_dwordx2 v[5:6], v[1:2], off
	s_add_i32 s29, s28, s23
	s_add_i32 s30, s29, s23
	s_mul_i32 s25, s22, 31
	s_mul_i32 s26, s22, 30
	s_lshl_b32 s27, s22, 1
	v_add_u32_e32 v21, s22, v19
	s_add_i32 s31, s30, s23
	v_mov_b32_e32 v2, 0
	s_mov_b64 s[18:19], 0
	v_mov_b32_e32 v22, s7
	v_mov_b32_e32 v20, 0
	s_branch .LBB230_5
.LBB230_3:                              ;   in Loop: Header=BB230_5 Depth=1
	s_or_b64 exec, exec, s[4:5]
	v_fmac_f32_e32 v24, v3, v7
	v_fmac_f32_e32 v23, v4, v7
	v_mul_f32_e64 v1, v17, -v23
	v_mul_f32_e32 v3, v17, v24
	v_fmac_f32_e32 v1, v24, v8
	v_fmac_f32_e32 v3, v23, v8
	v_sub_f32_e32 v5, v9, v1
	v_sub_f32_e32 v6, v10, v3
	v_mov_b32_e32 v8, s22
.LBB230_4:                              ;   in Loop: Header=BB230_5 Depth=1
	s_or_b64 exec, exec, s[2:3]
	v_add_u32_e32 v20, v8, v20
	v_cmp_le_i32_e32 vcc, s23, v20
	s_or_b64 s[18:19], vcc, s[18:19]
	s_andn2_b64 exec, exec, s[18:19]
	s_cbranch_execz .LBB230_20
.LBB230_5:                              ; =>This Inner Loop Header: Depth=1
	v_add_u32_e32 v15, v20, v0
	v_ashrrev_i32_e32 v16, 31, v15
	v_lshlrev_b64 v[3:4], 3, v[15:16]
	v_cmp_gt_u32_e64 s[0:1], s25, v20
	v_add_co_u32_e32 v3, vcc, s6, v3
	v_addc_co_u32_e32 v4, vcc, v22, v4, vcc
	global_load_dwordx2 v[7:8], v[3:4], off
	v_mov_b32_e32 v3, 0
	v_mov_b32_e32 v4, 0
	s_and_saveexec_b64 s[2:3], s[0:1]
	s_cbranch_execz .LBB230_7
; %bb.6:                                ;   in Loop: Header=BB230_5 Depth=1
	v_add_u32_e32 v3, v19, v20
	v_ashrrev_i32_e32 v4, 31, v3
	v_lshlrev_b64 v[3:4], 3, v[3:4]
	v_mov_b32_e32 v1, s13
	v_add_co_u32_e32 v3, vcc, s12, v3
	v_addc_co_u32_e32 v4, vcc, v1, v4, vcc
	global_load_dwordx2 v[3:4], v[3:4], off
.LBB230_7:                              ;   in Loop: Header=BB230_5 Depth=1
	s_or_b64 exec, exec, s[2:3]
	v_mov_b32_e32 v11, 0
	v_mov_b32_e32 v9, 0
	;; [unrolled: 1-line block ×3, first 2 shown]
	s_and_saveexec_b64 s[2:3], s[0:1]
	s_cbranch_execz .LBB230_9
; %bb.8:                                ;   in Loop: Header=BB230_5 Depth=1
	v_add_u32_e32 v9, v19, v20
	v_ashrrev_i32_e32 v10, 31, v9
	v_lshlrev_b64 v[9:10], 3, v[9:10]
	v_mov_b32_e32 v1, s15
	v_add_co_u32_e32 v9, vcc, s14, v9
	v_addc_co_u32_e32 v10, vcc, v1, v10, vcc
	global_load_dwordx2 v[9:10], v[9:10], off
.LBB230_9:                              ;   in Loop: Header=BB230_5 Depth=1
	s_or_b64 exec, exec, s[2:3]
	v_mov_b32_e32 v12, 0
	s_and_saveexec_b64 s[2:3], s[0:1]
	s_cbranch_execz .LBB230_11
; %bb.10:                               ;   in Loop: Header=BB230_5 Depth=1
	v_add_u32_e32 v11, v19, v20
	v_ashrrev_i32_e32 v12, 31, v11
	v_lshlrev_b64 v[11:12], 3, v[11:12]
	v_mov_b32_e32 v1, s7
	v_add_co_u32_e32 v11, vcc, s6, v11
	v_addc_co_u32_e32 v12, vcc, v1, v12, vcc
	global_load_dwordx2 v[11:12], v[11:12], off
.LBB230_11:                             ;   in Loop: Header=BB230_5 Depth=1
	s_or_b64 exec, exec, s[2:3]
	v_cmp_gt_u32_e64 s[2:3], s26, v20
	v_mov_b32_e32 v13, 0
	v_mov_b32_e32 v14, 0
	s_and_saveexec_b64 s[4:5], s[2:3]
	s_cbranch_execz .LBB230_13
; %bb.12:                               ;   in Loop: Header=BB230_5 Depth=1
	v_add_u32_e32 v13, v21, v20
	v_ashrrev_i32_e32 v14, 31, v13
	v_lshlrev_b64 v[13:14], 3, v[13:14]
	v_mov_b32_e32 v1, s13
	v_add_co_u32_e32 v13, vcc, s12, v13
	v_addc_co_u32_e32 v14, vcc, v1, v14, vcc
	global_load_dwordx2 v[13:14], v[13:14], off
.LBB230_13:                             ;   in Loop: Header=BB230_5 Depth=1
	s_or_b64 exec, exec, s[4:5]
	v_lshlrev_b64 v[16:17], 2, v[15:16]
	v_mov_b32_e32 v1, s17
	v_add_co_u32_e32 v16, vcc, s16, v16
	v_addc_co_u32_e32 v17, vcc, v1, v17, vcc
	global_load_dword v18, v[16:17], off
	v_cmp_ne_u32_e32 vcc, s25, v20
	s_waitcnt vmcnt(1)
	v_mul_f32_e64 v24, v8, -v4
	v_mul_f32_e32 v23, v3, v8
	v_add_u32_e32 v1, s28, v15
	v_add_u32_e32 v17, s29, v15
	v_add_u32_e32 v16, s30, v15
	v_add_u32_e32 v15, s31, v15
	s_waitcnt vmcnt(0)
	v_cmp_ne_u32_e64 s[4:5], 1, v18
	s_and_b64 s[4:5], vcc, s[4:5]
	s_and_saveexec_b64 s[20:21], s[4:5]
	s_xor_b64 s[20:21], exec, s[20:21]
	s_cbranch_execz .LBB230_17
; %bb.14:                               ;   in Loop: Header=BB230_5 Depth=1
	v_lshlrev_b64 v[25:26], 3, v[1:2]
	v_mov_b32_e32 v18, v2
	v_mov_b32_e32 v1, s9
	v_add_co_u32_e32 v25, vcc, s8, v25
	v_lshlrev_b64 v[17:18], 3, v[17:18]
	v_addc_co_u32_e32 v26, vcc, v1, v26, vcc
	v_add_co_u32_e32 v36, vcc, s8, v17
	v_mov_b32_e32 v17, v2
	v_lshlrev_b64 v[16:17], 3, v[16:17]
	v_addc_co_u32_e32 v37, vcc, v1, v18, vcc
	v_add_co_u32_e32 v38, vcc, s8, v16
	v_add_u32_e32 v33, v19, v20
	v_addc_co_u32_e32 v39, vcc, v1, v17, vcc
	v_add_u32_e32 v1, s28, v33
	v_lshlrev_b64 v[16:17], 3, v[1:2]
	v_mov_b32_e32 v1, s9
	v_add_co_u32_e32 v40, vcc, s8, v16
	v_addc_co_u32_e32 v41, vcc, v1, v17, vcc
	v_add_u32_e32 v1, s29, v33
	v_lshlrev_b64 v[29:30], 3, v[1:2]
	v_mul_f32_e32 v35, v5, v10
	v_mul_f32_e64 v31, v10, -v6
	v_fmac_f32_e32 v35, v6, v9
	v_fmac_f32_e32 v23, v4, v7
	v_mov_b32_e32 v1, s9
	v_fmac_f32_e32 v31, v5, v9
	v_fmac_f32_e32 v24, v3, v7
	v_add_co_u32_e32 v42, vcc, s8, v29
	v_sub_f32_e32 v29, v35, v23
	v_sub_f32_e32 v60, v31, v24
	v_addc_co_u32_e32 v43, vcc, v1, v30, vcc
	v_mul_f32_e32 v30, v29, v29
	v_fmac_f32_e32 v30, v60, v60
	v_div_scale_f32 v35, s[4:5], v30, v30, 1.0
	v_div_scale_f32 v54, vcc, 1.0, v30, 1.0
	global_load_dwordx2 v[27:28], v[25:26], off
	global_load_dwordx2 v[17:18], v[40:41], off
	;; [unrolled: 1-line block ×4, first 2 shown]
	v_add_u32_e32 v1, s30, v33
	v_lshlrev_b64 v[23:24], 3, v[1:2]
	v_mov_b32_e32 v1, s9
	v_add_co_u32_e64 v46, s[4:5], s8, v23
	v_mov_b32_e32 v16, v2
	v_addc_co_u32_e64 v47, s[4:5], v1, v24, s[4:5]
	v_rcp_f32_e32 v23, v35
	v_lshlrev_b64 v[15:16], 3, v[15:16]
	global_load_dwordx2 v[48:49], v[38:39], off
	global_load_dwordx2 v[50:51], v[46:47], off
	v_mov_b32_e32 v34, s9
	v_fma_f32 v24, -v35, v23, 1.0
	v_fmac_f32_e32 v23, v24, v23
	v_mul_f32_e32 v24, v54, v23
	v_add_co_u32_e64 v52, s[4:5], s8, v15
	v_add_u32_e32 v1, s31, v33
	v_fma_f32 v33, -v35, v24, v54
	v_addc_co_u32_e64 v53, s[4:5], v34, v16, s[4:5]
	v_lshlrev_b64 v[15:16], 3, v[1:2]
	v_fmac_f32_e32 v24, v33, v23
	v_fma_f32 v33, -v35, v24, v54
	v_mov_b32_e32 v1, s9
	v_div_fmas_f32 v23, v33, v23, v24
	global_load_dwordx2 v[54:55], v[52:53], off
	v_add_co_u32_e32 v56, vcc, s8, v15
	v_addc_co_u32_e32 v57, vcc, v1, v16, vcc
	global_load_dwordx2 v[58:59], v[56:57], off
	v_fma_f32 v16, v60, 0, -v29
	v_fma_f32 v15, 0, v29, v60
	v_div_fixup_f32 v1, v23, v30, 1.0
	v_mul_f32_e32 v16, v16, v1
	v_mul_f32_e32 v15, v15, v1
	s_waitcnt vmcnt(7)
	v_mul_f32_e64 v23, v16, -v28
	v_fmac_f32_e32 v23, v27, v15
	v_mul_f32_e32 v27, v16, v27
	v_fmac_f32_e32 v27, v28, v15
	s_waitcnt vmcnt(6)
	v_mul_f32_e32 v28, v16, v17
	v_mul_f32_e64 v24, v16, -v18
	v_fmac_f32_e32 v28, v18, v15
	v_fmac_f32_e32 v24, v17, v15
	v_mul_f32_e64 v1, v27, -v10
	v_mul_f32_e32 v18, v9, v27
	v_mul_f32_e64 v17, v28, -v8
	v_mul_f32_e32 v29, v28, v7
	v_fmac_f32_e32 v1, v9, v23
	v_fmac_f32_e32 v18, v10, v23
	;; [unrolled: 1-line block ×4, first 2 shown]
	s_waitcnt vmcnt(4)
	v_mul_f32_e32 v33, v16, v31
	v_mul_f32_e32 v35, v16, v44
	v_sub_f32_e32 v17, v1, v17
	v_sub_f32_e32 v18, v18, v29
	v_mul_f32_e64 v30, v16, -v32
	v_fmac_f32_e32 v33, v32, v15
	v_mul_f32_e64 v32, v16, -v45
	v_fmac_f32_e32 v35, v45, v15
	global_store_dwordx2 v[25:26], v[17:18], off
	v_fmac_f32_e32 v30, v31, v15
	v_fmac_f32_e32 v32, v44, v15
	v_mul_f32_e64 v1, v33, -v10
	v_mul_f32_e32 v18, v9, v33
	v_mul_f32_e64 v17, v35, -v8
	v_mul_f32_e32 v25, v35, v7
	v_fmac_f32_e32 v1, v9, v30
	v_fmac_f32_e32 v18, v10, v30
	;; [unrolled: 1-line block ×4, first 2 shown]
	v_sub_f32_e32 v17, v1, v17
	v_sub_f32_e32 v18, v18, v25
	s_waitcnt vmcnt(4)
	v_mul_f32_e32 v25, v16, v48
	s_waitcnt vmcnt(3)
	v_mul_f32_e32 v26, v16, v50
	global_store_dwordx2 v[36:37], v[17:18], off
	v_mul_f32_e64 v17, v16, -v49
	v_fmac_f32_e32 v25, v49, v15
	v_mul_f32_e64 v18, v16, -v51
	v_fmac_f32_e32 v26, v51, v15
	v_fmac_f32_e32 v17, v48, v15
	;; [unrolled: 1-line block ×3, first 2 shown]
	v_mul_f32_e32 v29, v9, v25
	v_mul_f32_e32 v34, v26, v7
	v_mul_f32_e64 v1, v25, -v10
	v_fmac_f32_e32 v29, v10, v17
	v_mul_f32_e64 v31, v26, -v8
	v_fmac_f32_e32 v34, v8, v18
	v_fmac_f32_e32 v1, v9, v17
	;; [unrolled: 1-line block ×3, first 2 shown]
	v_sub_f32_e32 v37, v29, v34
	s_waitcnt vmcnt(3)
	v_mul_f32_e32 v34, v16, v54
	v_sub_f32_e32 v36, v1, v31
	v_mul_f32_e64 v29, v16, -v55
	v_fmac_f32_e32 v34, v55, v15
	global_store_dwordx2 v[38:39], v[36:37], off
	v_fmac_f32_e32 v29, v54, v15
	s_waitcnt vmcnt(3)
	v_mul_f32_e32 v36, v16, v58
	v_mul_f32_e64 v1, v34, -v10
	v_mul_f32_e64 v31, v16, -v59
	v_fmac_f32_e32 v36, v59, v15
	v_fmac_f32_e32 v1, v9, v29
	v_mul_f32_e32 v9, v9, v34
	v_fmac_f32_e32 v31, v58, v15
	v_fmac_f32_e32 v9, v10, v29
	v_mul_f32_e64 v10, v36, -v8
	v_mul_f32_e32 v37, v36, v7
	v_fmac_f32_e32 v10, v7, v31
	v_fmac_f32_e32 v37, v8, v31
	v_sub_f32_e32 v7, v1, v10
	v_sub_f32_e32 v8, v9, v37
	global_store_dwordx2 v[52:53], v[7:8], off
	v_mul_f32_e64 v7, v27, -v3
	v_mul_f32_e32 v1, v4, v27
	v_fma_f32 v8, -v4, v23, v7
	v_mul_f32_e64 v7, v28, -v6
	v_mul_f32_e32 v9, v5, v28
	v_fma_f32 v1, -v3, v23, v1
	v_fmac_f32_e32 v7, v5, v24
	v_fmac_f32_e32 v9, v6, v24
	v_add_f32_e32 v7, v1, v7
	v_add_f32_e32 v8, v8, v9
	global_store_dwordx2 v[40:41], v[7:8], off
	v_mul_f32_e64 v7, v33, -v3
	v_mul_f32_e32 v1, v4, v33
	v_fma_f32 v8, -v4, v30, v7
	v_mul_f32_e64 v7, v35, -v6
	v_mul_f32_e32 v9, v5, v35
	v_fma_f32 v1, -v3, v30, v1
	v_fmac_f32_e32 v7, v5, v32
	v_fmac_f32_e32 v9, v6, v32
	v_add_f32_e32 v7, v1, v7
	v_add_f32_e32 v8, v8, v9
	;; [unrolled: 11-line block ×3, first 2 shown]
	global_store_dwordx2 v[46:47], v[7:8], off
	v_mul_f32_e32 v1, v4, v34
	v_mul_f32_e64 v7, v34, -v3
	v_mul_f32_e64 v8, v36, -v6
	v_mul_f32_e32 v9, v5, v36
	v_fma_f32 v1, -v3, v29, v1
	v_fma_f32 v7, -v4, v29, v7
	v_fmac_f32_e32 v8, v5, v31
	v_fmac_f32_e32 v9, v6, v31
	v_add_f32_e32 v8, v1, v8
	v_add_f32_e32 v9, v7, v9
	v_mov_b32_e32 v7, 0
	v_mov_b32_e32 v1, 0
	global_store_dwordx2 v[56:57], v[8:9], off
	s_and_saveexec_b64 s[4:5], s[2:3]
	s_cbranch_execz .LBB230_16
; %bb.15:                               ;   in Loop: Header=BB230_5 Depth=1
	v_add_u32_e32 v7, v21, v20
	v_add_u32_e32 v1, s28, v7
	v_lshlrev_b64 v[8:9], 3, v[1:2]
	v_mov_b32_e32 v1, s9
	v_add_co_u32_e32 v37, vcc, s8, v8
	v_addc_co_u32_e32 v38, vcc, v1, v9, vcc
	v_add_u32_e32 v1, s29, v7
	v_lshlrev_b64 v[39:40], 3, v[1:2]
	global_load_dwordx2 v[9:10], v[37:38], off
	v_mov_b32_e32 v1, s9
	v_add_co_u32_e32 v39, vcc, s8, v39
	v_addc_co_u32_e32 v40, vcc, v1, v40, vcc
	global_load_dwordx2 v[41:42], v[39:40], off
	v_mul_f32_e32 v1, v4, v14
	v_mul_f32_e64 v8, v14, -v3
	v_mul_f32_e64 v43, v14, -v6
	v_mul_f32_e32 v44, v5, v14
	v_fma_f32 v48, -v3, v13, v1
	v_fma_f32 v49, -v4, v13, v8
	v_fmac_f32_e32 v43, v5, v13
	v_fmac_f32_e32 v44, v6, v13
	v_ashrrev_i32_e32 v8, 31, v7
	v_mul_f32_e32 v1, v49, v27
	v_mul_f32_e64 v27, v27, -v48
	v_mul_f32_e64 v50, v28, -v44
	v_mul_f32_e32 v28, v43, v28
	v_mul_f32_e32 v51, v49, v33
	v_mul_f32_e64 v52, v35, -v44
	v_lshlrev_b64 v[3:4], 3, v[7:8]
	v_mul_f32_e32 v35, v43, v35
	v_fma_f32 v8, -v48, v23, v1
	v_fma_f32 v23, -v49, v23, v27
	v_fmac_f32_e32 v50, v43, v24
	v_fmac_f32_e32 v28, v44, v24
	v_fma_f32 v24, -v48, v30, v51
	v_fmac_f32_e32 v52, v43, v32
	v_add_u32_e32 v1, s30, v7
	v_mov_b32_e32 v47, s15
	v_mul_f32_e64 v33, v33, -v48
	v_fmac_f32_e32 v35, v44, v32
	v_sub_f32_e32 v28, v23, v28
	v_sub_f32_e32 v32, v24, v52
	v_lshlrev_b64 v[23:24], 3, v[1:2]
	v_add_co_u32_e32 v3, vcc, s14, v3
	v_fma_f32 v27, -v49, v30, v33
	v_sub_f32_e32 v30, v8, v50
	v_add_u32_e32 v1, s31, v7
	v_addc_co_u32_e32 v4, vcc, v47, v4, vcc
	v_mov_b32_e32 v45, s9
	v_lshlrev_b64 v[7:8], 3, v[1:2]
	v_add_co_u32_e32 v23, vcc, s8, v23
	v_sub_f32_e32 v33, v27, v35
	v_addc_co_u32_e32 v24, vcc, v45, v24, vcc
	v_mov_b32_e32 v46, s9
	v_add_co_u32_e32 v7, vcc, s8, v7
	v_addc_co_u32_e32 v8, vcc, v46, v8, vcc
	global_load_dwordx2 v[3:4], v[3:4], off
	v_mul_f32_e64 v1, v6, -v14
	v_mul_f32_e32 v6, v6, v13
	v_fmac_f32_e32 v1, v13, v5
	v_fmac_f32_e32 v6, v14, v5
	v_mul_f32_e32 v5, v49, v25
	v_mul_f32_e64 v13, v25, -v48
	v_mul_f32_e64 v14, v26, -v44
	v_mul_f32_e32 v25, v43, v26
	v_mul_f32_e32 v26, v49, v34
	v_fma_f32 v5, -v48, v17, v5
	v_fma_f32 v13, -v49, v17, v13
	v_fmac_f32_e32 v14, v43, v18
	v_fmac_f32_e32 v25, v44, v18
	v_fma_f32 v17, -v48, v29, v26
	v_sub_f32_e32 v5, v5, v14
	s_waitcnt vmcnt(2)
	v_add_f32_e32 v9, v30, v9
	v_add_f32_e32 v10, v28, v10
	global_store_dwordx2 v[37:38], v[9:10], off
	global_load_dwordx2 v[27:28], v[23:24], off
	v_mul_f32_e64 v30, v34, -v48
	v_mul_f32_e64 v34, v12, -v6
	s_waitcnt vmcnt(3)
	v_add_f32_e32 v9, v32, v41
	v_add_f32_e32 v10, v33, v42
	global_store_dwordx2 v[39:40], v[9:10], off
	global_load_dwordx2 v[9:10], v[7:8], off
	v_mul_f32_e64 v32, v36, -v44
	v_mul_f32_e32 v33, v43, v36
	v_mul_f32_e32 v12, v12, v1
	v_fma_f32 v18, -v49, v29, v30
	v_fmac_f32_e32 v32, v43, v31
	v_fmac_f32_e32 v33, v44, v31
	;; [unrolled: 1-line block ×4, first 2 shown]
	v_sub_f32_e32 v6, v13, v25
	v_sub_f32_e32 v11, v17, v32
	;; [unrolled: 1-line block ×3, first 2 shown]
	v_mul_f32_e64 v1, v16, -v12
	v_mul_f32_e32 v14, v16, v34
	v_fmac_f32_e32 v1, v34, v15
	v_fmac_f32_e32 v14, v12, v15
	s_waitcnt vmcnt(4)
	v_sub_f32_e32 v1, v3, v1
	s_waitcnt vmcnt(2)
	v_add_f32_e32 v5, v5, v27
	v_add_f32_e32 v6, v6, v28
	global_store_dwordx2 v[23:24], v[5:6], off
	s_waitcnt vmcnt(1)
	v_add_f32_e32 v5, v11, v9
	v_add_f32_e32 v6, v13, v10
	global_store_dwordx2 v[7:8], v[5:6], off
	v_sub_f32_e32 v7, v4, v14
.LBB230_16:                             ;   in Loop: Header=BB230_5 Depth=1
	s_or_b64 exec, exec, s[4:5]
	v_mov_b32_e32 v6, v7
	v_mov_b32_e32 v5, v1
                                        ; implicit-def: $vgpr7_vgpr8
                                        ; implicit-def: $vgpr3
                                        ; implicit-def: $vgpr9
                                        ; implicit-def: $vgpr24
                                        ; implicit-def: $vgpr23
                                        ; implicit-def: $vgpr17
                                        ; implicit-def: $vgpr16
                                        ; implicit-def: $vgpr15
.LBB230_17:                             ;   in Loop: Header=BB230_5 Depth=1
	s_or_saveexec_b64 s[2:3], s[20:21]
	v_mov_b32_e32 v8, s27
	s_xor_b64 exec, exec, s[2:3]
	s_cbranch_execz .LBB230_4
; %bb.18:                               ;   in Loop: Header=BB230_5 Depth=1
	v_lshlrev_b64 v[11:12], 3, v[1:2]
	v_mov_b32_e32 v18, v2
	v_mov_b32_e32 v1, s9
	v_lshlrev_b64 v[13:14], 3, v[17:18]
	v_add_co_u32_e32 v25, vcc, s8, v11
	v_addc_co_u32_e32 v26, vcc, v1, v12, vcc
	v_mov_b32_e32 v8, s9
	v_add_co_u32_e32 v27, vcc, s8, v13
	v_mov_b32_e32 v17, v2
	v_addc_co_u32_e32 v28, vcc, v8, v14, vcc
	v_lshlrev_b64 v[13:14], 3, v[16:17]
	v_mov_b32_e32 v16, v2
	v_add_co_u32_e32 v29, vcc, s8, v13
	v_addc_co_u32_e32 v30, vcc, v1, v14, vcc
	v_lshlrev_b64 v[13:14], 3, v[15:16]
	global_load_dwordx2 v[11:12], v[25:26], off
	v_add_co_u32_e32 v35, vcc, s8, v13
	v_addc_co_u32_e32 v36, vcc, v1, v14, vcc
	global_load_dwordx2 v[31:32], v[27:28], off
	global_load_dwordx2 v[33:34], v[29:30], off
	;; [unrolled: 1-line block ×3, first 2 shown]
	v_mul_f32_e32 v1, v6, v6
	v_fmac_f32_e32 v1, v5, v5
	v_div_scale_f32 v8, s[4:5], v1, v1, 1.0
	v_div_scale_f32 v13, vcc, 1.0, v1, 1.0
	v_rcp_f32_e32 v14, v8
	v_fma_f32 v15, -v8, v14, 1.0
	v_fmac_f32_e32 v14, v15, v14
	v_mul_f32_e32 v15, v13, v14
	v_fma_f32 v16, -v8, v15, v13
	v_fmac_f32_e32 v15, v16, v14
	v_fma_f32 v8, -v8, v15, v13
	v_div_fmas_f32 v8, v8, v14, v15
	v_fma_f32 v13, 0, v6, v5
	v_fma_f32 v5, v5, 0, -v6
	v_div_fixup_f32 v1, v8, v1, 1.0
	v_mul_f32_e32 v17, v5, v1
	v_mul_f32_e32 v8, v13, v1
	s_waitcnt vmcnt(3)
	v_mul_f32_e64 v15, v17, -v12
	v_mul_f32_e32 v16, v17, v11
	v_fmac_f32_e32 v15, v11, v8
	v_fmac_f32_e32 v16, v12, v8
	s_waitcnt vmcnt(2)
	v_mul_f32_e64 v13, v17, -v32
	v_mul_f32_e32 v14, v17, v31
	s_waitcnt vmcnt(1)
	v_mul_f32_e64 v11, v17, -v34
	v_mul_f32_e32 v12, v17, v33
	;; [unrolled: 3-line block ×3, first 2 shown]
	v_fmac_f32_e32 v13, v31, v8
	v_fmac_f32_e32 v14, v32, v8
	;; [unrolled: 1-line block ×6, first 2 shown]
	global_store_dwordx2 v[25:26], v[15:16], off
	global_store_dwordx2 v[27:28], v[13:14], off
	;; [unrolled: 1-line block ×4, first 2 shown]
	s_and_saveexec_b64 s[4:5], s[0:1]
	s_cbranch_execz .LBB230_3
; %bb.19:                               ;   in Loop: Header=BB230_5 Depth=1
	v_add_u32_e32 v18, v19, v20
	v_add_u32_e32 v1, s28, v18
	v_lshlrev_b64 v[25:26], 3, v[1:2]
	v_mov_b32_e32 v1, s9
	v_add_co_u32_e32 v25, vcc, s8, v25
	v_addc_co_u32_e32 v26, vcc, v1, v26, vcc
	global_load_dwordx2 v[27:28], v[25:26], off
	s_waitcnt vmcnt(0)
	v_fma_f32 v1, -v4, v15, v28
	v_fma_f32 v27, -v3, v15, v27
	v_fma_f32 v28, -v3, v16, v1
	v_add_u32_e32 v1, s29, v18
	v_fmac_f32_e32 v27, v4, v16
	v_lshlrev_b64 v[15:16], 3, v[1:2]
	v_mov_b32_e32 v1, s9
	v_add_co_u32_e32 v15, vcc, s8, v15
	v_addc_co_u32_e32 v16, vcc, v1, v16, vcc
	global_store_dwordx2 v[25:26], v[27:28], off
	global_load_dwordx2 v[25:26], v[15:16], off
	s_waitcnt vmcnt(0)
	v_fma_f32 v1, -v4, v13, v26
	v_fma_f32 v25, -v3, v13, v25
	v_fma_f32 v26, -v3, v14, v1
	v_add_u32_e32 v1, s30, v18
	v_fmac_f32_e32 v25, v4, v14
	v_lshlrev_b64 v[13:14], 3, v[1:2]
	v_mov_b32_e32 v1, s9
	v_add_co_u32_e32 v13, vcc, s8, v13
	v_addc_co_u32_e32 v14, vcc, v1, v14, vcc
	global_store_dwordx2 v[15:16], v[25:26], off
	;; [unrolled: 12-line block ×3, first 2 shown]
	global_load_dwordx2 v[13:14], v[11:12], off
	s_waitcnt vmcnt(0)
	v_fma_f32 v13, -v3, v5, v13
	v_fma_f32 v1, -v4, v5, v14
	v_fmac_f32_e32 v13, v4, v6
	v_fma_f32 v14, -v3, v6, v1
	global_store_dwordx2 v[11:12], v[13:14], off
	s_branch .LBB230_3
.LBB230_20:
	s_or_b64 exec, exec, s[18:19]
	s_branch .LBB230_22
.LBB230_21:
	v_mov_b32_e32 v20, 0
.LBB230_22:
	v_subrev_u32_e32 v3, s22, v20
	v_add_u32_e32 v1, v3, v0
	v_ashrrev_i32_e32 v2, 31, v1
	v_lshlrev_b64 v[1:2], 2, v[1:2]
	s_waitcnt lgkmcnt(0)
	v_mov_b32_e32 v4, s17
	v_add_co_u32_e32 v1, vcc, s16, v1
	v_addc_co_u32_e32 v2, vcc, v4, v2, vcc
	s_waitcnt vmcnt(0)
	buffer_wbinvl1_vol
	global_load_dword v1, v[1:2], off
	s_waitcnt vmcnt(0)
	v_mul_lo_u32 v1, v1, s22
	v_sub_u32_e32 v7, v3, v1
	v_cmp_lt_i32_e32 vcc, -1, v7
	s_and_b64 exec, exec, vcc
	s_cbranch_execz .LBB230_29
; %bb.23:
	s_lshl_b32 s4, s24, 2
	s_add_i32 s5, s4, s23
	s_add_i32 s6, s5, s23
	;; [unrolled: 1-line block ×3, first 2 shown]
	s_lshl_b32 s12, s22, 1
	s_mov_b64 s[0:1], 0
	v_mov_b32_e32 v8, s17
	v_mov_b32_e32 v9, s11
	v_mov_b32_e32 v2, 0
	s_branch .LBB230_25
.LBB230_24:                             ;   in Loop: Header=BB230_25 Depth=1
	s_or_b64 exec, exec, s[2:3]
	v_sub_u32_e32 v7, v7, v1
	v_cmp_gt_i32_e32 vcc, 0, v7
	s_or_b64 s[0:1], vcc, s[0:1]
	s_andn2_b64 exec, exec, s[0:1]
	s_cbranch_execz .LBB230_29
.LBB230_25:                             ; =>This Inner Loop Header: Depth=1
	v_add_u32_e32 v5, v7, v0
	v_ashrrev_i32_e32 v6, 31, v5
	s_waitcnt vmcnt(0)
	v_lshlrev_b64 v[3:4], 2, v[5:6]
	v_add_co_u32_e32 v3, vcc, s16, v3
	v_addc_co_u32_e32 v4, vcc, v8, v4, vcc
	global_load_dword v1, v[3:4], off
	v_lshlrev_b64 v[3:4], 3, v[5:6]
	v_add_co_u32_e32 v3, vcc, s10, v3
	v_addc_co_u32_e32 v4, vcc, v9, v4, vcc
	global_load_dwordx2 v[3:4], v[3:4], off
	s_waitcnt vmcnt(1)
	v_cmp_ne_u32_e32 vcc, 1, v1
	s_and_saveexec_b64 s[2:3], vcc
	s_xor_b64 s[2:3], exec, s[2:3]
	s_cbranch_execz .LBB230_27
; %bb.26:                               ;   in Loop: Header=BB230_25 Depth=1
	v_add_u32_e32 v6, v19, v7
	v_add_u32_e32 v1, s4, v6
	v_lshlrev_b64 v[10:11], 3, v[1:2]
	v_mov_b32_e32 v1, s9
	v_add_co_u32_e32 v10, vcc, s8, v10
	v_addc_co_u32_e32 v11, vcc, v1, v11, vcc
	v_add_u32_e32 v1, s5, v6
	v_lshlrev_b64 v[12:13], 3, v[1:2]
	v_add_u32_e32 v1, s6, v6
	v_lshlrev_b64 v[14:15], 3, v[1:2]
	v_add_u32_e32 v1, s7, v6
	v_lshlrev_b64 v[16:17], 3, v[1:2]
	v_add_u32_e32 v1, s4, v5
	v_lshlrev_b64 v[20:21], 3, v[1:2]
	v_mov_b32_e32 v1, s9
	v_add_co_u32_e32 v20, vcc, s8, v20
	v_addc_co_u32_e32 v21, vcc, v1, v21, vcc
	global_load_dwordx2 v[10:11], v[10:11], off
	v_add_co_u32_e32 v12, vcc, s8, v12
	global_load_dwordx2 v[22:23], v[20:21], off
	v_addc_co_u32_e32 v13, vcc, v1, v13, vcc
	v_mov_b32_e32 v6, s9
	v_add_co_u32_e32 v14, vcc, s8, v14
	v_addc_co_u32_e32 v15, vcc, v6, v15, vcc
	v_add_u32_e32 v1, s5, v5
	v_mov_b32_e32 v18, s9
	v_add_co_u32_e32 v16, vcc, s8, v16
	v_lshlrev_b64 v[24:25], 3, v[1:2]
	v_addc_co_u32_e32 v17, vcc, v18, v17, vcc
	global_load_dwordx2 v[26:27], v[12:13], off
	global_load_dwordx2 v[28:29], v[14:15], off
	;; [unrolled: 1-line block ×3, first 2 shown]
	v_mov_b32_e32 v32, s9
	v_add_co_u32_e32 v12, vcc, s8, v24
	v_addc_co_u32_e32 v13, vcc, v32, v25, vcc
	s_waitcnt vmcnt(3)
	v_fma_f32 v14, -v3, v10, v22
	v_fma_f32 v1, -v4, v10, v23
	v_fmac_f32_e32 v14, v4, v11
	v_fma_f32 v15, -v3, v11, v1
	global_store_dwordx2 v[20:21], v[14:15], off
	global_load_dwordx2 v[14:15], v[12:13], off
	v_add_u32_e32 v1, s6, v5
	v_lshlrev_b64 v[16:17], 3, v[1:2]
	v_mov_b32_e32 v20, s9
	v_add_co_u32_e32 v16, vcc, s8, v16
	v_addc_co_u32_e32 v17, vcc, v6, v17, vcc
	s_waitcnt vmcnt(0)
	v_fma_f32 v14, -v3, v26, v14
	v_fma_f32 v1, -v4, v26, v15
	v_fmac_f32_e32 v14, v4, v27
	v_fma_f32 v15, -v3, v27, v1
	global_store_dwordx2 v[12:13], v[14:15], off
	global_load_dwordx2 v[12:13], v[16:17], off
	v_add_u32_e32 v1, s7, v5
	v_lshlrev_b64 v[5:6], 3, v[1:2]
	v_mov_b32_e32 v14, s9
	v_add_co_u32_e32 v5, vcc, s8, v5
	v_addc_co_u32_e32 v6, vcc, v14, v6, vcc
	s_waitcnt vmcnt(0)
	v_fma_f32 v12, -v3, v28, v12
	v_fma_f32 v1, -v4, v28, v13
	v_fmac_f32_e32 v12, v4, v29
	v_fma_f32 v13, -v3, v29, v1
	global_store_dwordx2 v[16:17], v[12:13], off
	global_load_dwordx2 v[12:13], v[5:6], off
	v_subrev_u32_e32 v1, s22, v7
	v_add_u32_e32 v14, v1, v0
	v_ashrrev_i32_e32 v15, 31, v14
	v_lshlrev_b64 v[15:16], 3, v[14:15]
	v_mov_b32_e32 v17, s11
	v_add_co_u32_e32 v15, vcc, s10, v15
	v_add_u32_e32 v1, s4, v14
	v_addc_co_u32_e32 v16, vcc, v17, v16, vcc
	v_lshlrev_b64 v[17:18], 3, v[1:2]
	global_load_dwordx2 v[15:16], v[15:16], off
	v_add_co_u32_e32 v17, vcc, s8, v17
	v_addc_co_u32_e32 v18, vcc, v20, v18, vcc
	s_waitcnt vmcnt(1)
	v_fma_f32 v12, -v3, v30, v12
	v_fma_f32 v1, -v4, v30, v13
	v_fmac_f32_e32 v12, v4, v31
	v_fma_f32 v13, -v3, v31, v1
	global_store_dwordx2 v[5:6], v[12:13], off
	global_load_dwordx2 v[3:4], v[17:18], off
	v_add_u32_e32 v1, s5, v14
	v_lshlrev_b64 v[5:6], 3, v[1:2]
	v_mov_b32_e32 v12, s9
	v_add_co_u32_e32 v5, vcc, s8, v5
	v_addc_co_u32_e32 v6, vcc, v12, v6, vcc
	s_waitcnt vmcnt(0)
	v_fma_f32 v3, -v15, v10, v3
	v_fma_f32 v1, -v16, v10, v4
	v_fmac_f32_e32 v3, v16, v11
	v_fma_f32 v4, -v15, v11, v1
	global_store_dwordx2 v[17:18], v[3:4], off
	global_load_dwordx2 v[3:4], v[5:6], off
	v_add_u32_e32 v1, s6, v14
	v_lshlrev_b64 v[10:11], 3, v[1:2]
	v_add_co_u32_e32 v10, vcc, s8, v10
	v_addc_co_u32_e32 v11, vcc, v12, v11, vcc
	s_waitcnt vmcnt(0)
	v_fma_f32 v3, -v15, v26, v3
	v_fma_f32 v1, -v16, v26, v4
	v_fmac_f32_e32 v3, v16, v27
	v_fma_f32 v4, -v15, v27, v1
	global_store_dwordx2 v[5:6], v[3:4], off
	global_load_dwordx2 v[3:4], v[10:11], off
	v_add_u32_e32 v1, s7, v14
	v_lshlrev_b64 v[5:6], 3, v[1:2]
	v_add_co_u32_e32 v5, vcc, s8, v5
	v_addc_co_u32_e32 v6, vcc, v12, v6, vcc
	s_waitcnt vmcnt(0)
	v_fma_f32 v3, -v15, v28, v3
	v_fma_f32 v1, -v16, v28, v4
	v_fmac_f32_e32 v3, v16, v29
	v_fma_f32 v4, -v15, v29, v1
	global_store_dwordx2 v[10:11], v[3:4], off
	global_load_dwordx2 v[3:4], v[5:6], off
	s_waitcnt vmcnt(0)
	v_fma_f32 v3, -v15, v30, v3
	v_fma_f32 v1, -v16, v30, v4
	v_fmac_f32_e32 v3, v16, v31
	v_fma_f32 v4, -v15, v31, v1
	global_store_dwordx2 v[5:6], v[3:4], off
                                        ; implicit-def: $vgpr5
                                        ; implicit-def: $vgpr3_vgpr4
.LBB230_27:                             ;   in Loop: Header=BB230_25 Depth=1
	s_or_saveexec_b64 s[2:3], s[2:3]
	v_mov_b32_e32 v1, s12
	s_xor_b64 exec, exec, s[2:3]
	s_cbranch_execz .LBB230_24
; %bb.28:                               ;   in Loop: Header=BB230_25 Depth=1
	v_add_u32_e32 v6, v19, v7
	v_add_u32_e32 v1, s4, v6
	v_lshlrev_b64 v[10:11], 3, v[1:2]
	v_mov_b32_e32 v1, s9
	v_add_co_u32_e32 v10, vcc, s8, v10
	v_addc_co_u32_e32 v11, vcc, v1, v11, vcc
	v_add_u32_e32 v1, s4, v5
	v_lshlrev_b64 v[12:13], 3, v[1:2]
	v_mov_b32_e32 v1, s9
	v_add_co_u32_e32 v12, vcc, s8, v12
	v_addc_co_u32_e32 v13, vcc, v1, v13, vcc
	global_load_dwordx2 v[14:15], v[10:11], off
	global_load_dwordx2 v[16:17], v[12:13], off
	v_add_u32_e32 v1, s5, v6
	v_lshlrev_b64 v[10:11], 3, v[1:2]
	v_add_u32_e32 v1, s5, v5
	v_mov_b32_e32 v18, s9
	v_lshlrev_b64 v[20:21], 3, v[1:2]
	v_add_co_u32_e32 v10, vcc, s8, v10
	v_addc_co_u32_e32 v11, vcc, v18, v11, vcc
	v_mov_b32_e32 v22, s9
	v_add_co_u32_e32 v20, vcc, s8, v20
	v_addc_co_u32_e32 v21, vcc, v22, v21, vcc
	s_waitcnt vmcnt(0)
	v_fma_f32 v16, -v3, v14, v16
	v_fma_f32 v1, -v4, v14, v17
	v_fmac_f32_e32 v16, v4, v15
	v_fma_f32 v17, -v3, v15, v1
	global_store_dwordx2 v[12:13], v[16:17], off
	global_load_dwordx2 v[12:13], v[10:11], off
	s_nop 0
	global_load_dwordx2 v[14:15], v[20:21], off
	v_add_u32_e32 v1, s6, v6
	v_lshlrev_b64 v[10:11], 3, v[1:2]
	v_add_u32_e32 v1, s6, v5
	v_lshlrev_b64 v[16:17], 3, v[1:2]
	v_add_co_u32_e32 v10, vcc, s8, v10
	v_addc_co_u32_e32 v11, vcc, v18, v11, vcc
	v_add_co_u32_e32 v16, vcc, s8, v16
	v_addc_co_u32_e32 v17, vcc, v22, v17, vcc
	s_waitcnt vmcnt(0)
	v_fma_f32 v14, -v3, v12, v14
	v_fma_f32 v1, -v4, v12, v15
	v_fmac_f32_e32 v14, v4, v13
	v_fma_f32 v15, -v3, v13, v1
	global_store_dwordx2 v[20:21], v[14:15], off
	global_load_dwordx2 v[12:13], v[10:11], off
	s_nop 0
	global_load_dwordx2 v[14:15], v[16:17], off
	v_add_u32_e32 v1, s7, v6
	v_lshlrev_b64 v[10:11], 3, v[1:2]
	v_add_u32_e32 v1, s7, v5
	v_lshlrev_b64 v[5:6], 3, v[1:2]
	v_add_co_u32_e32 v10, vcc, s8, v10
	v_addc_co_u32_e32 v11, vcc, v18, v11, vcc
	v_mov_b32_e32 v20, s9
	v_add_co_u32_e32 v5, vcc, s8, v5
	v_addc_co_u32_e32 v6, vcc, v20, v6, vcc
	s_waitcnt vmcnt(0)
	v_fma_f32 v14, -v3, v12, v14
	v_fma_f32 v1, -v4, v12, v15
	v_fmac_f32_e32 v14, v4, v13
	v_fma_f32 v15, -v3, v13, v1
	global_store_dwordx2 v[16:17], v[14:15], off
	global_load_dwordx2 v[12:13], v[10:11], off
	s_nop 0
	global_load_dwordx2 v[14:15], v[5:6], off
	s_waitcnt vmcnt(0)
	v_fma_f32 v10, -v3, v12, v14
	v_fma_f32 v1, -v4, v12, v15
	v_fmac_f32_e32 v10, v4, v13
	v_fma_f32 v11, -v3, v13, v1
	v_mov_b32_e32 v1, s22
	global_store_dwordx2 v[5:6], v[10:11], off
	s_branch .LBB230_24
.LBB230_29:
	s_endpgm
	.section	.rodata,"a",@progbits
	.p2align	6, 0x0
	.amdhsa_kernel _ZN9rocsparseL19gtsv_LBM_rhs_kernelILj256ELj32ELj4E21rocsparse_complex_numIfEEEviiiPKT2_S5_S5_PS3_S5_PKi
		.amdhsa_group_segment_fixed_size 0
		.amdhsa_private_segment_fixed_size 0
		.amdhsa_kernarg_size 64
		.amdhsa_user_sgpr_count 6
		.amdhsa_user_sgpr_private_segment_buffer 1
		.amdhsa_user_sgpr_dispatch_ptr 0
		.amdhsa_user_sgpr_queue_ptr 0
		.amdhsa_user_sgpr_kernarg_segment_ptr 1
		.amdhsa_user_sgpr_dispatch_id 0
		.amdhsa_user_sgpr_flat_scratch_init 0
		.amdhsa_user_sgpr_private_segment_size 0
		.amdhsa_uses_dynamic_stack 0
		.amdhsa_system_sgpr_private_segment_wavefront_offset 0
		.amdhsa_system_sgpr_workgroup_id_x 1
		.amdhsa_system_sgpr_workgroup_id_y 1
		.amdhsa_system_sgpr_workgroup_id_z 0
		.amdhsa_system_sgpr_workgroup_info 0
		.amdhsa_system_vgpr_workitem_id 0
		.amdhsa_next_free_vgpr 61
		.amdhsa_next_free_sgpr 32
		.amdhsa_reserve_vcc 1
		.amdhsa_reserve_flat_scratch 0
		.amdhsa_float_round_mode_32 0
		.amdhsa_float_round_mode_16_64 0
		.amdhsa_float_denorm_mode_32 3
		.amdhsa_float_denorm_mode_16_64 3
		.amdhsa_dx10_clamp 1
		.amdhsa_ieee_mode 1
		.amdhsa_fp16_overflow 0
		.amdhsa_exception_fp_ieee_invalid_op 0
		.amdhsa_exception_fp_denorm_src 0
		.amdhsa_exception_fp_ieee_div_zero 0
		.amdhsa_exception_fp_ieee_overflow 0
		.amdhsa_exception_fp_ieee_underflow 0
		.amdhsa_exception_fp_ieee_inexact 0
		.amdhsa_exception_int_div_zero 0
	.end_amdhsa_kernel
	.section	.text._ZN9rocsparseL19gtsv_LBM_rhs_kernelILj256ELj32ELj4E21rocsparse_complex_numIfEEEviiiPKT2_S5_S5_PS3_S5_PKi,"axG",@progbits,_ZN9rocsparseL19gtsv_LBM_rhs_kernelILj256ELj32ELj4E21rocsparse_complex_numIfEEEviiiPKT2_S5_S5_PS3_S5_PKi,comdat
.Lfunc_end230:
	.size	_ZN9rocsparseL19gtsv_LBM_rhs_kernelILj256ELj32ELj4E21rocsparse_complex_numIfEEEviiiPKT2_S5_S5_PS3_S5_PKi, .Lfunc_end230-_ZN9rocsparseL19gtsv_LBM_rhs_kernelILj256ELj32ELj4E21rocsparse_complex_numIfEEEviiiPKT2_S5_S5_PS3_S5_PKi
                                        ; -- End function
	.set _ZN9rocsparseL19gtsv_LBM_rhs_kernelILj256ELj32ELj4E21rocsparse_complex_numIfEEEviiiPKT2_S5_S5_PS3_S5_PKi.num_vgpr, 61
	.set _ZN9rocsparseL19gtsv_LBM_rhs_kernelILj256ELj32ELj4E21rocsparse_complex_numIfEEEviiiPKT2_S5_S5_PS3_S5_PKi.num_agpr, 0
	.set _ZN9rocsparseL19gtsv_LBM_rhs_kernelILj256ELj32ELj4E21rocsparse_complex_numIfEEEviiiPKT2_S5_S5_PS3_S5_PKi.numbered_sgpr, 32
	.set _ZN9rocsparseL19gtsv_LBM_rhs_kernelILj256ELj32ELj4E21rocsparse_complex_numIfEEEviiiPKT2_S5_S5_PS3_S5_PKi.num_named_barrier, 0
	.set _ZN9rocsparseL19gtsv_LBM_rhs_kernelILj256ELj32ELj4E21rocsparse_complex_numIfEEEviiiPKT2_S5_S5_PS3_S5_PKi.private_seg_size, 0
	.set _ZN9rocsparseL19gtsv_LBM_rhs_kernelILj256ELj32ELj4E21rocsparse_complex_numIfEEEviiiPKT2_S5_S5_PS3_S5_PKi.uses_vcc, 1
	.set _ZN9rocsparseL19gtsv_LBM_rhs_kernelILj256ELj32ELj4E21rocsparse_complex_numIfEEEviiiPKT2_S5_S5_PS3_S5_PKi.uses_flat_scratch, 0
	.set _ZN9rocsparseL19gtsv_LBM_rhs_kernelILj256ELj32ELj4E21rocsparse_complex_numIfEEEviiiPKT2_S5_S5_PS3_S5_PKi.has_dyn_sized_stack, 0
	.set _ZN9rocsparseL19gtsv_LBM_rhs_kernelILj256ELj32ELj4E21rocsparse_complex_numIfEEEviiiPKT2_S5_S5_PS3_S5_PKi.has_recursion, 0
	.set _ZN9rocsparseL19gtsv_LBM_rhs_kernelILj256ELj32ELj4E21rocsparse_complex_numIfEEEviiiPKT2_S5_S5_PS3_S5_PKi.has_indirect_call, 0
	.section	.AMDGPU.csdata,"",@progbits
; Kernel info:
; codeLenInByte = 4380
; TotalNumSgprs: 36
; NumVgprs: 61
; ScratchSize: 0
; MemoryBound: 0
; FloatMode: 240
; IeeeMode: 1
; LDSByteSize: 0 bytes/workgroup (compile time only)
; SGPRBlocks: 4
; VGPRBlocks: 15
; NumSGPRsForWavesPerEU: 36
; NumVGPRsForWavesPerEU: 61
; Occupancy: 4
; WaveLimiterHint : 0
; COMPUTE_PGM_RSRC2:SCRATCH_EN: 0
; COMPUTE_PGM_RSRC2:USER_SGPR: 6
; COMPUTE_PGM_RSRC2:TRAP_HANDLER: 0
; COMPUTE_PGM_RSRC2:TGID_X_EN: 1
; COMPUTE_PGM_RSRC2:TGID_Y_EN: 1
; COMPUTE_PGM_RSRC2:TGID_Z_EN: 0
; COMPUTE_PGM_RSRC2:TIDIG_COMP_CNT: 0
	.section	.text._ZN9rocsparseL19gtsv_LBM_rhs_kernelILj256ELj32ELj2E21rocsparse_complex_numIfEEEviiiPKT2_S5_S5_PS3_S5_PKi,"axG",@progbits,_ZN9rocsparseL19gtsv_LBM_rhs_kernelILj256ELj32ELj2E21rocsparse_complex_numIfEEEviiiPKT2_S5_S5_PS3_S5_PKi,comdat
	.globl	_ZN9rocsparseL19gtsv_LBM_rhs_kernelILj256ELj32ELj2E21rocsparse_complex_numIfEEEviiiPKT2_S5_S5_PS3_S5_PKi ; -- Begin function _ZN9rocsparseL19gtsv_LBM_rhs_kernelILj256ELj32ELj2E21rocsparse_complex_numIfEEEviiiPKT2_S5_S5_PS3_S5_PKi
	.p2align	8
	.type	_ZN9rocsparseL19gtsv_LBM_rhs_kernelILj256ELj32ELj2E21rocsparse_complex_numIfEEEviiiPKT2_S5_S5_PS3_S5_PKi,@function
_ZN9rocsparseL19gtsv_LBM_rhs_kernelILj256ELj32ELj2E21rocsparse_complex_numIfEEEviiiPKT2_S5_S5_PS3_S5_PKi: ; @_ZN9rocsparseL19gtsv_LBM_rhs_kernelILj256ELj32ELj2E21rocsparse_complex_numIfEEEviiiPKT2_S5_S5_PS3_S5_PKi
; %bb.0:
	s_load_dword s23, s[4:5], 0x0
	v_lshl_or_b32 v0, s6, 8, v0
	s_waitcnt lgkmcnt(0)
	s_lshr_b32 s22, s23, 5
	v_cmp_gt_i32_e32 vcc, s22, v0
	s_and_saveexec_b64 s[0:1], vcc
	s_cbranch_execz .LBB231_29
; %bb.1:
	s_load_dwordx4 s[8:11], s[4:5], 0x28
	s_load_dwordx2 s[16:17], s[4:5], 0x38
	s_cmp_lt_i32 s23, 1
	v_add_u32_e32 v17, s22, v0
	s_mul_i32 s24, s7, s23
	s_cbranch_scc1 .LBB231_21
; %bb.2:
	s_load_dwordx4 s[12:15], s[4:5], 0x10
	s_load_dwordx2 s[6:7], s[4:5], 0x20
	v_ashrrev_i32_e32 v1, 31, v0
	v_lshlrev_b64 v[1:2], 3, v[0:1]
	s_lshl_b32 s28, s24, 1
	s_waitcnt lgkmcnt(0)
	v_mov_b32_e32 v3, s15
	v_add_co_u32_e32 v1, vcc, s14, v1
	v_addc_co_u32_e32 v2, vcc, v3, v2, vcc
	global_load_dwordx2 v[5:6], v[1:2], off
	s_mul_i32 s25, s22, 31
	s_mul_i32 s26, s22, 30
	s_lshl_b32 s27, s22, 1
	v_add_u32_e32 v19, s22, v17
	s_add_i32 s29, s28, s23
	v_mov_b32_e32 v2, 0
	s_mov_b64 s[18:19], 0
	v_mov_b32_e32 v20, s7
	v_mov_b32_e32 v18, 0
	s_branch .LBB231_5
.LBB231_3:                              ;   in Loop: Header=BB231_5 Depth=1
	s_or_b64 exec, exec, s[4:5]
	v_fmac_f32_e32 v22, v3, v7
	v_fmac_f32_e32 v21, v4, v7
	v_mul_f32_e64 v1, v13, -v21
	v_mul_f32_e32 v3, v13, v22
	v_fmac_f32_e32 v1, v22, v10
	v_fmac_f32_e32 v3, v21, v10
	v_sub_f32_e32 v5, v11, v1
	v_sub_f32_e32 v6, v12, v3
	v_mov_b32_e32 v8, s22
.LBB231_4:                              ;   in Loop: Header=BB231_5 Depth=1
	s_or_b64 exec, exec, s[2:3]
	v_add_u32_e32 v18, v8, v18
	v_cmp_le_i32_e32 vcc, s23, v18
	s_or_b64 s[18:19], vcc, s[18:19]
	s_andn2_b64 exec, exec, s[18:19]
	s_cbranch_execz .LBB231_20
.LBB231_5:                              ; =>This Inner Loop Header: Depth=1
	v_add_u32_e32 v15, v18, v0
	v_ashrrev_i32_e32 v16, 31, v15
	v_lshlrev_b64 v[3:4], 3, v[15:16]
	v_cmp_gt_u32_e64 s[0:1], s25, v18
	v_add_co_u32_e32 v3, vcc, s6, v3
	v_addc_co_u32_e32 v4, vcc, v20, v4, vcc
	global_load_dwordx2 v[7:8], v[3:4], off
	v_mov_b32_e32 v3, 0
	v_mov_b32_e32 v4, 0
	s_and_saveexec_b64 s[2:3], s[0:1]
	s_cbranch_execz .LBB231_7
; %bb.6:                                ;   in Loop: Header=BB231_5 Depth=1
	v_add_u32_e32 v3, v17, v18
	v_ashrrev_i32_e32 v4, 31, v3
	v_lshlrev_b64 v[3:4], 3, v[3:4]
	v_mov_b32_e32 v1, s13
	v_add_co_u32_e32 v3, vcc, s12, v3
	v_addc_co_u32_e32 v4, vcc, v1, v4, vcc
	global_load_dwordx2 v[3:4], v[3:4], off
.LBB231_7:                              ;   in Loop: Header=BB231_5 Depth=1
	s_or_b64 exec, exec, s[2:3]
	v_mov_b32_e32 v9, 0
	v_mov_b32_e32 v11, 0
	;; [unrolled: 1-line block ×3, first 2 shown]
	s_and_saveexec_b64 s[2:3], s[0:1]
	s_cbranch_execz .LBB231_9
; %bb.8:                                ;   in Loop: Header=BB231_5 Depth=1
	v_add_u32_e32 v10, v17, v18
	v_ashrrev_i32_e32 v11, 31, v10
	v_lshlrev_b64 v[10:11], 3, v[10:11]
	v_mov_b32_e32 v1, s15
	v_add_co_u32_e32 v10, vcc, s14, v10
	v_addc_co_u32_e32 v11, vcc, v1, v11, vcc
	global_load_dwordx2 v[11:12], v[10:11], off
.LBB231_9:                              ;   in Loop: Header=BB231_5 Depth=1
	s_or_b64 exec, exec, s[2:3]
	v_mov_b32_e32 v10, 0
	s_and_saveexec_b64 s[2:3], s[0:1]
	s_cbranch_execz .LBB231_11
; %bb.10:                               ;   in Loop: Header=BB231_5 Depth=1
	v_add_u32_e32 v9, v17, v18
	v_ashrrev_i32_e32 v10, 31, v9
	v_lshlrev_b64 v[9:10], 3, v[9:10]
	v_mov_b32_e32 v1, s7
	v_add_co_u32_e32 v9, vcc, s6, v9
	v_addc_co_u32_e32 v10, vcc, v1, v10, vcc
	global_load_dwordx2 v[9:10], v[9:10], off
.LBB231_11:                             ;   in Loop: Header=BB231_5 Depth=1
	s_or_b64 exec, exec, s[2:3]
	v_cmp_gt_u32_e64 s[2:3], s26, v18
	v_mov_b32_e32 v13, 0
	v_mov_b32_e32 v14, 0
	s_and_saveexec_b64 s[4:5], s[2:3]
	s_cbranch_execz .LBB231_13
; %bb.12:                               ;   in Loop: Header=BB231_5 Depth=1
	v_add_u32_e32 v13, v19, v18
	v_ashrrev_i32_e32 v14, 31, v13
	v_lshlrev_b64 v[13:14], 3, v[13:14]
	v_mov_b32_e32 v1, s13
	v_add_co_u32_e32 v13, vcc, s12, v13
	v_addc_co_u32_e32 v14, vcc, v1, v14, vcc
	global_load_dwordx2 v[13:14], v[13:14], off
.LBB231_13:                             ;   in Loop: Header=BB231_5 Depth=1
	s_or_b64 exec, exec, s[4:5]
	v_lshlrev_b64 v[21:22], 2, v[15:16]
	v_mov_b32_e32 v1, s17
	v_add_co_u32_e32 v21, vcc, s16, v21
	v_addc_co_u32_e32 v22, vcc, v1, v22, vcc
	global_load_dword v16, v[21:22], off
	v_cmp_ne_u32_e32 vcc, s25, v18
	s_waitcnt vmcnt(1)
	v_mul_f32_e64 v22, v8, -v4
	v_mul_f32_e32 v21, v3, v8
	v_add_u32_e32 v1, s28, v15
	v_add_u32_e32 v15, s29, v15
	s_waitcnt vmcnt(0)
	v_cmp_ne_u32_e64 s[4:5], 1, v16
	s_and_b64 s[4:5], vcc, s[4:5]
	s_and_saveexec_b64 s[20:21], s[4:5]
	s_xor_b64 s[20:21], exec, s[20:21]
	s_cbranch_execz .LBB231_17
; %bb.14:                               ;   in Loop: Header=BB231_5 Depth=1
	v_lshlrev_b64 v[23:24], 3, v[1:2]
	v_mov_b32_e32 v16, v2
	v_mov_b32_e32 v1, s9
	v_add_co_u32_e32 v25, vcc, s8, v23
	v_lshlrev_b64 v[15:16], 3, v[15:16]
	v_addc_co_u32_e32 v26, vcc, v1, v24, vcc
	v_mul_f32_e32 v23, v5, v12
	v_add_co_u32_e32 v29, vcc, s8, v15
	v_mul_f32_e64 v15, v12, -v6
	v_fmac_f32_e32 v23, v6, v11
	v_fmac_f32_e32 v21, v4, v7
	;; [unrolled: 1-line block ×4, first 2 shown]
	v_sub_f32_e32 v21, v23, v21
	v_sub_f32_e32 v22, v15, v22
	v_mul_f32_e32 v23, v21, v21
	v_fmac_f32_e32 v23, v22, v22
	v_div_scale_f32 v24, s[4:5], v23, v23, 1.0
	v_addc_co_u32_e32 v30, vcc, v1, v16, vcc
	v_div_scale_f32 v35, vcc, 1.0, v23, 1.0
	v_add_u32_e32 v27, v17, v18
	v_add_u32_e32 v1, s28, v27
	v_lshlrev_b64 v[15:16], 3, v[1:2]
	v_mov_b32_e32 v1, s9
	v_add_co_u32_e64 v31, s[4:5], s8, v15
	v_addc_co_u32_e64 v32, s[4:5], v1, v16, s[4:5]
	v_add_u32_e32 v1, s29, v27
	v_lshlrev_b64 v[15:16], 3, v[1:2]
	v_rcp_f32_e32 v36, v24
	v_mov_b32_e32 v1, s9
	v_add_co_u32_e64 v33, s[4:5], s8, v15
	v_addc_co_u32_e64 v34, s[4:5], v1, v16, s[4:5]
	v_fma_f32 v1, -v24, v36, 1.0
	v_fmac_f32_e32 v36, v1, v36
	v_mul_f32_e32 v1, v35, v36
	v_fma_f32 v15, -v24, v1, v35
	v_fmac_f32_e32 v1, v15, v36
	v_fma_f32 v15, -v24, v1, v35
	global_load_dwordx2 v[27:28], v[25:26], off
	v_div_fmas_f32 v1, v15, v36, v1
	global_load_dwordx2 v[35:36], v[31:32], off
	v_fma_f32 v16, v22, 0, -v21
	v_fma_f32 v15, 0, v21, v22
	v_div_fixup_f32 v1, v1, v23, 1.0
	v_mul_f32_e32 v16, v16, v1
	v_mul_f32_e32 v15, v15, v1
	s_waitcnt vmcnt(1)
	v_mul_f32_e32 v23, v16, v27
	v_mul_f32_e64 v22, v16, -v28
	s_waitcnt vmcnt(0)
	v_mul_f32_e32 v24, v16, v35
	v_fmac_f32_e32 v23, v28, v15
	v_mul_f32_e64 v21, v16, -v36
	v_fmac_f32_e32 v24, v36, v15
	v_fmac_f32_e32 v22, v27, v15
	;; [unrolled: 1-line block ×3, first 2 shown]
	v_mul_f32_e32 v28, v11, v23
	v_mul_f32_e32 v35, v24, v7
	v_fmac_f32_e32 v28, v12, v22
	v_fmac_f32_e32 v35, v8, v21
	v_sub_f32_e32 v28, v28, v35
	global_load_dwordx2 v[35:36], v[29:30], off
	global_load_dwordx2 v[37:38], v[33:34], off
	v_mul_f32_e64 v1, v23, -v12
	v_mul_f32_e64 v27, v24, -v8
	v_fmac_f32_e32 v1, v11, v22
	v_fmac_f32_e32 v27, v7, v21
	v_sub_f32_e32 v27, v1, v27
	global_store_dwordx2 v[25:26], v[27:28], off
	s_waitcnt vmcnt(2)
	v_mul_f32_e32 v27, v16, v35
	v_mul_f32_e64 v25, v16, -v36
	v_fmac_f32_e32 v27, v36, v15
	v_fmac_f32_e32 v25, v35, v15
	s_waitcnt vmcnt(1)
	v_mul_f32_e32 v28, v16, v37
	v_mul_f32_e64 v1, v27, -v12
	v_mul_f32_e64 v26, v16, -v38
	v_fmac_f32_e32 v28, v38, v15
	v_fmac_f32_e32 v1, v11, v25
	v_mul_f32_e32 v11, v11, v27
	v_fmac_f32_e32 v26, v37, v15
	v_fmac_f32_e32 v11, v12, v25
	v_mul_f32_e64 v12, v28, -v8
	v_mul_f32_e32 v35, v28, v7
	v_fmac_f32_e32 v12, v7, v26
	v_fmac_f32_e32 v35, v8, v26
	v_sub_f32_e32 v7, v1, v12
	v_sub_f32_e32 v8, v11, v35
	global_store_dwordx2 v[29:30], v[7:8], off
	v_mul_f32_e64 v7, v23, -v3
	v_mul_f32_e32 v1, v4, v23
	v_fma_f32 v8, -v4, v22, v7
	v_mul_f32_e64 v7, v24, -v6
	v_mul_f32_e32 v11, v5, v24
	v_fma_f32 v1, -v3, v22, v1
	v_fmac_f32_e32 v7, v5, v21
	v_fmac_f32_e32 v11, v6, v21
	v_add_f32_e32 v7, v1, v7
	v_add_f32_e32 v8, v8, v11
	global_store_dwordx2 v[31:32], v[7:8], off
	v_mul_f32_e32 v1, v4, v27
	v_mul_f32_e64 v7, v27, -v3
	v_mul_f32_e64 v8, v28, -v6
	v_mul_f32_e32 v12, v5, v28
	v_fma_f32 v1, -v3, v25, v1
	v_fma_f32 v7, -v4, v25, v7
	v_fmac_f32_e32 v8, v5, v26
	v_fmac_f32_e32 v12, v6, v26
	v_add_f32_e32 v11, v1, v8
	v_add_f32_e32 v12, v7, v12
	v_mov_b32_e32 v7, 0
	v_mov_b32_e32 v1, 0
	global_store_dwordx2 v[33:34], v[11:12], off
	s_and_saveexec_b64 s[4:5], s[2:3]
	s_cbranch_execz .LBB231_16
; %bb.15:                               ;   in Loop: Header=BB231_5 Depth=1
	v_add_u32_e32 v7, v19, v18
	v_add_u32_e32 v1, s28, v7
	v_lshlrev_b64 v[11:12], 3, v[1:2]
	v_mov_b32_e32 v1, s9
	v_add_co_u32_e32 v11, vcc, s8, v11
	v_ashrrev_i32_e32 v8, 31, v7
	v_addc_co_u32_e32 v12, vcc, v1, v12, vcc
	v_add_u32_e32 v1, s29, v7
	v_lshlrev_b64 v[7:8], 3, v[7:8]
	v_mov_b32_e32 v29, s15
	v_add_co_u32_e32 v7, vcc, s14, v7
	v_addc_co_u32_e32 v8, vcc, v29, v8, vcc
	v_lshlrev_b64 v[29:30], 3, v[1:2]
	v_mov_b32_e32 v1, s9
	global_load_dwordx2 v[31:32], v[11:12], off
	global_load_dwordx2 v[33:34], v[7:8], off
	v_add_co_u32_e32 v7, vcc, s8, v29
	v_addc_co_u32_e32 v8, vcc, v1, v30, vcc
	global_load_dwordx2 v[29:30], v[7:8], off
	v_mul_f32_e32 v1, v4, v14
	v_mul_f32_e64 v35, v14, -v3
	v_mul_f32_e64 v36, v14, -v6
	v_mul_f32_e32 v37, v5, v14
	v_fma_f32 v1, -v3, v13, v1
	v_fma_f32 v3, -v4, v13, v35
	v_mul_f32_e64 v4, v6, -v14
	v_mul_f32_e32 v35, v6, v13
	v_fmac_f32_e32 v36, v5, v13
	v_fmac_f32_e32 v37, v6, v13
	;; [unrolled: 1-line block ×4, first 2 shown]
	v_mul_f32_e32 v5, v3, v23
	v_mul_f32_e64 v6, v23, -v1
	v_mul_f32_e64 v23, v24, -v37
	v_mul_f32_e32 v24, v36, v24
	v_mul_f32_e32 v13, v3, v27
	v_mul_f32_e64 v14, v27, -v1
	v_mul_f32_e64 v27, v28, -v37
	v_mul_f32_e32 v28, v36, v28
	v_fma_f32 v5, -v1, v22, v5
	v_fma_f32 v6, -v3, v22, v6
	v_mul_f32_e64 v22, v10, -v35
	v_mul_f32_e32 v10, v10, v4
	v_fmac_f32_e32 v23, v36, v21
	v_fmac_f32_e32 v24, v37, v21
	v_fma_f32 v1, -v1, v25, v13
	v_fma_f32 v3, -v3, v25, v14
	v_fmac_f32_e32 v27, v36, v26
	v_fmac_f32_e32 v28, v37, v26
	;; [unrolled: 1-line block ×4, first 2 shown]
	v_sub_f32_e32 v4, v5, v23
	v_sub_f32_e32 v5, v6, v24
	;; [unrolled: 1-line block ×4, first 2 shown]
	v_mul_f32_e64 v1, v16, -v10
	v_mul_f32_e32 v13, v16, v22
	v_fmac_f32_e32 v1, v22, v15
	v_fmac_f32_e32 v13, v10, v15
	s_waitcnt vmcnt(2)
	v_add_f32_e32 v3, v4, v31
	v_add_f32_e32 v4, v5, v32
	global_store_dwordx2 v[11:12], v[3:4], off
	s_waitcnt vmcnt(2)
	v_sub_f32_e32 v1, v33, v1
	s_waitcnt vmcnt(1)
	v_add_f32_e32 v3, v6, v29
	v_add_f32_e32 v4, v9, v30
	global_store_dwordx2 v[7:8], v[3:4], off
	v_sub_f32_e32 v7, v34, v13
.LBB231_16:                             ;   in Loop: Header=BB231_5 Depth=1
	s_or_b64 exec, exec, s[4:5]
	v_mov_b32_e32 v6, v7
	v_mov_b32_e32 v5, v1
                                        ; implicit-def: $vgpr7_vgpr8
                                        ; implicit-def: $vgpr3
                                        ; implicit-def: $vgpr11
                                        ; implicit-def: $vgpr22
                                        ; implicit-def: $vgpr21
                                        ; implicit-def: $vgpr15
.LBB231_17:                             ;   in Loop: Header=BB231_5 Depth=1
	s_or_saveexec_b64 s[2:3], s[20:21]
	v_mov_b32_e32 v8, s27
	s_xor_b64 exec, exec, s[2:3]
	s_cbranch_execz .LBB231_4
; %bb.18:                               ;   in Loop: Header=BB231_5 Depth=1
	v_mul_f32_e32 v8, v6, v6
	v_fmac_f32_e32 v8, v5, v5
	v_div_scale_f32 v9, s[4:5], v8, v8, 1.0
	v_rcp_f32_e32 v10, v9
	v_fma_f32 v13, -v9, v10, 1.0
	v_fmac_f32_e32 v10, v13, v10
	v_div_scale_f32 v13, vcc, 1.0, v8, 1.0
	v_mul_f32_e32 v14, v13, v10
	v_fma_f32 v16, -v9, v14, v13
	v_fmac_f32_e32 v14, v16, v10
	v_fma_f32 v9, -v9, v14, v13
	v_div_fmas_f32 v9, v9, v10, v14
	v_mov_b32_e32 v16, v2
	v_div_fixup_f32 v8, v9, v8, 1.0
	v_fma_f32 v9, 0, v6, v5
	v_fma_f32 v5, v5, 0, -v6
	v_mul_f32_e32 v13, v5, v8
	v_lshlrev_b64 v[5:6], 3, v[1:2]
	v_mov_b32_e32 v1, s9
	v_add_co_u32_e32 v23, vcc, s8, v5
	v_addc_co_u32_e32 v24, vcc, v1, v6, vcc
	v_mul_f32_e32 v10, v9, v8
	global_load_dwordx2 v[8:9], v[23:24], off
	s_waitcnt vmcnt(0)
	v_mul_f32_e64 v5, v13, -v9
	v_mul_f32_e32 v6, v13, v8
	v_fmac_f32_e32 v5, v8, v10
	v_fmac_f32_e32 v6, v9, v10
	v_lshlrev_b64 v[8:9], 3, v[15:16]
	v_add_co_u32_e32 v14, vcc, s8, v8
	v_addc_co_u32_e32 v15, vcc, v1, v9, vcc
	global_load_dwordx2 v[25:26], v[14:15], off
	s_waitcnt vmcnt(0)
	v_mul_f32_e64 v8, v13, -v26
	v_mul_f32_e32 v9, v13, v25
	v_fmac_f32_e32 v8, v25, v10
	v_fmac_f32_e32 v9, v26, v10
	global_store_dwordx2 v[23:24], v[5:6], off
	global_store_dwordx2 v[14:15], v[8:9], off
	s_and_saveexec_b64 s[4:5], s[0:1]
	s_cbranch_execz .LBB231_3
; %bb.19:                               ;   in Loop: Header=BB231_5 Depth=1
	v_add_u32_e32 v16, v17, v18
	v_add_u32_e32 v1, s28, v16
	v_lshlrev_b64 v[14:15], 3, v[1:2]
	v_mov_b32_e32 v1, s9
	v_add_co_u32_e32 v14, vcc, s8, v14
	v_addc_co_u32_e32 v15, vcc, v1, v15, vcc
	v_add_u32_e32 v1, s29, v16
	v_lshlrev_b64 v[25:26], 3, v[1:2]
	v_mov_b32_e32 v1, s9
	v_add_co_u32_e32 v25, vcc, s8, v25
	global_load_dwordx2 v[23:24], v[14:15], off
	v_addc_co_u32_e32 v26, vcc, v1, v26, vcc
	global_load_dwordx2 v[27:28], v[25:26], off
	s_waitcnt vmcnt(1)
	v_fma_f32 v1, -v4, v5, v24
	v_fma_f32 v23, -v3, v5, v23
	;; [unrolled: 1-line block ×3, first 2 shown]
	s_waitcnt vmcnt(0)
	v_fma_f32 v5, -v3, v8, v27
	v_fma_f32 v1, -v4, v8, v28
	v_fmac_f32_e32 v23, v4, v6
	v_fmac_f32_e32 v5, v4, v9
	v_fma_f32 v6, -v3, v9, v1
	global_store_dwordx2 v[14:15], v[23:24], off
	global_store_dwordx2 v[25:26], v[5:6], off
	s_branch .LBB231_3
.LBB231_20:
	s_or_b64 exec, exec, s[18:19]
	s_branch .LBB231_22
.LBB231_21:
	v_mov_b32_e32 v18, 0
.LBB231_22:
	v_subrev_u32_e32 v3, s22, v18
	v_add_u32_e32 v1, v3, v0
	v_ashrrev_i32_e32 v2, 31, v1
	v_lshlrev_b64 v[1:2], 2, v[1:2]
	s_waitcnt lgkmcnt(0)
	v_mov_b32_e32 v4, s17
	v_add_co_u32_e32 v1, vcc, s16, v1
	v_addc_co_u32_e32 v2, vcc, v4, v2, vcc
	s_waitcnt vmcnt(0)
	buffer_wbinvl1_vol
	global_load_dword v1, v[1:2], off
	s_waitcnt vmcnt(0)
	v_mul_lo_u32 v1, v1, s22
	v_sub_u32_e32 v7, v3, v1
	v_cmp_lt_i32_e32 vcc, -1, v7
	s_and_b64 exec, exec, vcc
	s_cbranch_execz .LBB231_29
; %bb.23:
	s_lshl_b32 s4, s24, 1
	s_add_i32 s5, s4, s23
	s_lshl_b32 s6, s22, 1
	s_mov_b64 s[0:1], 0
	v_mov_b32_e32 v8, s17
	v_mov_b32_e32 v9, s11
	;; [unrolled: 1-line block ×3, first 2 shown]
	s_branch .LBB231_25
.LBB231_24:                             ;   in Loop: Header=BB231_25 Depth=1
	s_or_b64 exec, exec, s[2:3]
	v_sub_u32_e32 v7, v7, v1
	v_cmp_gt_i32_e32 vcc, 0, v7
	s_or_b64 s[0:1], vcc, s[0:1]
	s_andn2_b64 exec, exec, s[0:1]
	s_cbranch_execz .LBB231_29
.LBB231_25:                             ; =>This Inner Loop Header: Depth=1
	v_add_u32_e32 v5, v7, v0
	v_ashrrev_i32_e32 v6, 31, v5
	s_waitcnt vmcnt(0)
	v_lshlrev_b64 v[3:4], 2, v[5:6]
	v_add_co_u32_e32 v3, vcc, s16, v3
	v_addc_co_u32_e32 v4, vcc, v8, v4, vcc
	global_load_dword v1, v[3:4], off
	v_lshlrev_b64 v[3:4], 3, v[5:6]
	v_add_co_u32_e32 v3, vcc, s10, v3
	v_addc_co_u32_e32 v4, vcc, v9, v4, vcc
	global_load_dwordx2 v[3:4], v[3:4], off
	s_waitcnt vmcnt(1)
	v_cmp_ne_u32_e32 vcc, 1, v1
	s_and_saveexec_b64 s[2:3], vcc
	s_xor_b64 s[2:3], exec, s[2:3]
	s_cbranch_execz .LBB231_27
; %bb.26:                               ;   in Loop: Header=BB231_25 Depth=1
	v_add_u32_e32 v6, v17, v7
	v_add_u32_e32 v1, s4, v6
	v_lshlrev_b64 v[10:11], 3, v[1:2]
	v_mov_b32_e32 v1, s9
	v_add_co_u32_e32 v10, vcc, s8, v10
	v_addc_co_u32_e32 v11, vcc, v1, v11, vcc
	v_add_u32_e32 v1, s5, v6
	v_lshlrev_b64 v[12:13], 3, v[1:2]
	v_add_u32_e32 v1, s4, v5
	v_lshlrev_b64 v[14:15], 3, v[1:2]
	v_mov_b32_e32 v1, s9
	v_add_co_u32_e32 v14, vcc, s8, v14
	v_addc_co_u32_e32 v15, vcc, v1, v15, vcc
	global_load_dwordx2 v[18:19], v[10:11], off
	global_load_dwordx2 v[20:21], v[14:15], off
	v_add_co_u32_e32 v10, vcc, s8, v12
	v_addc_co_u32_e32 v11, vcc, v1, v13, vcc
	v_add_u32_e32 v1, s5, v5
	v_lshlrev_b64 v[5:6], 3, v[1:2]
	v_mov_b32_e32 v12, s9
	v_add_co_u32_e32 v5, vcc, s8, v5
	v_addc_co_u32_e32 v6, vcc, v12, v6, vcc
	global_load_dwordx2 v[10:11], v[10:11], off
	v_mov_b32_e32 v22, s9
	s_waitcnt vmcnt(1)
	v_fma_f32 v12, -v3, v18, v20
	v_fma_f32 v1, -v4, v18, v21
	v_fmac_f32_e32 v12, v4, v19
	v_fma_f32 v13, -v3, v19, v1
	global_store_dwordx2 v[14:15], v[12:13], off
	global_load_dwordx2 v[12:13], v[5:6], off
	v_subrev_u32_e32 v1, s22, v7
	v_add_u32_e32 v14, v1, v0
	v_ashrrev_i32_e32 v15, 31, v14
	v_lshlrev_b64 v[15:16], 3, v[14:15]
	v_mov_b32_e32 v20, s11
	v_add_co_u32_e32 v15, vcc, s10, v15
	v_add_u32_e32 v1, s4, v14
	v_addc_co_u32_e32 v16, vcc, v20, v16, vcc
	v_lshlrev_b64 v[20:21], 3, v[1:2]
	global_load_dwordx2 v[15:16], v[15:16], off
	v_add_co_u32_e32 v20, vcc, s8, v20
	v_addc_co_u32_e32 v21, vcc, v22, v21, vcc
	s_waitcnt vmcnt(1)
	v_fma_f32 v12, -v3, v10, v12
	v_fma_f32 v1, -v4, v10, v13
	v_fmac_f32_e32 v12, v4, v11
	v_fma_f32 v13, -v3, v11, v1
	global_store_dwordx2 v[5:6], v[12:13], off
	global_load_dwordx2 v[3:4], v[20:21], off
	v_add_u32_e32 v1, s5, v14
	v_lshlrev_b64 v[5:6], 3, v[1:2]
	v_mov_b32_e32 v12, s9
	v_add_co_u32_e32 v5, vcc, s8, v5
	v_addc_co_u32_e32 v6, vcc, v12, v6, vcc
	s_waitcnt vmcnt(0)
	v_fma_f32 v3, -v15, v18, v3
	v_fma_f32 v1, -v16, v18, v4
	v_fmac_f32_e32 v3, v16, v19
	v_fma_f32 v4, -v15, v19, v1
	global_store_dwordx2 v[20:21], v[3:4], off
	global_load_dwordx2 v[3:4], v[5:6], off
	s_waitcnt vmcnt(0)
	v_fma_f32 v3, -v15, v10, v3
	v_fma_f32 v1, -v16, v10, v4
	v_fmac_f32_e32 v3, v16, v11
	v_fma_f32 v4, -v15, v11, v1
	global_store_dwordx2 v[5:6], v[3:4], off
                                        ; implicit-def: $vgpr5
                                        ; implicit-def: $vgpr3_vgpr4
.LBB231_27:                             ;   in Loop: Header=BB231_25 Depth=1
	s_or_saveexec_b64 s[2:3], s[2:3]
	v_mov_b32_e32 v1, s6
	s_xor_b64 exec, exec, s[2:3]
	s_cbranch_execz .LBB231_24
; %bb.28:                               ;   in Loop: Header=BB231_25 Depth=1
	v_add_u32_e32 v6, v17, v7
	v_add_u32_e32 v1, s4, v6
	v_lshlrev_b64 v[10:11], 3, v[1:2]
	v_mov_b32_e32 v1, s9
	v_add_co_u32_e32 v10, vcc, s8, v10
	v_addc_co_u32_e32 v11, vcc, v1, v11, vcc
	v_add_u32_e32 v1, s4, v5
	v_lshlrev_b64 v[12:13], 3, v[1:2]
	v_mov_b32_e32 v1, s9
	v_add_co_u32_e32 v12, vcc, s8, v12
	v_addc_co_u32_e32 v13, vcc, v1, v13, vcc
	global_load_dwordx2 v[14:15], v[10:11], off
	global_load_dwordx2 v[18:19], v[12:13], off
	v_add_u32_e32 v1, s5, v6
	v_lshlrev_b64 v[10:11], 3, v[1:2]
	v_add_u32_e32 v1, s5, v5
	v_mov_b32_e32 v16, s9
	v_lshlrev_b64 v[5:6], 3, v[1:2]
	v_add_co_u32_e32 v10, vcc, s8, v10
	v_addc_co_u32_e32 v11, vcc, v16, v11, vcc
	v_mov_b32_e32 v20, s9
	v_add_co_u32_e32 v5, vcc, s8, v5
	v_addc_co_u32_e32 v6, vcc, v20, v6, vcc
	s_waitcnt vmcnt(0)
	v_fma_f32 v18, -v3, v14, v18
	v_fma_f32 v1, -v4, v14, v19
	v_fmac_f32_e32 v18, v4, v15
	v_fma_f32 v19, -v3, v15, v1
	global_store_dwordx2 v[12:13], v[18:19], off
	global_load_dwordx2 v[12:13], v[10:11], off
	s_nop 0
	global_load_dwordx2 v[14:15], v[5:6], off
	s_waitcnt vmcnt(0)
	v_fma_f32 v10, -v3, v12, v14
	v_fma_f32 v1, -v4, v12, v15
	v_fmac_f32_e32 v10, v4, v13
	v_fma_f32 v11, -v3, v13, v1
	v_mov_b32_e32 v1, s22
	global_store_dwordx2 v[5:6], v[10:11], off
	s_branch .LBB231_24
.LBB231_29:
	s_endpgm
	.section	.rodata,"a",@progbits
	.p2align	6, 0x0
	.amdhsa_kernel _ZN9rocsparseL19gtsv_LBM_rhs_kernelILj256ELj32ELj2E21rocsparse_complex_numIfEEEviiiPKT2_S5_S5_PS3_S5_PKi
		.amdhsa_group_segment_fixed_size 0
		.amdhsa_private_segment_fixed_size 0
		.amdhsa_kernarg_size 64
		.amdhsa_user_sgpr_count 6
		.amdhsa_user_sgpr_private_segment_buffer 1
		.amdhsa_user_sgpr_dispatch_ptr 0
		.amdhsa_user_sgpr_queue_ptr 0
		.amdhsa_user_sgpr_kernarg_segment_ptr 1
		.amdhsa_user_sgpr_dispatch_id 0
		.amdhsa_user_sgpr_flat_scratch_init 0
		.amdhsa_user_sgpr_private_segment_size 0
		.amdhsa_uses_dynamic_stack 0
		.amdhsa_system_sgpr_private_segment_wavefront_offset 0
		.amdhsa_system_sgpr_workgroup_id_x 1
		.amdhsa_system_sgpr_workgroup_id_y 1
		.amdhsa_system_sgpr_workgroup_id_z 0
		.amdhsa_system_sgpr_workgroup_info 0
		.amdhsa_system_vgpr_workitem_id 0
		.amdhsa_next_free_vgpr 39
		.amdhsa_next_free_sgpr 30
		.amdhsa_reserve_vcc 1
		.amdhsa_reserve_flat_scratch 0
		.amdhsa_float_round_mode_32 0
		.amdhsa_float_round_mode_16_64 0
		.amdhsa_float_denorm_mode_32 3
		.amdhsa_float_denorm_mode_16_64 3
		.amdhsa_dx10_clamp 1
		.amdhsa_ieee_mode 1
		.amdhsa_fp16_overflow 0
		.amdhsa_exception_fp_ieee_invalid_op 0
		.amdhsa_exception_fp_denorm_src 0
		.amdhsa_exception_fp_ieee_div_zero 0
		.amdhsa_exception_fp_ieee_overflow 0
		.amdhsa_exception_fp_ieee_underflow 0
		.amdhsa_exception_fp_ieee_inexact 0
		.amdhsa_exception_int_div_zero 0
	.end_amdhsa_kernel
	.section	.text._ZN9rocsparseL19gtsv_LBM_rhs_kernelILj256ELj32ELj2E21rocsparse_complex_numIfEEEviiiPKT2_S5_S5_PS3_S5_PKi,"axG",@progbits,_ZN9rocsparseL19gtsv_LBM_rhs_kernelILj256ELj32ELj2E21rocsparse_complex_numIfEEEviiiPKT2_S5_S5_PS3_S5_PKi,comdat
.Lfunc_end231:
	.size	_ZN9rocsparseL19gtsv_LBM_rhs_kernelILj256ELj32ELj2E21rocsparse_complex_numIfEEEviiiPKT2_S5_S5_PS3_S5_PKi, .Lfunc_end231-_ZN9rocsparseL19gtsv_LBM_rhs_kernelILj256ELj32ELj2E21rocsparse_complex_numIfEEEviiiPKT2_S5_S5_PS3_S5_PKi
                                        ; -- End function
	.set _ZN9rocsparseL19gtsv_LBM_rhs_kernelILj256ELj32ELj2E21rocsparse_complex_numIfEEEviiiPKT2_S5_S5_PS3_S5_PKi.num_vgpr, 39
	.set _ZN9rocsparseL19gtsv_LBM_rhs_kernelILj256ELj32ELj2E21rocsparse_complex_numIfEEEviiiPKT2_S5_S5_PS3_S5_PKi.num_agpr, 0
	.set _ZN9rocsparseL19gtsv_LBM_rhs_kernelILj256ELj32ELj2E21rocsparse_complex_numIfEEEviiiPKT2_S5_S5_PS3_S5_PKi.numbered_sgpr, 30
	.set _ZN9rocsparseL19gtsv_LBM_rhs_kernelILj256ELj32ELj2E21rocsparse_complex_numIfEEEviiiPKT2_S5_S5_PS3_S5_PKi.num_named_barrier, 0
	.set _ZN9rocsparseL19gtsv_LBM_rhs_kernelILj256ELj32ELj2E21rocsparse_complex_numIfEEEviiiPKT2_S5_S5_PS3_S5_PKi.private_seg_size, 0
	.set _ZN9rocsparseL19gtsv_LBM_rhs_kernelILj256ELj32ELj2E21rocsparse_complex_numIfEEEviiiPKT2_S5_S5_PS3_S5_PKi.uses_vcc, 1
	.set _ZN9rocsparseL19gtsv_LBM_rhs_kernelILj256ELj32ELj2E21rocsparse_complex_numIfEEEviiiPKT2_S5_S5_PS3_S5_PKi.uses_flat_scratch, 0
	.set _ZN9rocsparseL19gtsv_LBM_rhs_kernelILj256ELj32ELj2E21rocsparse_complex_numIfEEEviiiPKT2_S5_S5_PS3_S5_PKi.has_dyn_sized_stack, 0
	.set _ZN9rocsparseL19gtsv_LBM_rhs_kernelILj256ELj32ELj2E21rocsparse_complex_numIfEEEviiiPKT2_S5_S5_PS3_S5_PKi.has_recursion, 0
	.set _ZN9rocsparseL19gtsv_LBM_rhs_kernelILj256ELj32ELj2E21rocsparse_complex_numIfEEEviiiPKT2_S5_S5_PS3_S5_PKi.has_indirect_call, 0
	.section	.AMDGPU.csdata,"",@progbits
; Kernel info:
; codeLenInByte = 2872
; TotalNumSgprs: 34
; NumVgprs: 39
; ScratchSize: 0
; MemoryBound: 0
; FloatMode: 240
; IeeeMode: 1
; LDSByteSize: 0 bytes/workgroup (compile time only)
; SGPRBlocks: 4
; VGPRBlocks: 9
; NumSGPRsForWavesPerEU: 34
; NumVGPRsForWavesPerEU: 39
; Occupancy: 6
; WaveLimiterHint : 0
; COMPUTE_PGM_RSRC2:SCRATCH_EN: 0
; COMPUTE_PGM_RSRC2:USER_SGPR: 6
; COMPUTE_PGM_RSRC2:TRAP_HANDLER: 0
; COMPUTE_PGM_RSRC2:TGID_X_EN: 1
; COMPUTE_PGM_RSRC2:TGID_Y_EN: 1
; COMPUTE_PGM_RSRC2:TGID_Z_EN: 0
; COMPUTE_PGM_RSRC2:TIDIG_COMP_CNT: 0
	.section	.text._ZN9rocsparseL19gtsv_LBM_rhs_kernelILj256ELj32ELj1E21rocsparse_complex_numIfEEEviiiPKT2_S5_S5_PS3_S5_PKi,"axG",@progbits,_ZN9rocsparseL19gtsv_LBM_rhs_kernelILj256ELj32ELj1E21rocsparse_complex_numIfEEEviiiPKT2_S5_S5_PS3_S5_PKi,comdat
	.globl	_ZN9rocsparseL19gtsv_LBM_rhs_kernelILj256ELj32ELj1E21rocsparse_complex_numIfEEEviiiPKT2_S5_S5_PS3_S5_PKi ; -- Begin function _ZN9rocsparseL19gtsv_LBM_rhs_kernelILj256ELj32ELj1E21rocsparse_complex_numIfEEEviiiPKT2_S5_S5_PS3_S5_PKi
	.p2align	8
	.type	_ZN9rocsparseL19gtsv_LBM_rhs_kernelILj256ELj32ELj1E21rocsparse_complex_numIfEEEviiiPKT2_S5_S5_PS3_S5_PKi,@function
_ZN9rocsparseL19gtsv_LBM_rhs_kernelILj256ELj32ELj1E21rocsparse_complex_numIfEEEviiiPKT2_S5_S5_PS3_S5_PKi: ; @_ZN9rocsparseL19gtsv_LBM_rhs_kernelILj256ELj32ELj1E21rocsparse_complex_numIfEEEviiiPKT2_S5_S5_PS3_S5_PKi
; %bb.0:
	s_load_dword s24, s[4:5], 0x0
	v_lshl_or_b32 v0, s6, 8, v0
	s_waitcnt lgkmcnt(0)
	s_lshr_b32 s22, s24, 5
	v_cmp_gt_i32_e32 vcc, s22, v0
	s_and_saveexec_b64 s[0:1], vcc
	s_cbranch_execz .LBB232_29
; %bb.1:
	s_load_dwordx4 s[8:11], s[4:5], 0x28
	s_load_dwordx2 s[16:17], s[4:5], 0x38
	s_cmp_lt_i32 s24, 1
	s_mul_i32 s23, s24, s7
	s_cbranch_scc1 .LBB232_21
; %bb.2:
	s_load_dwordx4 s[12:15], s[4:5], 0x10
	s_load_dwordx2 s[6:7], s[4:5], 0x20
	v_ashrrev_i32_e32 v1, 31, v0
	v_lshlrev_b64 v[1:2], 3, v[0:1]
	v_add_u32_e32 v18, s22, v0
	s_waitcnt lgkmcnt(0)
	v_mov_b32_e32 v3, s15
	v_add_co_u32_e32 v1, vcc, s14, v1
	v_addc_co_u32_e32 v2, vcc, v3, v2, vcc
	global_load_dwordx2 v[5:6], v[1:2], off
	s_mul_i32 s25, s22, 31
	s_mul_i32 s26, s22, 30
	s_lshl_b32 s27, s22, 1
	v_add_u32_e32 v19, s22, v18
	v_add_u32_e32 v20, s23, v18
	v_mov_b32_e32 v2, 0
	s_mov_b64 s[18:19], 0
	v_mov_b32_e32 v21, s7
	v_mov_b32_e32 v17, 0
	s_branch .LBB232_5
.LBB232_3:                              ;   in Loop: Header=BB232_5 Depth=1
	s_or_b64 exec, exec, s[4:5]
	v_fmac_f32_e32 v22, v3, v9
	v_fmac_f32_e32 v16, v4, v9
	v_mul_f32_e64 v1, v8, -v16
	v_mul_f32_e32 v3, v8, v22
	v_fmac_f32_e32 v1, v22, v7
	v_fmac_f32_e32 v3, v16, v7
	v_sub_f32_e32 v5, v11, v1
	v_sub_f32_e32 v6, v12, v3
	v_mov_b32_e32 v7, s22
.LBB232_4:                              ;   in Loop: Header=BB232_5 Depth=1
	s_or_b64 exec, exec, s[2:3]
	v_add_u32_e32 v17, v7, v17
	v_cmp_le_i32_e32 vcc, s24, v17
	s_or_b64 s[18:19], vcc, s[18:19]
	s_andn2_b64 exec, exec, s[18:19]
	s_cbranch_execz .LBB232_20
.LBB232_5:                              ; =>This Inner Loop Header: Depth=1
	v_add_u32_e32 v15, v17, v0
	v_ashrrev_i32_e32 v16, 31, v15
	v_lshlrev_b64 v[3:4], 3, v[15:16]
	v_cmp_gt_u32_e64 s[0:1], s25, v17
	v_add_co_u32_e32 v3, vcc, s6, v3
	v_addc_co_u32_e32 v4, vcc, v21, v4, vcc
	global_load_dwordx2 v[9:10], v[3:4], off
	v_add_u32_e32 v13, v18, v17
	v_mov_b32_e32 v3, 0
	v_mov_b32_e32 v4, 0
	s_and_saveexec_b64 s[2:3], s[0:1]
	s_cbranch_execz .LBB232_7
; %bb.6:                                ;   in Loop: Header=BB232_5 Depth=1
	v_ashrrev_i32_e32 v14, 31, v13
	v_lshlrev_b64 v[3:4], 3, v[13:14]
	v_mov_b32_e32 v1, s13
	v_add_co_u32_e32 v3, vcc, s12, v3
	v_addc_co_u32_e32 v4, vcc, v1, v4, vcc
	global_load_dwordx2 v[3:4], v[3:4], off
.LBB232_7:                              ;   in Loop: Header=BB232_5 Depth=1
	s_or_b64 exec, exec, s[2:3]
	v_mov_b32_e32 v7, 0
	v_mov_b32_e32 v11, 0
	;; [unrolled: 1-line block ×3, first 2 shown]
	s_and_saveexec_b64 s[2:3], s[0:1]
	s_cbranch_execz .LBB232_9
; %bb.8:                                ;   in Loop: Header=BB232_5 Depth=1
	v_ashrrev_i32_e32 v14, 31, v13
	v_lshlrev_b64 v[11:12], 3, v[13:14]
	v_mov_b32_e32 v1, s15
	v_add_co_u32_e32 v11, vcc, s14, v11
	v_addc_co_u32_e32 v12, vcc, v1, v12, vcc
	global_load_dwordx2 v[11:12], v[11:12], off
.LBB232_9:                              ;   in Loop: Header=BB232_5 Depth=1
	s_or_b64 exec, exec, s[2:3]
	v_mov_b32_e32 v8, 0
	s_and_saveexec_b64 s[2:3], s[0:1]
	s_cbranch_execz .LBB232_11
; %bb.10:                               ;   in Loop: Header=BB232_5 Depth=1
	v_ashrrev_i32_e32 v14, 31, v13
	v_lshlrev_b64 v[7:8], 3, v[13:14]
	v_mov_b32_e32 v1, s7
	v_add_co_u32_e32 v7, vcc, s6, v7
	v_addc_co_u32_e32 v8, vcc, v1, v8, vcc
	global_load_dwordx2 v[7:8], v[7:8], off
.LBB232_11:                             ;   in Loop: Header=BB232_5 Depth=1
	s_or_b64 exec, exec, s[2:3]
	v_cmp_gt_u32_e64 s[2:3], s26, v17
	v_mov_b32_e32 v13, 0
	v_mov_b32_e32 v14, 0
	s_and_saveexec_b64 s[4:5], s[2:3]
	s_cbranch_execz .LBB232_13
; %bb.12:                               ;   in Loop: Header=BB232_5 Depth=1
	v_add_u32_e32 v13, v19, v17
	v_ashrrev_i32_e32 v14, 31, v13
	v_lshlrev_b64 v[13:14], 3, v[13:14]
	v_mov_b32_e32 v1, s13
	v_add_co_u32_e32 v13, vcc, s12, v13
	v_addc_co_u32_e32 v14, vcc, v1, v14, vcc
	global_load_dwordx2 v[13:14], v[13:14], off
.LBB232_13:                             ;   in Loop: Header=BB232_5 Depth=1
	s_or_b64 exec, exec, s[4:5]
	v_lshlrev_b64 v[22:23], 2, v[15:16]
	v_mov_b32_e32 v1, s17
	v_add_co_u32_e32 v22, vcc, s16, v22
	v_addc_co_u32_e32 v23, vcc, v1, v23, vcc
	global_load_dword v1, v[22:23], off
	v_cmp_ne_u32_e32 vcc, s25, v17
	s_waitcnt vmcnt(1)
	v_mul_f32_e64 v22, v10, -v4
	v_mul_f32_e32 v16, v3, v10
	s_waitcnt vmcnt(0)
	v_cmp_ne_u32_e64 s[4:5], 1, v1
	s_and_b64 s[4:5], vcc, s[4:5]
	v_add_u32_e32 v1, s23, v15
	s_and_saveexec_b64 s[20:21], s[4:5]
	s_xor_b64 s[4:5], exec, s[20:21]
	s_cbranch_execz .LBB232_17
; %bb.14:                               ;   in Loop: Header=BB232_5 Depth=1
	v_lshlrev_b64 v[23:24], 3, v[1:2]
	v_mov_b32_e32 v1, s9
	v_add_co_u32_e32 v26, vcc, s8, v23
	v_addc_co_u32_e32 v27, vcc, v1, v24, vcc
	v_add_u32_e32 v1, v20, v17
	v_lshlrev_b64 v[23:24], 3, v[1:2]
	v_mov_b32_e32 v15, s9
	v_add_co_u32_e32 v28, vcc, s8, v23
	v_addc_co_u32_e32 v29, vcc, v15, v24, vcc
	v_mul_f32_e32 v15, v5, v12
	v_mul_f32_e64 v1, v12, -v6
	v_fmac_f32_e32 v15, v6, v11
	v_fmac_f32_e32 v16, v4, v9
	;; [unrolled: 1-line block ×4, first 2 shown]
	v_sub_f32_e32 v15, v15, v16
	v_sub_f32_e32 v1, v1, v22
	v_mul_f32_e32 v16, v15, v15
	v_fmac_f32_e32 v16, v1, v1
	v_div_scale_f32 v22, s[20:21], v16, v16, 1.0
	v_rcp_f32_e32 v23, v22
	v_fma_f32 v24, -v22, v23, 1.0
	v_fmac_f32_e32 v23, v24, v23
	v_div_scale_f32 v24, vcc, 1.0, v16, 1.0
	v_mul_f32_e32 v25, v24, v23
	v_fma_f32 v30, -v22, v25, v24
	v_fmac_f32_e32 v25, v30, v23
	v_fma_f32 v22, -v22, v25, v24
	v_div_fmas_f32 v22, v22, v23, v25
	v_fma_f32 v23, 0, v15, v1
	v_fma_f32 v1, v1, 0, -v15
	global_load_dwordx2 v[30:31], v[28:29], off
	v_div_fixup_f32 v16, v22, v16, 1.0
	v_mul_f32_e32 v15, v23, v16
	global_load_dwordx2 v[23:24], v[26:27], off
	v_mul_f32_e32 v16, v1, v16
	s_waitcnt vmcnt(1)
	v_mul_f32_e32 v25, v16, v30
	v_fmac_f32_e32 v25, v31, v15
	s_waitcnt vmcnt(0)
	v_mul_f32_e64 v22, v16, -v24
	v_fmac_f32_e32 v22, v23, v15
	v_mul_f32_e32 v23, v16, v23
	v_fmac_f32_e32 v23, v24, v15
	v_mul_f32_e64 v1, v23, -v12
	v_mul_f32_e64 v24, v16, -v31
	v_fmac_f32_e32 v1, v11, v22
	v_mul_f32_e32 v11, v11, v23
	v_fmac_f32_e32 v24, v30, v15
	v_fmac_f32_e32 v11, v12, v22
	v_mul_f32_e64 v12, v25, -v10
	v_mul_f32_e32 v30, v25, v9
	v_fmac_f32_e32 v12, v9, v24
	v_fmac_f32_e32 v30, v10, v24
	v_sub_f32_e32 v9, v1, v12
	v_sub_f32_e32 v10, v11, v30
	global_store_dwordx2 v[26:27], v[9:10], off
	v_mul_f32_e64 v9, v23, -v3
	v_mul_f32_e32 v1, v4, v23
	v_fma_f32 v10, -v4, v22, v9
	v_mul_f32_e64 v9, v25, -v6
	v_mul_f32_e32 v11, v5, v25
	v_fma_f32 v1, -v3, v22, v1
	v_fmac_f32_e32 v9, v5, v24
	v_fmac_f32_e32 v11, v6, v24
	v_add_f32_e32 v9, v1, v9
	v_add_f32_e32 v10, v10, v11
	global_store_dwordx2 v[28:29], v[9:10], off
	v_mov_b32_e32 v1, 0
	v_mov_b32_e32 v9, 0
	s_and_saveexec_b64 s[20:21], s[2:3]
	s_cbranch_execz .LBB232_16
; %bb.15:                               ;   in Loop: Header=BB232_5 Depth=1
	v_add_u32_e32 v9, v19, v17
	v_add_u32_e32 v1, s23, v9
	v_lshlrev_b64 v[10:11], 3, v[1:2]
	v_mov_b32_e32 v1, s9
	v_add_co_u32_e32 v26, vcc, s8, v10
	v_ashrrev_i32_e32 v10, 31, v9
	v_lshlrev_b64 v[9:10], 3, v[9:10]
	v_addc_co_u32_e32 v27, vcc, v1, v11, vcc
	v_mov_b32_e32 v1, s15
	v_add_co_u32_e32 v9, vcc, s14, v9
	v_addc_co_u32_e32 v10, vcc, v1, v10, vcc
	global_load_dwordx2 v[11:12], v[26:27], off
	v_mul_f32_e32 v1, v4, v14
	global_load_dwordx2 v[9:10], v[9:10], off
	v_mul_f32_e64 v28, v14, -v3
	v_fma_f32 v1, -v3, v13, v1
	v_fma_f32 v3, -v4, v13, v28
	v_mul_f32_e64 v4, v6, -v14
	v_mul_f32_e32 v28, v6, v13
	v_mul_f32_e64 v29, v14, -v6
	v_mul_f32_e32 v30, v5, v14
	v_fmac_f32_e32 v4, v13, v5
	v_fmac_f32_e32 v28, v14, v5
	;; [unrolled: 1-line block ×4, first 2 shown]
	v_mul_f32_e32 v5, v3, v23
	v_mul_f32_e64 v6, v23, -v1
	v_mul_f32_e64 v23, v8, -v28
	v_mul_f32_e32 v8, v8, v4
	v_mul_f32_e64 v13, v25, -v30
	v_mul_f32_e32 v14, v29, v25
	v_fmac_f32_e32 v23, v4, v7
	v_fmac_f32_e32 v8, v28, v7
	v_fma_f32 v1, -v1, v22, v5
	v_fma_f32 v3, -v3, v22, v6
	v_fmac_f32_e32 v13, v29, v24
	v_fmac_f32_e32 v14, v30, v24
	v_mul_f32_e64 v5, v16, -v8
	v_mul_f32_e32 v6, v16, v23
	v_sub_f32_e32 v1, v1, v13
	v_sub_f32_e32 v4, v3, v14
	v_fmac_f32_e32 v5, v23, v15
	v_fmac_f32_e32 v6, v8, v15
	s_waitcnt vmcnt(1)
	v_add_f32_e32 v3, v1, v11
	v_add_f32_e32 v4, v4, v12
	s_waitcnt vmcnt(0)
	v_sub_f32_e32 v9, v9, v5
	v_sub_f32_e32 v1, v10, v6
	global_store_dwordx2 v[26:27], v[3:4], off
.LBB232_16:                             ;   in Loop: Header=BB232_5 Depth=1
	s_or_b64 exec, exec, s[20:21]
	v_mov_b32_e32 v6, v1
	v_mov_b32_e32 v5, v9
                                        ; implicit-def: $vgpr9_vgpr10
                                        ; implicit-def: $vgpr3
                                        ; implicit-def: $vgpr11
                                        ; implicit-def: $vgpr22
                                        ; implicit-def: $vgpr16
.LBB232_17:                             ;   in Loop: Header=BB232_5 Depth=1
	s_or_saveexec_b64 s[2:3], s[4:5]
	v_mov_b32_e32 v7, s27
	s_xor_b64 exec, exec, s[2:3]
	s_cbranch_execz .LBB232_4
; %bb.18:                               ;   in Loop: Header=BB232_5 Depth=1
	v_mul_f32_e32 v7, v6, v6
	v_fmac_f32_e32 v7, v5, v5
	v_div_scale_f32 v8, s[4:5], v7, v7, 1.0
	v_rcp_f32_e32 v10, v8
	v_fma_f32 v13, -v8, v10, 1.0
	v_fmac_f32_e32 v10, v13, v10
	v_div_scale_f32 v13, vcc, 1.0, v7, 1.0
	v_mul_f32_e32 v14, v13, v10
	v_fma_f32 v15, -v8, v14, v13
	v_fmac_f32_e32 v14, v15, v10
	v_fma_f32 v8, -v8, v14, v13
	v_div_fmas_f32 v8, v8, v10, v14
	v_div_fixup_f32 v8, v8, v7, 1.0
	v_fma_f32 v7, 0, v6, v5
	v_fma_f32 v5, v5, 0, -v6
	v_mul_f32_e32 v7, v7, v8
	v_mul_f32_e32 v8, v5, v8
	v_lshlrev_b64 v[5:6], 3, v[1:2]
	v_mov_b32_e32 v1, s9
	v_add_co_u32_e32 v13, vcc, s8, v5
	v_addc_co_u32_e32 v14, vcc, v1, v6, vcc
	global_load_dwordx2 v[23:24], v[13:14], off
	s_waitcnt vmcnt(0)
	v_mul_f32_e64 v5, v8, -v24
	v_mul_f32_e32 v6, v8, v23
	v_fmac_f32_e32 v5, v23, v7
	v_fmac_f32_e32 v6, v24, v7
	global_store_dwordx2 v[13:14], v[5:6], off
	s_and_saveexec_b64 s[4:5], s[0:1]
	s_cbranch_execz .LBB232_3
; %bb.19:                               ;   in Loop: Header=BB232_5 Depth=1
	v_add_u32_e32 v1, v20, v17
	v_lshlrev_b64 v[13:14], 3, v[1:2]
	v_mov_b32_e32 v1, s9
	v_add_co_u32_e32 v13, vcc, s8, v13
	v_addc_co_u32_e32 v14, vcc, v1, v14, vcc
	global_load_dwordx2 v[23:24], v[13:14], off
	s_waitcnt vmcnt(0)
	v_fma_f32 v23, -v3, v5, v23
	v_fma_f32 v1, -v4, v5, v24
	v_fmac_f32_e32 v23, v4, v6
	v_fma_f32 v24, -v3, v6, v1
	global_store_dwordx2 v[13:14], v[23:24], off
	s_branch .LBB232_3
.LBB232_20:
	s_or_b64 exec, exec, s[18:19]
	s_branch .LBB232_22
.LBB232_21:
	v_mov_b32_e32 v17, 0
.LBB232_22:
	v_subrev_u32_e32 v3, s22, v17
	v_add_u32_e32 v1, v3, v0
	v_ashrrev_i32_e32 v2, 31, v1
	v_lshlrev_b64 v[1:2], 2, v[1:2]
	s_waitcnt lgkmcnt(0)
	v_mov_b32_e32 v4, s17
	v_add_co_u32_e32 v1, vcc, s16, v1
	v_addc_co_u32_e32 v2, vcc, v4, v2, vcc
	s_waitcnt vmcnt(0)
	buffer_wbinvl1_vol
	global_load_dword v1, v[1:2], off
	s_waitcnt vmcnt(0)
	v_mul_lo_u32 v1, v1, s22
	v_sub_u32_e32 v7, v3, v1
	v_cmp_lt_i32_e32 vcc, -1, v7
	s_and_b64 exec, exec, vcc
	s_cbranch_execz .LBB232_29
; %bb.23:
	s_add_i32 s0, s23, s22
	v_add_u32_e32 v8, s0, v0
	s_lshl_b32 s4, s22, 1
	s_mov_b64 s[0:1], 0
	v_mov_b32_e32 v9, s17
	v_mov_b32_e32 v10, s11
	;; [unrolled: 1-line block ×3, first 2 shown]
	s_branch .LBB232_25
.LBB232_24:                             ;   in Loop: Header=BB232_25 Depth=1
	s_or_b64 exec, exec, s[2:3]
	v_sub_u32_e32 v7, v7, v1
	v_cmp_gt_i32_e32 vcc, 0, v7
	s_or_b64 s[0:1], vcc, s[0:1]
	s_andn2_b64 exec, exec, s[0:1]
	s_cbranch_execz .LBB232_29
.LBB232_25:                             ; =>This Inner Loop Header: Depth=1
	v_add_u32_e32 v5, v7, v0
	v_ashrrev_i32_e32 v6, 31, v5
	s_waitcnt vmcnt(0)
	v_lshlrev_b64 v[3:4], 2, v[5:6]
	v_add_co_u32_e32 v3, vcc, s16, v3
	v_addc_co_u32_e32 v4, vcc, v9, v4, vcc
	global_load_dword v1, v[3:4], off
	v_lshlrev_b64 v[3:4], 3, v[5:6]
	v_add_co_u32_e32 v3, vcc, s10, v3
	v_addc_co_u32_e32 v4, vcc, v10, v4, vcc
	global_load_dwordx2 v[3:4], v[3:4], off
	s_waitcnt vmcnt(1)
	v_cmp_ne_u32_e32 vcc, 1, v1
	s_and_saveexec_b64 s[2:3], vcc
	s_xor_b64 s[2:3], exec, s[2:3]
	s_cbranch_execz .LBB232_27
; %bb.26:                               ;   in Loop: Header=BB232_25 Depth=1
	v_add_u32_e32 v1, v8, v7
	v_lshlrev_b64 v[11:12], 3, v[1:2]
	v_mov_b32_e32 v1, s9
	v_add_co_u32_e32 v11, vcc, s8, v11
	v_addc_co_u32_e32 v12, vcc, v1, v12, vcc
	v_add_u32_e32 v1, s23, v5
	v_lshlrev_b64 v[5:6], 3, v[1:2]
	v_mov_b32_e32 v1, s9
	v_add_co_u32_e32 v5, vcc, s8, v5
	v_addc_co_u32_e32 v6, vcc, v1, v6, vcc
	global_load_dwordx2 v[13:14], v[11:12], off
	global_load_dwordx2 v[15:16], v[5:6], off
	v_subrev_u32_e32 v1, s22, v7
	v_add_u32_e32 v11, v1, v0
	v_ashrrev_i32_e32 v12, 31, v11
	v_add_u32_e32 v1, s23, v11
	v_lshlrev_b64 v[11:12], 3, v[11:12]
	v_mov_b32_e32 v19, s11
	v_lshlrev_b64 v[17:18], 3, v[1:2]
	v_add_co_u32_e32 v11, vcc, s10, v11
	v_addc_co_u32_e32 v12, vcc, v19, v12, vcc
	v_mov_b32_e32 v20, s9
	v_add_co_u32_e32 v17, vcc, s8, v17
	v_addc_co_u32_e32 v18, vcc, v20, v18, vcc
	global_load_dwordx2 v[11:12], v[11:12], off
	s_waitcnt vmcnt(1)
	v_fma_f32 v15, -v3, v13, v15
	v_fma_f32 v1, -v4, v13, v16
	v_fmac_f32_e32 v15, v4, v14
	v_fma_f32 v16, -v3, v14, v1
	global_store_dwordx2 v[5:6], v[15:16], off
	global_load_dwordx2 v[3:4], v[17:18], off
                                        ; implicit-def: $vgpr5
	s_waitcnt vmcnt(0)
	v_fma_f32 v3, -v11, v13, v3
	v_fma_f32 v1, -v12, v13, v4
	v_fmac_f32_e32 v3, v12, v14
	v_fma_f32 v4, -v11, v14, v1
	global_store_dwordx2 v[17:18], v[3:4], off
                                        ; implicit-def: $vgpr3_vgpr4
.LBB232_27:                             ;   in Loop: Header=BB232_25 Depth=1
	s_or_saveexec_b64 s[2:3], s[2:3]
	v_mov_b32_e32 v1, s4
	s_xor_b64 exec, exec, s[2:3]
	s_cbranch_execz .LBB232_24
; %bb.28:                               ;   in Loop: Header=BB232_25 Depth=1
	v_add_u32_e32 v1, v8, v7
	v_lshlrev_b64 v[11:12], 3, v[1:2]
	v_mov_b32_e32 v1, s9
	v_add_co_u32_e32 v11, vcc, s8, v11
	v_addc_co_u32_e32 v12, vcc, v1, v12, vcc
	v_add_u32_e32 v1, s23, v5
	v_lshlrev_b64 v[5:6], 3, v[1:2]
	v_mov_b32_e32 v1, s9
	v_add_co_u32_e32 v5, vcc, s8, v5
	v_addc_co_u32_e32 v6, vcc, v1, v6, vcc
	global_load_dwordx2 v[13:14], v[11:12], off
	global_load_dwordx2 v[15:16], v[5:6], off
	s_waitcnt vmcnt(0)
	v_fma_f32 v11, -v3, v13, v15
	v_fma_f32 v1, -v4, v13, v16
	v_fmac_f32_e32 v11, v4, v14
	v_fma_f32 v12, -v3, v14, v1
	v_mov_b32_e32 v1, s22
	global_store_dwordx2 v[5:6], v[11:12], off
	s_branch .LBB232_24
.LBB232_29:
	s_endpgm
	.section	.rodata,"a",@progbits
	.p2align	6, 0x0
	.amdhsa_kernel _ZN9rocsparseL19gtsv_LBM_rhs_kernelILj256ELj32ELj1E21rocsparse_complex_numIfEEEviiiPKT2_S5_S5_PS3_S5_PKi
		.amdhsa_group_segment_fixed_size 0
		.amdhsa_private_segment_fixed_size 0
		.amdhsa_kernarg_size 64
		.amdhsa_user_sgpr_count 6
		.amdhsa_user_sgpr_private_segment_buffer 1
		.amdhsa_user_sgpr_dispatch_ptr 0
		.amdhsa_user_sgpr_queue_ptr 0
		.amdhsa_user_sgpr_kernarg_segment_ptr 1
		.amdhsa_user_sgpr_dispatch_id 0
		.amdhsa_user_sgpr_flat_scratch_init 0
		.amdhsa_user_sgpr_private_segment_size 0
		.amdhsa_uses_dynamic_stack 0
		.amdhsa_system_sgpr_private_segment_wavefront_offset 0
		.amdhsa_system_sgpr_workgroup_id_x 1
		.amdhsa_system_sgpr_workgroup_id_y 1
		.amdhsa_system_sgpr_workgroup_id_z 0
		.amdhsa_system_sgpr_workgroup_info 0
		.amdhsa_system_vgpr_workitem_id 0
		.amdhsa_next_free_vgpr 32
		.amdhsa_next_free_sgpr 28
		.amdhsa_reserve_vcc 1
		.amdhsa_reserve_flat_scratch 0
		.amdhsa_float_round_mode_32 0
		.amdhsa_float_round_mode_16_64 0
		.amdhsa_float_denorm_mode_32 3
		.amdhsa_float_denorm_mode_16_64 3
		.amdhsa_dx10_clamp 1
		.amdhsa_ieee_mode 1
		.amdhsa_fp16_overflow 0
		.amdhsa_exception_fp_ieee_invalid_op 0
		.amdhsa_exception_fp_denorm_src 0
		.amdhsa_exception_fp_ieee_div_zero 0
		.amdhsa_exception_fp_ieee_overflow 0
		.amdhsa_exception_fp_ieee_underflow 0
		.amdhsa_exception_fp_ieee_inexact 0
		.amdhsa_exception_int_div_zero 0
	.end_amdhsa_kernel
	.section	.text._ZN9rocsparseL19gtsv_LBM_rhs_kernelILj256ELj32ELj1E21rocsparse_complex_numIfEEEviiiPKT2_S5_S5_PS3_S5_PKi,"axG",@progbits,_ZN9rocsparseL19gtsv_LBM_rhs_kernelILj256ELj32ELj1E21rocsparse_complex_numIfEEEviiiPKT2_S5_S5_PS3_S5_PKi,comdat
.Lfunc_end232:
	.size	_ZN9rocsparseL19gtsv_LBM_rhs_kernelILj256ELj32ELj1E21rocsparse_complex_numIfEEEviiiPKT2_S5_S5_PS3_S5_PKi, .Lfunc_end232-_ZN9rocsparseL19gtsv_LBM_rhs_kernelILj256ELj32ELj1E21rocsparse_complex_numIfEEEviiiPKT2_S5_S5_PS3_S5_PKi
                                        ; -- End function
	.set _ZN9rocsparseL19gtsv_LBM_rhs_kernelILj256ELj32ELj1E21rocsparse_complex_numIfEEEviiiPKT2_S5_S5_PS3_S5_PKi.num_vgpr, 32
	.set _ZN9rocsparseL19gtsv_LBM_rhs_kernelILj256ELj32ELj1E21rocsparse_complex_numIfEEEviiiPKT2_S5_S5_PS3_S5_PKi.num_agpr, 0
	.set _ZN9rocsparseL19gtsv_LBM_rhs_kernelILj256ELj32ELj1E21rocsparse_complex_numIfEEEviiiPKT2_S5_S5_PS3_S5_PKi.numbered_sgpr, 28
	.set _ZN9rocsparseL19gtsv_LBM_rhs_kernelILj256ELj32ELj1E21rocsparse_complex_numIfEEEviiiPKT2_S5_S5_PS3_S5_PKi.num_named_barrier, 0
	.set _ZN9rocsparseL19gtsv_LBM_rhs_kernelILj256ELj32ELj1E21rocsparse_complex_numIfEEEviiiPKT2_S5_S5_PS3_S5_PKi.private_seg_size, 0
	.set _ZN9rocsparseL19gtsv_LBM_rhs_kernelILj256ELj32ELj1E21rocsparse_complex_numIfEEEviiiPKT2_S5_S5_PS3_S5_PKi.uses_vcc, 1
	.set _ZN9rocsparseL19gtsv_LBM_rhs_kernelILj256ELj32ELj1E21rocsparse_complex_numIfEEEviiiPKT2_S5_S5_PS3_S5_PKi.uses_flat_scratch, 0
	.set _ZN9rocsparseL19gtsv_LBM_rhs_kernelILj256ELj32ELj1E21rocsparse_complex_numIfEEEviiiPKT2_S5_S5_PS3_S5_PKi.has_dyn_sized_stack, 0
	.set _ZN9rocsparseL19gtsv_LBM_rhs_kernelILj256ELj32ELj1E21rocsparse_complex_numIfEEEviiiPKT2_S5_S5_PS3_S5_PKi.has_recursion, 0
	.set _ZN9rocsparseL19gtsv_LBM_rhs_kernelILj256ELj32ELj1E21rocsparse_complex_numIfEEEviiiPKT2_S5_S5_PS3_S5_PKi.has_indirect_call, 0
	.section	.AMDGPU.csdata,"",@progbits
; Kernel info:
; codeLenInByte = 2076
; TotalNumSgprs: 32
; NumVgprs: 32
; ScratchSize: 0
; MemoryBound: 0
; FloatMode: 240
; IeeeMode: 1
; LDSByteSize: 0 bytes/workgroup (compile time only)
; SGPRBlocks: 3
; VGPRBlocks: 7
; NumSGPRsForWavesPerEU: 32
; NumVGPRsForWavesPerEU: 32
; Occupancy: 8
; WaveLimiterHint : 0
; COMPUTE_PGM_RSRC2:SCRATCH_EN: 0
; COMPUTE_PGM_RSRC2:USER_SGPR: 6
; COMPUTE_PGM_RSRC2:TRAP_HANDLER: 0
; COMPUTE_PGM_RSRC2:TGID_X_EN: 1
; COMPUTE_PGM_RSRC2:TGID_Y_EN: 1
; COMPUTE_PGM_RSRC2:TGID_Z_EN: 0
; COMPUTE_PGM_RSRC2:TIDIG_COMP_CNT: 0
	.section	.text._ZN9rocsparseL29gtsv_spike_block_level_kernelILj256ELj32E21rocsparse_complex_numIfEEEviiiPT1_PKS3_S6_S4_S4_S4_S4_S4_,"axG",@progbits,_ZN9rocsparseL29gtsv_spike_block_level_kernelILj256ELj32E21rocsparse_complex_numIfEEEviiiPT1_PKS3_S6_S4_S4_S4_S4_S4_,comdat
	.globl	_ZN9rocsparseL29gtsv_spike_block_level_kernelILj256ELj32E21rocsparse_complex_numIfEEEviiiPT1_PKS3_S6_S4_S4_S4_S4_S4_ ; -- Begin function _ZN9rocsparseL29gtsv_spike_block_level_kernelILj256ELj32E21rocsparse_complex_numIfEEEviiiPT1_PKS3_S6_S4_S4_S4_S4_S4_
	.p2align	8
	.type	_ZN9rocsparseL29gtsv_spike_block_level_kernelILj256ELj32E21rocsparse_complex_numIfEEEviiiPT1_PKS3_S6_S4_S4_S4_S4_S4_,@function
_ZN9rocsparseL29gtsv_spike_block_level_kernelILj256ELj32E21rocsparse_complex_numIfEEEviiiPT1_PKS3_S6_S4_S4_S4_S4_S4_: ; @_ZN9rocsparseL29gtsv_spike_block_level_kernelILj256ELj32E21rocsparse_complex_numIfEEEviiiPT1_PKS3_S6_S4_S4_S4_S4_S4_
; %bb.0:
	s_load_dword s12, s[4:5], 0x0
	s_load_dwordx2 s[8:9], s[4:5], 0x18
	v_lshl_or_b32 v1, s6, 8, v0
	v_mov_b32_e32 v3, 0
	v_mov_b32_e32 v4, 0
	s_waitcnt lgkmcnt(0)
	s_lshr_b32 s20, s12, 5
	v_cmp_gt_i32_e64 s[0:1], s20, v1
	v_mov_b32_e32 v5, 0
	s_and_saveexec_b64 s[2:3], s[0:1]
	s_cbranch_execz .LBB233_2
; %bb.1:
	v_ashrrev_i32_e32 v2, 31, v1
	v_lshlrev_b64 v[4:5], 3, v[1:2]
	v_mov_b32_e32 v2, s9
	v_add_co_u32_e32 v4, vcc, s8, v4
	v_addc_co_u32_e32 v5, vcc, v2, v5, vcc
	global_load_dwordx2 v[4:5], v[4:5], off
.LBB233_2:
	s_or_b64 exec, exec, s[2:3]
	s_load_dwordx2 s[2:3], s[4:5], 0x20
	v_lshlrev_b32_e32 v8, 3, v0
	v_or_b32_e32 v9, 0x1000, v8
	s_waitcnt vmcnt(0)
	ds_write_b64 v8, v[4:5] offset:4096
	v_mov_b32_e32 v4, 0
	s_and_saveexec_b64 s[10:11], s[0:1]
	s_cbranch_execz .LBB233_4
; %bb.3:
	v_mad_u64_u32 v[2:3], s[14:15], s20, 31, v[1:2]
	v_mov_b32_e32 v3, 0
	v_mov_b32_e32 v4, s9
	v_lshlrev_b64 v[2:3], 3, v[2:3]
	v_add_co_u32_e32 v2, vcc, s8, v2
	v_addc_co_u32_e32 v3, vcc, v4, v3, vcc
	global_load_dwordx2 v[3:4], v[2:3], off
.LBB233_4:
	s_or_b64 exec, exec, s[10:11]
	s_waitcnt vmcnt(0)
	ds_write_b64 v9, v[3:4] offset:2048
	v_mov_b32_e32 v3, 0
	v_mov_b32_e32 v4, 0
	v_mov_b32_e32 v5, 0
	s_and_saveexec_b64 s[8:9], s[0:1]
	s_cbranch_execz .LBB233_6
; %bb.5:
	v_ashrrev_i32_e32 v2, 31, v1
	v_lshlrev_b64 v[4:5], 3, v[1:2]
	s_waitcnt lgkmcnt(0)
	v_mov_b32_e32 v2, s3
	v_add_co_u32_e32 v4, vcc, s2, v4
	v_addc_co_u32_e32 v5, vcc, v2, v5, vcc
	global_load_dwordx2 v[4:5], v[4:5], off
.LBB233_6:
	s_or_b64 exec, exec, s[8:9]
	s_load_dwordx2 s[16:17], s[4:5], 0x10
	s_waitcnt vmcnt(0)
	ds_write_b64 v8, v[4:5]
	v_mov_b32_e32 v4, 0
	s_and_saveexec_b64 s[8:9], s[0:1]
	s_cbranch_execz .LBB233_8
; %bb.7:
	v_mad_u64_u32 v[2:3], s[10:11], s20, 31, v[1:2]
	v_mov_b32_e32 v3, 0
	s_waitcnt lgkmcnt(0)
	v_mov_b32_e32 v4, s3
	v_lshlrev_b64 v[2:3], 3, v[2:3]
	v_add_co_u32_e32 v2, vcc, s2, v2
	v_addc_co_u32_e32 v3, vcc, v4, v3, vcc
	global_load_dwordx2 v[3:4], v[2:3], off
.LBB233_8:
	s_or_b64 exec, exec, s[8:9]
	s_mul_i32 s22, s12, s7
	s_waitcnt vmcnt(0)
	ds_write_b64 v8, v[3:4] offset:2048
	v_mov_b32_e32 v5, 0
	v_add_u32_e32 v3, s22, v1
	v_mov_b32_e32 v6, 0
	v_mov_b32_e32 v7, 0
	s_waitcnt lgkmcnt(0)
	s_and_saveexec_b64 s[2:3], s[0:1]
	s_cbranch_execz .LBB233_10
; %bb.9:
	v_ashrrev_i32_e32 v4, 31, v3
	v_lshlrev_b64 v[6:7], 3, v[3:4]
	v_mov_b32_e32 v2, s17
	v_add_co_u32_e32 v6, vcc, s16, v6
	v_addc_co_u32_e32 v7, vcc, v2, v7, vcc
	global_load_dwordx2 v[6:7], v[6:7], off
.LBB233_10:
	s_or_b64 exec, exec, s[2:3]
	s_load_dwordx2 s[2:3], s[4:5], 0x48
	s_load_dwordx8 s[8:15], s[4:5], 0x28
	v_or_b32_e32 v10, 0x2000, v8
	s_waitcnt vmcnt(0)
	ds_write_b64 v8, v[6:7] offset:8192
	s_mul_i32 s21, s20, 31
	v_mov_b32_e32 v6, 0
	s_and_saveexec_b64 s[18:19], s[0:1]
	s_cbranch_execz .LBB233_12
; %bb.11:
	s_mul_i32 s23, s20, 31
	s_add_i32 s23, s23, s22
	v_add_u32_e32 v4, s23, v1
	v_mov_b32_e32 v5, 0
	v_lshlrev_b64 v[4:5], 3, v[4:5]
	v_mov_b32_e32 v2, s17
	v_add_co_u32_e32 v4, vcc, s16, v4
	v_addc_co_u32_e32 v5, vcc, v2, v5, vcc
	global_load_dwordx2 v[5:6], v[4:5], off
.LBB233_12:
	s_or_b64 exec, exec, s[18:19]
	s_mov_b32 s22, 2
	s_waitcnt vmcnt(0)
	ds_write_b64 v10, v[5:6] offset:2048
	s_waitcnt lgkmcnt(0)
	s_barrier
	s_branch .LBB233_14
.LBB233_13:                             ;   in Loop: Header=BB233_14 Depth=1
	s_or_b64 exec, exec, s[18:19]
	s_lshl_b32 s18, s22, 1
	s_cmpk_lt_u32 s22, 0x81
	s_mov_b32 s22, s18
	s_waitcnt lgkmcnt(0)
	s_barrier
	s_cbranch_scc0 .LBB233_16
.LBB233_14:                             ; =>This Inner Loop Header: Depth=1
	s_ff1_i32_b32 s18, s22
	s_lshr_b32 s18, 0x100, s18
	v_cmp_gt_u32_e32 vcc, s18, v0
	s_and_saveexec_b64 s[18:19], vcc
	s_cbranch_execz .LBB233_13
; %bb.15:                               ;   in Loop: Header=BB233_14 Depth=1
	v_mul_lo_u32 v2, s22, v0
	s_lshr_b32 s23, s22, 1
	v_add_u32_e32 v15, s23, v2
	v_lshlrev_b32_e32 v23, 3, v15
	v_add_u32_e32 v24, 0x1000, v23
	ds_read2_b64 v[4:7], v23 offset1:255
	ds_read2_b64 v[11:14], v24 offset1:255
	v_add_u32_e32 v30, 0x2000, v23
	v_add_lshl_u32 v29, v15, s23, 3
	v_lshlrev_b32_e32 v2, 3, v2
	ds_read_b64 v[19:20], v2
	s_waitcnt lgkmcnt(1)
	v_mul_f32_e64 v16, v7, -v12
	v_mul_f32_e32 v21, v7, v11
	v_fmac_f32_e32 v16, v11, v6
	v_fmac_f32_e32 v21, v12, v6
	v_sub_f32_e32 v22, 1.0, v16
	v_mul_f32_e64 v25, -v21, -v21
	v_fmac_f32_e32 v25, v22, v22
	v_div_scale_f32 v26, s[24:25], v25, v25, 1.0
	v_div_scale_f32 v27, vcc, 1.0, v25, 1.0
	ds_read2_b64 v[15:18], v30 offset1:255
	v_sub_f32_e32 v21, 0, v21
	v_rcp_f32_e32 v28, v26
	v_fma_f32 v31, -v26, v28, 1.0
	v_fmac_f32_e32 v28, v31, v28
	v_mul_f32_e32 v31, v27, v28
	v_fma_f32 v32, -v26, v31, v27
	v_fmac_f32_e32 v31, v32, v28
	v_fma_f32 v26, -v26, v31, v27
	v_div_fmas_f32 v26, v26, v28, v31
	s_waitcnt lgkmcnt(0)
	v_mul_f32_e64 v27, v16, -v7
	v_mul_f32_e32 v32, v12, v17
	v_mul_f32_e32 v28, v16, v6
	v_mul_f32_e64 v31, v12, -v18
	v_fmac_f32_e32 v27, v6, v15
	v_fmac_f32_e32 v32, v18, v11
	;; [unrolled: 1-line block ×4, first 2 shown]
	v_sub_f32_e32 v27, v17, v27
	v_sub_f32_e32 v32, v16, v32
	v_fma_f32 v16, v22, 0, -v21
	v_sub_f32_e32 v28, v18, v28
	v_sub_f32_e32 v31, v15, v31
	v_fma_f32 v15, 0, v21, v22
	v_div_fixup_f32 v17, v26, v25, 1.0
	v_mul_f32_e32 v26, v16, v17
	v_mul_f32_e32 v25, v15, v17
	v_mul_f32_e64 v15, v26, -v28
	v_mul_f32_e32 v16, v26, v27
	v_mul_f32_e64 v17, v26, -v32
	v_mul_f32_e32 v18, v26, v31
	v_fmac_f32_e32 v15, v27, v25
	v_fmac_f32_e32 v16, v28, v25
	;; [unrolled: 1-line block ×4, first 2 shown]
	ds_write2_b64 v30, v[17:18], v[15:16] offset1:255
	v_mul_f32_e64 v27, v18, -v20
	v_mul_f32_e32 v28, v18, v19
	v_mul_f32_e32 v18, v5, v6
	v_fmac_f32_e32 v27, v19, v17
	v_fmac_f32_e32 v28, v20, v17
	v_mul_f32_e64 v17, v5, -v7
	v_fmac_f32_e32 v18, v7, v4
	v_fmac_f32_e32 v17, v6, v4
	v_mul_f32_e32 v6, v26, v18
	v_mul_f32_e64 v7, v18, -v25
	v_fma_f32 v6, -v25, v17, v6
	v_fma_f32 v7, -v26, v17, v7
	v_mul_f32_e64 v17, v5, -v26
	v_mul_f32_e32 v18, v25, v5
	v_mul_f32_e32 v5, v12, v13
	v_fmac_f32_e32 v17, v25, v4
	v_fmac_f32_e32 v18, v26, v4
	v_mul_f32_e64 v4, v12, -v14
	v_fmac_f32_e32 v5, v14, v11
	ds_read_b64 v[15:16], v2 offset:8192
	ds_read_b64 v[21:22], v29 offset:6136
	ds_write2_b64 v23, v[17:18], v[6:7] offset1:255
	v_fmac_f32_e32 v4, v13, v11
	v_mul_f32_e32 v6, v26, v5
	v_mul_f32_e64 v5, v5, -v25
	v_fma_f32 v11, -v25, v4, v6
	v_fma_f32 v12, -v26, v4, v5
	v_mul_f32_e64 v4, v14, -v26
	v_mul_f32_e32 v5, v25, v14
	v_fmac_f32_e32 v4, v25, v13
	v_fmac_f32_e32 v5, v26, v13
	ds_write2_b64 v24, v[11:12], v[4:5] offset1:255
	ds_read2st64_b64 v[4:7], v2 offset1:8
	s_waitcnt lgkmcnt(4)
	v_sub_f32_e32 v13, v15, v27
	v_sub_f32_e32 v14, v16, v28
	ds_write_b64 v2, v[13:14] offset:8192
	ds_read_b64 v[13:14], v23 offset:10232
	s_waitcnt lgkmcnt(2)
	v_mul_f32_e64 v15, v12, -v5
	v_mul_f32_e32 v12, v12, v4
	v_fmac_f32_e32 v15, v4, v11
	v_fmac_f32_e32 v12, v5, v11
	v_mul_f32_e32 v11, v18, v5
	v_fma_f32 v11, -v4, v17, v11
	v_mul_f32_e64 v4, v18, -v4
	v_sub_f32_e32 v6, v6, v15
	v_sub_f32_e32 v7, v7, v12
	v_fma_f32 v12, -v5, v17, v4
	ds_write2st64_b64 v2, v[11:12], v[6:7] offset1:8
	ds_read_b64 v[4:5], v23 offset:2040
	ds_read_b64 v[6:7], v29 offset:2040
	;; [unrolled: 1-line block ×5, first 2 shown]
	s_waitcnt lgkmcnt(6)
	v_mul_f32_e64 v2, v14, -v22
	v_fmac_f32_e32 v2, v21, v13
	v_mul_f32_e32 v14, v14, v21
	v_fmac_f32_e32 v14, v22, v13
	s_waitcnt lgkmcnt(1)
	v_sub_f32_e32 v13, v15, v2
	s_waitcnt lgkmcnt(0)
	v_mul_f32_e64 v2, v18, -v5
	v_sub_f32_e32 v14, v16, v14
	v_fmac_f32_e32 v2, v4, v17
	ds_write_b64 v29, v[13:14] offset:10232
	v_mul_f32_e32 v13, v18, v4
	v_sub_f32_e32 v4, v6, v2
	v_mul_f32_e32 v2, v18, v12
	v_fmac_f32_e32 v13, v5, v17
	v_fma_f32 v6, -v17, v11, v2
	v_mul_f32_e64 v2, v12, -v17
	v_sub_f32_e32 v5, v7, v13
	v_fma_f32 v7, -v18, v11, v2
	v_add_u32_e32 v2, 0x1f8, v29
	ds_write2st64_b64 v2, v[4:5], v[6:7] offset0:3 offset1:11
	s_branch .LBB233_13
.LBB233_16:
	s_and_saveexec_b64 s[18:19], s[0:1]
	s_cbranch_execnz .LBB233_19
; %bb.17:
	s_or_b64 exec, exec, s[18:19]
	v_cmp_eq_u32_e32 vcc, 0, v0
	s_and_saveexec_b64 s[0:1], vcc
	s_cbranch_execnz .LBB233_23
.LBB233_18:
	s_endpgm
.LBB233_19:
	s_cmp_eq_u32 s7, 0
	s_cbranch_scc1 .LBB233_27
; %bb.20:
	s_mul_i32 s20, s20, 31
	s_cbranch_execnz .LBB233_22
.LBB233_21:
	v_ashrrev_i32_e32 v2, 31, v1
	v_lshlrev_b64 v[11:12], 3, v[1:2]
	ds_read2st64_b64 v[4:7], v9 offset1:4
	v_mov_b32_e32 v2, s9
	v_add_co_u32_e32 v13, vcc, s8, v11
	v_addc_co_u32_e32 v14, vcc, v2, v12, vcc
	v_add_u32_e32 v1, s21, v1
	v_mov_b32_e32 v2, 0
	v_lshlrev_b64 v[1:2], 3, v[1:2]
	s_waitcnt lgkmcnt(0)
	global_store_dwordx2 v[13:14], v[4:5], off
	v_mov_b32_e32 v5, s9
	v_add_co_u32_e32 v4, vcc, s8, v1
	v_addc_co_u32_e32 v5, vcc, v5, v2, vcc
	global_store_dwordx2 v[4:5], v[6:7], off
	ds_read2st64_b64 v[4:7], v8 offset1:4
	v_mov_b32_e32 v9, s11
	v_add_co_u32_e32 v8, vcc, s10, v11
	v_addc_co_u32_e32 v9, vcc, v9, v12, vcc
	s_waitcnt lgkmcnt(0)
	global_store_dwordx2 v[8:9], v[4:5], off
	v_mov_b32_e32 v4, s11
	v_add_co_u32_e32 v1, vcc, s10, v1
	v_addc_co_u32_e32 v2, vcc, v4, v2, vcc
	s_mov_b32 s20, s21
	global_store_dwordx2 v[1:2], v[6:7], off
.LBB233_22:
	v_ashrrev_i32_e32 v4, 31, v3
	v_lshlrev_b64 v[1:2], 3, v[3:4]
	ds_read2st64_b64 v[4:7], v10 offset1:4
	v_mov_b32_e32 v8, s17
	v_add_co_u32_e32 v1, vcc, s16, v1
	v_addc_co_u32_e32 v2, vcc, v8, v2, vcc
	s_waitcnt lgkmcnt(0)
	global_store_dwordx2 v[1:2], v[4:5], off
	v_add_u32_e32 v1, s20, v3
	v_mov_b32_e32 v2, 0
	v_lshlrev_b64 v[1:2], 3, v[1:2]
	v_mov_b32_e32 v3, s17
	v_add_co_u32_e32 v1, vcc, s16, v1
	v_addc_co_u32_e32 v2, vcc, v3, v2, vcc
	global_store_dwordx2 v[1:2], v[6:7], off
	s_or_b64 exec, exec, s[18:19]
	v_cmp_eq_u32_e32 vcc, 0, v0
	s_and_saveexec_b64 s[0:1], vcc
	s_cbranch_execz .LBB233_18
.LBB233_23:
	s_cmp_eq_u32 s7, 0
	s_cbranch_scc1 .LBB233_28
; %bb.24:
	s_load_dword s8, s[4:5], 0x50
	s_cbranch_execnz .LBB233_26
.LBB233_25:
	v_mov_b32_e32 v0, 0xff8
	ds_read2_b64 v[0:3], v0 offset1:1
	s_mov_b32 s0, s7
	s_ashr_i32 s7, s6, 31
	s_waitcnt lgkmcnt(0)
	s_load_dword s8, s[4:5], 0x50
	s_lshl_b64 s[10:11], s[6:7], 3
	s_mov_b32 s7, s0
	s_add_u32 s0, s14, s10
	s_addc_u32 s1, s15, s11
	v_mov_b32_e32 v6, 0
	ds_read_b64 v[4:5], v6
	global_store_dwordx2 v6, v[2:3], s[0:1]
	ds_read_b64 v[2:3], v6 offset:8184
	s_waitcnt lgkmcnt(0)
	s_add_i32 s0, s8, s6
	s_mov_b32 s1, 0
	s_lshl_b64 s[0:1], s[0:1], 3
	s_add_u32 s4, s14, s0
	s_addc_u32 s5, s15, s1
	global_store_dwordx2 v6, v[2:3], s[4:5]
	s_add_u32 s4, s2, s10
	s_addc_u32 s5, s3, s11
	s_add_u32 s0, s2, s0
	s_addc_u32 s1, s3, s1
	global_store_dwordx2 v6, v[4:5], s[4:5]
	global_store_dwordx2 v6, v[0:1], s[0:1]
.LBB233_26:
	s_waitcnt lgkmcnt(0)
	s_mul_i32 s0, s8, s7
	s_lshl_b32 s0, s0, 1
	s_add_i32 s0, s0, s6
	s_mov_b32 s1, 0
	v_mov_b32_e32 v4, 0
	s_lshl_b64 s[2:3], s[0:1], 3
	ds_read_b64 v[0:1], v4 offset:8192
	ds_read_b64 v[2:3], v4 offset:12280
	s_add_u32 s2, s12, s2
	s_addc_u32 s3, s13, s3
	s_add_i32 s0, s0, s8
	s_lshl_b64 s[0:1], s[0:1], 3
	s_add_u32 s0, s12, s0
	s_addc_u32 s1, s13, s1
	s_waitcnt lgkmcnt(1)
	global_store_dwordx2 v4, v[0:1], s[2:3]
	s_waitcnt lgkmcnt(0)
	global_store_dwordx2 v4, v[2:3], s[0:1]
	s_endpgm
.LBB233_27:
                                        ; implicit-def: $sgpr20
	s_branch .LBB233_21
.LBB233_28:
                                        ; implicit-def: $sgpr8
	s_branch .LBB233_25
	.section	.rodata,"a",@progbits
	.p2align	6, 0x0
	.amdhsa_kernel _ZN9rocsparseL29gtsv_spike_block_level_kernelILj256ELj32E21rocsparse_complex_numIfEEEviiiPT1_PKS3_S6_S4_S4_S4_S4_S4_
		.amdhsa_group_segment_fixed_size 12288
		.amdhsa_private_segment_fixed_size 0
		.amdhsa_kernarg_size 336
		.amdhsa_user_sgpr_count 6
		.amdhsa_user_sgpr_private_segment_buffer 1
		.amdhsa_user_sgpr_dispatch_ptr 0
		.amdhsa_user_sgpr_queue_ptr 0
		.amdhsa_user_sgpr_kernarg_segment_ptr 1
		.amdhsa_user_sgpr_dispatch_id 0
		.amdhsa_user_sgpr_flat_scratch_init 0
		.amdhsa_user_sgpr_private_segment_size 0
		.amdhsa_uses_dynamic_stack 0
		.amdhsa_system_sgpr_private_segment_wavefront_offset 0
		.amdhsa_system_sgpr_workgroup_id_x 1
		.amdhsa_system_sgpr_workgroup_id_y 1
		.amdhsa_system_sgpr_workgroup_id_z 0
		.amdhsa_system_sgpr_workgroup_info 0
		.amdhsa_system_vgpr_workitem_id 0
		.amdhsa_next_free_vgpr 41
		.amdhsa_next_free_sgpr 98
		.amdhsa_reserve_vcc 1
		.amdhsa_reserve_flat_scratch 0
		.amdhsa_float_round_mode_32 0
		.amdhsa_float_round_mode_16_64 0
		.amdhsa_float_denorm_mode_32 3
		.amdhsa_float_denorm_mode_16_64 3
		.amdhsa_dx10_clamp 1
		.amdhsa_ieee_mode 1
		.amdhsa_fp16_overflow 0
		.amdhsa_exception_fp_ieee_invalid_op 0
		.amdhsa_exception_fp_denorm_src 0
		.amdhsa_exception_fp_ieee_div_zero 0
		.amdhsa_exception_fp_ieee_overflow 0
		.amdhsa_exception_fp_ieee_underflow 0
		.amdhsa_exception_fp_ieee_inexact 0
		.amdhsa_exception_int_div_zero 0
	.end_amdhsa_kernel
	.section	.text._ZN9rocsparseL29gtsv_spike_block_level_kernelILj256ELj32E21rocsparse_complex_numIfEEEviiiPT1_PKS3_S6_S4_S4_S4_S4_S4_,"axG",@progbits,_ZN9rocsparseL29gtsv_spike_block_level_kernelILj256ELj32E21rocsparse_complex_numIfEEEviiiPT1_PKS3_S6_S4_S4_S4_S4_S4_,comdat
.Lfunc_end233:
	.size	_ZN9rocsparseL29gtsv_spike_block_level_kernelILj256ELj32E21rocsparse_complex_numIfEEEviiiPT1_PKS3_S6_S4_S4_S4_S4_S4_, .Lfunc_end233-_ZN9rocsparseL29gtsv_spike_block_level_kernelILj256ELj32E21rocsparse_complex_numIfEEEviiiPT1_PKS3_S6_S4_S4_S4_S4_S4_
                                        ; -- End function
	.set _ZN9rocsparseL29gtsv_spike_block_level_kernelILj256ELj32E21rocsparse_complex_numIfEEEviiiPT1_PKS3_S6_S4_S4_S4_S4_S4_.num_vgpr, 33
	.set _ZN9rocsparseL29gtsv_spike_block_level_kernelILj256ELj32E21rocsparse_complex_numIfEEEviiiPT1_PKS3_S6_S4_S4_S4_S4_S4_.num_agpr, 0
	.set _ZN9rocsparseL29gtsv_spike_block_level_kernelILj256ELj32E21rocsparse_complex_numIfEEEviiiPT1_PKS3_S6_S4_S4_S4_S4_S4_.numbered_sgpr, 26
	.set _ZN9rocsparseL29gtsv_spike_block_level_kernelILj256ELj32E21rocsparse_complex_numIfEEEviiiPT1_PKS3_S6_S4_S4_S4_S4_S4_.num_named_barrier, 0
	.set _ZN9rocsparseL29gtsv_spike_block_level_kernelILj256ELj32E21rocsparse_complex_numIfEEEviiiPT1_PKS3_S6_S4_S4_S4_S4_S4_.private_seg_size, 0
	.set _ZN9rocsparseL29gtsv_spike_block_level_kernelILj256ELj32E21rocsparse_complex_numIfEEEviiiPT1_PKS3_S6_S4_S4_S4_S4_S4_.uses_vcc, 1
	.set _ZN9rocsparseL29gtsv_spike_block_level_kernelILj256ELj32E21rocsparse_complex_numIfEEEviiiPT1_PKS3_S6_S4_S4_S4_S4_S4_.uses_flat_scratch, 0
	.set _ZN9rocsparseL29gtsv_spike_block_level_kernelILj256ELj32E21rocsparse_complex_numIfEEEviiiPT1_PKS3_S6_S4_S4_S4_S4_S4_.has_dyn_sized_stack, 0
	.set _ZN9rocsparseL29gtsv_spike_block_level_kernelILj256ELj32E21rocsparse_complex_numIfEEEviiiPT1_PKS3_S6_S4_S4_S4_S4_S4_.has_recursion, 0
	.set _ZN9rocsparseL29gtsv_spike_block_level_kernelILj256ELj32E21rocsparse_complex_numIfEEEviiiPT1_PKS3_S6_S4_S4_S4_S4_S4_.has_indirect_call, 0
	.section	.AMDGPU.csdata,"",@progbits
; Kernel info:
; codeLenInByte = 1924
; TotalNumSgprs: 30
; NumVgprs: 33
; ScratchSize: 0
; MemoryBound: 0
; FloatMode: 240
; IeeeMode: 1
; LDSByteSize: 12288 bytes/workgroup (compile time only)
; SGPRBlocks: 12
; VGPRBlocks: 10
; NumSGPRsForWavesPerEU: 102
; NumVGPRsForWavesPerEU: 41
; Occupancy: 5
; WaveLimiterHint : 0
; COMPUTE_PGM_RSRC2:SCRATCH_EN: 0
; COMPUTE_PGM_RSRC2:USER_SGPR: 6
; COMPUTE_PGM_RSRC2:TRAP_HANDLER: 0
; COMPUTE_PGM_RSRC2:TGID_X_EN: 1
; COMPUTE_PGM_RSRC2:TGID_Y_EN: 1
; COMPUTE_PGM_RSRC2:TGID_Z_EN: 0
; COMPUTE_PGM_RSRC2:TIDIG_COMP_CNT: 0
	.section	.text._ZN9rocsparseL33gtsv_solve_spike_propagate_kernelILj256ELj32E21rocsparse_complex_numIfEEEviiiPT1_PKS3_S6_S6_,"axG",@progbits,_ZN9rocsparseL33gtsv_solve_spike_propagate_kernelILj256ELj32E21rocsparse_complex_numIfEEEviiiPT1_PKS3_S6_S6_,comdat
	.globl	_ZN9rocsparseL33gtsv_solve_spike_propagate_kernelILj256ELj32E21rocsparse_complex_numIfEEEviiiPT1_PKS3_S6_S6_ ; -- Begin function _ZN9rocsparseL33gtsv_solve_spike_propagate_kernelILj256ELj32E21rocsparse_complex_numIfEEEviiiPT1_PKS3_S6_S6_
	.p2align	8
	.type	_ZN9rocsparseL33gtsv_solve_spike_propagate_kernelILj256ELj32E21rocsparse_complex_numIfEEEviiiPT1_PKS3_S6_S6_,@function
_ZN9rocsparseL33gtsv_solve_spike_propagate_kernelILj256ELj32E21rocsparse_complex_numIfEEEviiiPT1_PKS3_S6_S6_: ; @_ZN9rocsparseL33gtsv_solve_spike_propagate_kernelILj256ELj32E21rocsparse_complex_numIfEEEviiiPT1_PKS3_S6_S6_
; %bb.0:
	s_load_dword s10, s[4:5], 0x0
	v_lshl_or_b32 v1, s6, 8, v0
	v_lshlrev_b32_e32 v6, 3, v0
	s_waitcnt lgkmcnt(0)
	s_lshr_b32 s14, s10, 5
	v_cmp_gt_i32_e32 vcc, s14, v1
	v_cmp_le_i32_e64 s[0:1], s14, v1
	s_and_saveexec_b64 s[2:3], s[0:1]
	s_xor_b64 s[2:3], exec, s[2:3]
; %bb.1:
	v_mov_b32_e32 v2, 0
	v_mov_b32_e32 v3, v2
	ds_write_b64 v6, v[2:3] offset:8208
; %bb.2:
	s_or_saveexec_b64 s[8:9], s[2:3]
	v_mov_b32_e32 v3, 0
	v_ashrrev_i32_e32 v2, 31, v1
	v_mov_b32_e32 v4, 0
	s_xor_b64 exec, exec, s[8:9]
	s_cbranch_execz .LBB234_4
; %bb.3:
	s_load_dwordx2 s[12:13], s[4:5], 0x18
	v_mad_u64_u32 v[7:8], s[2:3], s14, 31, v[1:2]
	v_lshlrev_b64 v[3:4], 3, v[1:2]
	v_mov_b32_e32 v8, 0
	s_waitcnt lgkmcnt(0)
	v_mov_b32_e32 v5, s13
	v_add_co_u32_e64 v9, s[2:3], s12, v3
	v_addc_co_u32_e64 v10, s[2:3], v5, v4, s[2:3]
	v_lshlrev_b64 v[3:4], 3, v[7:8]
	v_add_co_u32_e64 v7, s[2:3], s12, v3
	v_addc_co_u32_e64 v8, s[2:3], v5, v4, s[2:3]
	global_load_dwordx2 v[11:12], v[9:10], off
	global_load_dwordx2 v[3:4], v[7:8], off
	s_waitcnt vmcnt(1)
	ds_write_b64 v6, v[11:12] offset:8208
.LBB234_4:
	s_or_b64 exec, exec, s[8:9]
	s_load_dwordx2 s[2:3], s[4:5], 0x10
	s_waitcnt vmcnt(0)
	ds_write_b64 v6, v[3:4] offset:10256
	s_and_saveexec_b64 s[8:9], s[0:1]
	s_xor_b64 s[0:1], exec, s[8:9]
	s_cbranch_execz .LBB234_6
; %bb.5:
	s_mov_b32 s8, 0
	s_mov_b32 s9, s8
	v_mov_b32_e32 v2, s8
	v_mov_b32_e32 v3, s9
	v_add_u32_e32 v4, 16, v6
	ds_write2st64_b64 v4, v[2:3], v[2:3] offset0:8 offset1:12
.LBB234_6:
	s_or_saveexec_b64 s[8:9], s[0:1]
	v_mov_b32_e32 v3, 0
	s_mul_i32 s10, s10, s7
	v_mov_b32_e32 v5, 0
	v_mov_b32_e32 v4, 0
	s_xor_b64 exec, exec, s[8:9]
	s_cbranch_execz .LBB234_8
; %bb.7:
	s_load_dwordx2 s[12:13], s[4:5], 0x20
	v_mad_u64_u32 v[7:8], s[0:1], s14, 31, v[1:2]
	v_lshlrev_b64 v[4:5], 3, v[1:2]
	v_mov_b32_e32 v8, 0
	s_waitcnt lgkmcnt(0)
	v_mov_b32_e32 v2, s13
	v_add_co_u32_e64 v4, s[0:1], s12, v4
	v_lshlrev_b64 v[9:10], 3, v[7:8]
	v_addc_co_u32_e64 v5, s[0:1], v2, v5, s[0:1]
	v_add_co_u32_e64 v9, s[0:1], s12, v9
	v_add_u32_e32 v7, s10, v7
	v_addc_co_u32_e64 v10, s[0:1], v2, v10, s[0:1]
	global_load_dwordx2 v[11:12], v[4:5], off
	global_load_dwordx2 v[13:14], v[9:10], off
	v_lshlrev_b64 v[4:5], 3, v[7:8]
	v_mov_b32_e32 v2, s3
	v_add_co_u32_e64 v4, s[0:1], s2, v4
	v_addc_co_u32_e64 v5, s[0:1], v2, v5, s[0:1]
	global_load_dwordx2 v[4:5], v[4:5], off
	v_add_u32_e32 v2, 16, v6
	s_waitcnt vmcnt(1)
	ds_write2st64_b64 v2, v[11:12], v[13:14] offset0:8 offset1:12
.LBB234_8:
	s_or_b64 exec, exec, s[8:9]
	v_add_u32_e32 v1, s10, v1
	v_mov_b32_e32 v2, 0
	s_waitcnt vmcnt(0)
	ds_write_b64 v6, v[4:5] offset:8
	s_and_saveexec_b64 s[8:9], vcc
	s_cbranch_execz .LBB234_10
; %bb.9:
	v_ashrrev_i32_e32 v2, 31, v1
	v_lshlrev_b64 v[2:3], 3, v[1:2]
	s_waitcnt lgkmcnt(0)
	v_mov_b32_e32 v4, s3
	v_add_co_u32_e64 v2, s[0:1], s2, v2
	v_addc_co_u32_e64 v3, s[0:1], v4, v3, s[0:1]
	global_load_dwordx2 v[2:3], v[2:3], off
.LBB234_10:
	s_or_b64 exec, exec, s[8:9]
	s_mov_b32 s13, 0
	v_cmp_eq_u32_e64 s[0:1], 0, v0
	s_waitcnt vmcnt(0)
	ds_write_b64 v6, v[2:3] offset:2056
	s_waitcnt lgkmcnt(0)
	s_barrier
	s_and_saveexec_b64 s[8:9], s[0:1]
	s_cbranch_execz .LBB234_16
; %bb.11:
	s_load_dword s15, s[4:5], 0x30
	s_load_dwordx2 s[10:11], s[4:5], 0x28
	s_cmp_lt_i32 s6, 1
	s_mov_b32 s12, 0
	s_waitcnt lgkmcnt(0)
	s_mul_i32 s7, s7, s15
	s_cbranch_scc1 .LBB234_13
; %bb.12:
	s_lshl_b32 s4, s7, 1
	s_add_i32 s5, s6, s15
	s_add_i32 s4, s5, s4
	s_add_i32 s4, s4, -1
	s_mov_b32 s5, 0
	s_lshl_b64 s[4:5], s[4:5], 3
	s_add_u32 s4, s10, s4
	s_addc_u32 s5, s11, s5
	s_load_dwordx2 s[12:13], s[4:5], 0x0
.LBB234_13:
	s_add_i32 s4, s15, -1
	s_waitcnt lgkmcnt(0)
	v_mov_b32_e32 v3, s12
	v_mov_b32_e32 v4, s13
	;; [unrolled: 1-line block ×3, first 2 shown]
	s_mov_b32 s5, 0
	s_cmp_ge_u32 s6, s4
	s_mov_b32 s13, 0
	s_mov_b32 s12, 0
	ds_write_b64 v2, v[3:4]
	s_cbranch_scc1 .LBB234_15
; %bb.14:
	s_lshl_b32 s4, s7, 1
	s_add_i32 s4, s6, s4
	s_add_i32 s12, s4, 1
	s_lshl_b64 s[12:13], s[12:13], 3
	s_add_u32 s16, s10, s12
	s_addc_u32 s17, s11, s13
	s_load_dwordx2 s[12:13], s[16:17], 0x0
.LBB234_15:
	s_lshl_b32 s4, s7, 1
	s_add_i32 s4, s4, s6
	s_lshl_b64 s[6:7], s[4:5], 3
	s_add_u32 s6, s10, s6
	s_addc_u32 s7, s11, s7
	s_add_i32 s4, s4, s15
	s_lshl_b64 s[4:5], s[4:5], 3
	s_add_u32 s4, s10, s4
	s_addc_u32 s5, s11, s5
	s_load_dwordx2 s[10:11], s[4:5], 0x0
	s_load_dwordx2 s[16:17], s[6:7], 0x0
	s_waitcnt lgkmcnt(0)
	v_mov_b32_e32 v3, s12
	v_mov_b32_e32 v4, s13
	ds_write_b64 v2, v[3:4] offset:4104
	v_mov_b32_e32 v7, s10
	v_mov_b32_e32 v8, s11
	;; [unrolled: 1-line block ×4, first 2 shown]
	ds_write_b128 v2, v[7:10] offset:2048
.LBB234_16:
	s_or_b64 exec, exec, s[8:9]
	s_waitcnt lgkmcnt(0)
	s_barrier
	s_and_saveexec_b64 s[4:5], s[0:1]
	s_cbranch_execz .LBB234_18
; %bb.17:
	s_movk_i32 s0, 0x1410
	v_add_u32_e64 v7, s0, 0
	v_add_u32_e64 v2, 8, 0
	ds_read2st64_b64 v[2:5], v2 offset0:6 offset1:8
	ds_read2_b64 v[7:10], v7 offset1:255
	s_movk_i32 s0, 0x2410
	v_mov_b32_e32 v19, 0
	v_add_u32_e64 v15, s0, 0
	ds_read2st64_b64 v[11:14], v19 offset1:2
	ds_read2_b64 v[15:18], v15 offset1:255
	s_waitcnt lgkmcnt(2)
	v_mul_f32_e64 v20, v5, -v10
	v_fmac_f32_e32 v20, v9, v4
	v_mul_f32_e32 v9, v5, v9
	v_fmac_f32_e32 v9, v10, v4
	s_waitcnt lgkmcnt(1)
	v_sub_f32_e32 v10, v13, v20
	v_sub_f32_e32 v13, v14, v9
	s_waitcnt lgkmcnt(0)
	v_mul_f32_e64 v9, v12, -v18
	v_mul_f32_e32 v14, v12, v17
	v_fmac_f32_e32 v9, v17, v11
	v_fmac_f32_e32 v14, v18, v11
	v_sub_f32_e32 v9, v10, v9
	v_sub_f32_e32 v10, v13, v14
	ds_write_b64 v19, v[9:10] offset:1024
	v_mul_f32_e64 v9, v5, -v8
	v_mul_f32_e32 v5, v5, v7
	v_fmac_f32_e32 v5, v8, v4
	v_fmac_f32_e32 v9, v7, v4
	v_sub_f32_e32 v3, v3, v5
	v_mul_f32_e64 v4, v12, -v16
	v_mul_f32_e32 v5, v12, v15
	v_sub_f32_e32 v2, v2, v9
	v_fmac_f32_e32 v4, v15, v11
	v_fmac_f32_e32 v5, v16, v11
	v_sub_f32_e32 v2, v2, v4
	v_sub_f32_e32 v3, v3, v5
	ds_write_b64 v19, v[2:3] offset:3080
.LBB234_18:
	s_or_b64 exec, exec, s[4:5]
	v_cmp_gt_u32_e64 s[0:1], 2, v0
	s_waitcnt lgkmcnt(0)
	s_barrier
	s_and_saveexec_b64 s[4:5], s[0:1]
	s_cbranch_execz .LBB234_20
; %bb.19:
	v_lshlrev_b32_e32 v19, 10, v0
	v_add_u32_e32 v2, 0x1210, v19
	ds_read2_b64 v[2:5], v2 offset1:255
	v_add_u32_e32 v7, 8, v19
	ds_read2st64_b64 v[7:10], v7 offset0:5 offset1:6
	ds_read2st64_b64 v[11:14], v19 offset1:1
	v_add_u32_e32 v15, 0x2210, v19
	ds_read2_b64 v[15:18], v15 offset1:255
	s_waitcnt lgkmcnt(2)
	v_mul_f32_e64 v20, v10, -v5
	v_fmac_f32_e32 v20, v4, v9
	v_mul_f32_e32 v4, v10, v4
	v_fmac_f32_e32 v4, v5, v9
	s_waitcnt lgkmcnt(1)
	v_sub_f32_e32 v5, v13, v20
	v_sub_f32_e32 v13, v14, v4
	s_waitcnt lgkmcnt(0)
	v_mul_f32_e64 v4, v12, -v18
	v_mul_f32_e32 v14, v12, v17
	v_fmac_f32_e32 v4, v17, v11
	v_fmac_f32_e32 v14, v18, v11
	v_sub_f32_e32 v4, v5, v4
	v_sub_f32_e32 v5, v13, v14
	ds_write_b64 v19, v[4:5] offset:512
	v_mul_f32_e64 v4, v10, -v3
	v_fmac_f32_e32 v4, v2, v9
	v_mul_f32_e32 v2, v10, v2
	v_fmac_f32_e32 v2, v3, v9
	v_sub_f32_e32 v3, v7, v4
	v_sub_f32_e32 v4, v8, v2
	v_mul_f32_e64 v2, v12, -v16
	v_mul_f32_e32 v5, v12, v15
	v_fmac_f32_e32 v2, v15, v11
	v_fmac_f32_e32 v5, v16, v11
	v_sub_f32_e32 v2, v3, v2
	v_sub_f32_e32 v3, v4, v5
	ds_write_b64 v19, v[2:3] offset:2568
.LBB234_20:
	s_or_b64 exec, exec, s[4:5]
	v_cmp_gt_u32_e64 s[0:1], 4, v0
	s_waitcnt lgkmcnt(0)
	s_barrier
	s_and_saveexec_b64 s[4:5], s[0:1]
	s_cbranch_execz .LBB234_22
; %bb.21:
	v_lshlrev_b32_e32 v19, 9, v0
	v_add_u32_e32 v2, 0x1110, v19
	ds_read2_b64 v[2:5], v2 offset1:255
	v_add_u32_e32 v7, 0x800, v19
	ds_read2_b64 v[7:10], v7 offset0:33 offset1:65
	ds_read2_b64 v[11:14], v19 offset1:32
	v_add_u32_e32 v15, 0x2110, v19
	ds_read2_b64 v[15:18], v15 offset1:255
	s_waitcnt lgkmcnt(2)
	v_mul_f32_e64 v20, v10, -v5
	v_fmac_f32_e32 v20, v4, v9
	v_mul_f32_e32 v4, v10, v4
	v_fmac_f32_e32 v4, v5, v9
	s_waitcnt lgkmcnt(1)
	v_sub_f32_e32 v5, v13, v20
	v_sub_f32_e32 v13, v14, v4
	s_waitcnt lgkmcnt(0)
	v_mul_f32_e64 v4, v12, -v18
	v_mul_f32_e32 v14, v12, v17
	v_fmac_f32_e32 v4, v17, v11
	v_fmac_f32_e32 v14, v18, v11
	v_sub_f32_e32 v4, v5, v4
	v_sub_f32_e32 v5, v13, v14
	ds_write_b64 v19, v[4:5] offset:256
	v_mul_f32_e64 v4, v10, -v3
	v_fmac_f32_e32 v4, v2, v9
	v_mul_f32_e32 v2, v10, v2
	v_fmac_f32_e32 v2, v3, v9
	v_sub_f32_e32 v3, v7, v4
	v_sub_f32_e32 v4, v8, v2
	v_mul_f32_e64 v2, v12, -v16
	v_mul_f32_e32 v5, v12, v15
	v_fmac_f32_e32 v2, v15, v11
	v_fmac_f32_e32 v5, v16, v11
	v_sub_f32_e32 v2, v3, v2
	v_sub_f32_e32 v3, v4, v5
	ds_write_b64 v19, v[2:3] offset:2312
.LBB234_22:
	s_or_b64 exec, exec, s[4:5]
	v_cmp_gt_u32_e64 s[0:1], 8, v0
	s_waitcnt lgkmcnt(0)
	s_barrier
	s_and_saveexec_b64 s[4:5], s[0:1]
	s_cbranch_execz .LBB234_24
; %bb.23:
	v_lshlrev_b32_e32 v19, 8, v0
	v_add_u32_e32 v2, 0x1090, v19
	ds_read2_b64 v[2:5], v2 offset1:255
	v_add_u32_e32 v7, 0x800, v19
	ds_read2_b64 v[7:10], v7 offset0:17 offset1:33
	ds_read2_b64 v[11:14], v19 offset1:16
	v_add_u32_e32 v15, 0x2090, v19
	ds_read2_b64 v[15:18], v15 offset1:255
	s_waitcnt lgkmcnt(2)
	v_mul_f32_e64 v20, v10, -v5
	v_fmac_f32_e32 v20, v4, v9
	v_mul_f32_e32 v4, v10, v4
	v_fmac_f32_e32 v4, v5, v9
	s_waitcnt lgkmcnt(1)
	v_sub_f32_e32 v5, v13, v20
	v_sub_f32_e32 v13, v14, v4
	s_waitcnt lgkmcnt(0)
	v_mul_f32_e64 v4, v12, -v18
	v_mul_f32_e32 v14, v12, v17
	v_fmac_f32_e32 v4, v17, v11
	v_fmac_f32_e32 v14, v18, v11
	v_sub_f32_e32 v4, v5, v4
	v_sub_f32_e32 v5, v13, v14
	ds_write_b64 v19, v[4:5] offset:128
	v_mul_f32_e64 v4, v10, -v3
	v_fmac_f32_e32 v4, v2, v9
	v_mul_f32_e32 v2, v10, v2
	v_fmac_f32_e32 v2, v3, v9
	v_sub_f32_e32 v3, v7, v4
	v_sub_f32_e32 v4, v8, v2
	v_mul_f32_e64 v2, v12, -v16
	v_mul_f32_e32 v5, v12, v15
	v_fmac_f32_e32 v2, v15, v11
	v_fmac_f32_e32 v5, v16, v11
	v_sub_f32_e32 v2, v3, v2
	v_sub_f32_e32 v3, v4, v5
	ds_write_b64 v19, v[2:3] offset:2184
.LBB234_24:
	;; [unrolled: 45-line block ×5, first 2 shown]
	s_or_b64 exec, exec, s[4:5]
	s_movk_i32 s0, 0x80
	v_cmp_gt_u32_e64 s[0:1], s0, v0
	s_waitcnt lgkmcnt(0)
	s_barrier
	s_and_saveexec_b64 s[4:5], s[0:1]
	s_cbranch_execz .LBB234_32
; %bb.31:
	v_lshlrev_b32_e32 v0, 4, v0
	v_add_u32_e32 v2, 0x1018, v0
	ds_read2_b64 v[2:5], v2 offset1:255
	v_add_u32_e32 v7, 0x800, v0
	ds_read2_b64 v[7:10], v7 offset0:2 offset1:3
	ds_read2_b64 v[11:14], v0 offset1:1
	v_add_u32_e32 v15, 0x2018, v0
	ds_read2_b64 v[15:18], v15 offset1:255
	s_waitcnt lgkmcnt(2)
	v_mul_f32_e64 v19, v10, -v5
	v_fmac_f32_e32 v19, v4, v9
	v_mul_f32_e32 v4, v10, v4
	v_fmac_f32_e32 v4, v5, v9
	s_waitcnt lgkmcnt(1)
	v_sub_f32_e32 v5, v13, v19
	v_sub_f32_e32 v13, v14, v4
	s_waitcnt lgkmcnt(0)
	v_mul_f32_e64 v4, v12, -v18
	v_mul_f32_e32 v14, v12, v17
	v_fmac_f32_e32 v4, v17, v11
	v_fmac_f32_e32 v14, v18, v11
	v_sub_f32_e32 v4, v5, v4
	v_sub_f32_e32 v5, v13, v14
	ds_write_b64 v0, v[4:5] offset:8
	v_mul_f32_e64 v4, v10, -v3
	v_fmac_f32_e32 v4, v2, v9
	v_mul_f32_e32 v2, v10, v2
	v_fmac_f32_e32 v2, v3, v9
	v_sub_f32_e32 v3, v7, v4
	v_sub_f32_e32 v4, v8, v2
	v_mul_f32_e64 v2, v12, -v16
	v_mul_f32_e32 v5, v12, v15
	v_fmac_f32_e32 v2, v15, v11
	v_fmac_f32_e32 v5, v16, v11
	v_sub_f32_e32 v2, v3, v2
	v_sub_f32_e32 v3, v4, v5
	ds_write_b64 v0, v[2:3] offset:2064
.LBB234_32:
	s_or_b64 exec, exec, s[4:5]
	s_waitcnt lgkmcnt(0)
	s_barrier
	s_and_saveexec_b64 s[0:1], vcc
	s_cbranch_execz .LBB234_34
; %bb.33:
	v_ashrrev_i32_e32 v2, 31, v1
	v_add_u32_e32 v0, 8, v6
	v_lshlrev_b64 v[7:8], 3, v[1:2]
	ds_read2st64_b64 v[2:5], v0 offset1:4
	v_mov_b32_e32 v9, s3
	v_add_co_u32_e32 v6, vcc, s2, v7
	v_addc_co_u32_e32 v7, vcc, v9, v8, vcc
	s_waitcnt lgkmcnt(0)
	v_mad_u64_u32 v[0:1], s[0:1], s14, 31, v[1:2]
	v_mov_b32_e32 v1, 0
	global_store_dwordx2 v[6:7], v[4:5], off
	v_lshlrev_b64 v[0:1], 3, v[0:1]
	v_mov_b32_e32 v4, s3
	v_add_co_u32_e32 v0, vcc, s2, v0
	v_addc_co_u32_e32 v1, vcc, v4, v1, vcc
	global_store_dwordx2 v[0:1], v[2:3], off
.LBB234_34:
	s_endpgm
	.section	.rodata,"a",@progbits
	.p2align	6, 0x0
	.amdhsa_kernel _ZN9rocsparseL33gtsv_solve_spike_propagate_kernelILj256ELj32E21rocsparse_complex_numIfEEEviiiPT1_PKS3_S6_S6_
		.amdhsa_group_segment_fixed_size 12304
		.amdhsa_private_segment_fixed_size 0
		.amdhsa_kernarg_size 304
		.amdhsa_user_sgpr_count 6
		.amdhsa_user_sgpr_private_segment_buffer 1
		.amdhsa_user_sgpr_dispatch_ptr 0
		.amdhsa_user_sgpr_queue_ptr 0
		.amdhsa_user_sgpr_kernarg_segment_ptr 1
		.amdhsa_user_sgpr_dispatch_id 0
		.amdhsa_user_sgpr_flat_scratch_init 0
		.amdhsa_user_sgpr_private_segment_size 0
		.amdhsa_uses_dynamic_stack 0
		.amdhsa_system_sgpr_private_segment_wavefront_offset 0
		.amdhsa_system_sgpr_workgroup_id_x 1
		.amdhsa_system_sgpr_workgroup_id_y 1
		.amdhsa_system_sgpr_workgroup_id_z 0
		.amdhsa_system_sgpr_workgroup_info 0
		.amdhsa_system_vgpr_workitem_id 0
		.amdhsa_next_free_vgpr 41
		.amdhsa_next_free_sgpr 98
		.amdhsa_reserve_vcc 1
		.amdhsa_reserve_flat_scratch 0
		.amdhsa_float_round_mode_32 0
		.amdhsa_float_round_mode_16_64 0
		.amdhsa_float_denorm_mode_32 3
		.amdhsa_float_denorm_mode_16_64 3
		.amdhsa_dx10_clamp 1
		.amdhsa_ieee_mode 1
		.amdhsa_fp16_overflow 0
		.amdhsa_exception_fp_ieee_invalid_op 0
		.amdhsa_exception_fp_denorm_src 0
		.amdhsa_exception_fp_ieee_div_zero 0
		.amdhsa_exception_fp_ieee_overflow 0
		.amdhsa_exception_fp_ieee_underflow 0
		.amdhsa_exception_fp_ieee_inexact 0
		.amdhsa_exception_int_div_zero 0
	.end_amdhsa_kernel
	.section	.text._ZN9rocsparseL33gtsv_solve_spike_propagate_kernelILj256ELj32E21rocsparse_complex_numIfEEEviiiPT1_PKS3_S6_S6_,"axG",@progbits,_ZN9rocsparseL33gtsv_solve_spike_propagate_kernelILj256ELj32E21rocsparse_complex_numIfEEEviiiPT1_PKS3_S6_S6_,comdat
.Lfunc_end234:
	.size	_ZN9rocsparseL33gtsv_solve_spike_propagate_kernelILj256ELj32E21rocsparse_complex_numIfEEEviiiPT1_PKS3_S6_S6_, .Lfunc_end234-_ZN9rocsparseL33gtsv_solve_spike_propagate_kernelILj256ELj32E21rocsparse_complex_numIfEEEviiiPT1_PKS3_S6_S6_
                                        ; -- End function
	.set _ZN9rocsparseL33gtsv_solve_spike_propagate_kernelILj256ELj32E21rocsparse_complex_numIfEEEviiiPT1_PKS3_S6_S6_.num_vgpr, 21
	.set _ZN9rocsparseL33gtsv_solve_spike_propagate_kernelILj256ELj32E21rocsparse_complex_numIfEEEviiiPT1_PKS3_S6_S6_.num_agpr, 0
	.set _ZN9rocsparseL33gtsv_solve_spike_propagate_kernelILj256ELj32E21rocsparse_complex_numIfEEEviiiPT1_PKS3_S6_S6_.numbered_sgpr, 18
	.set _ZN9rocsparseL33gtsv_solve_spike_propagate_kernelILj256ELj32E21rocsparse_complex_numIfEEEviiiPT1_PKS3_S6_S6_.num_named_barrier, 0
	.set _ZN9rocsparseL33gtsv_solve_spike_propagate_kernelILj256ELj32E21rocsparse_complex_numIfEEEviiiPT1_PKS3_S6_S6_.private_seg_size, 0
	.set _ZN9rocsparseL33gtsv_solve_spike_propagate_kernelILj256ELj32E21rocsparse_complex_numIfEEEviiiPT1_PKS3_S6_S6_.uses_vcc, 1
	.set _ZN9rocsparseL33gtsv_solve_spike_propagate_kernelILj256ELj32E21rocsparse_complex_numIfEEEviiiPT1_PKS3_S6_S6_.uses_flat_scratch, 0
	.set _ZN9rocsparseL33gtsv_solve_spike_propagate_kernelILj256ELj32E21rocsparse_complex_numIfEEEviiiPT1_PKS3_S6_S6_.has_dyn_sized_stack, 0
	.set _ZN9rocsparseL33gtsv_solve_spike_propagate_kernelILj256ELj32E21rocsparse_complex_numIfEEEviiiPT1_PKS3_S6_S6_.has_recursion, 0
	.set _ZN9rocsparseL33gtsv_solve_spike_propagate_kernelILj256ELj32E21rocsparse_complex_numIfEEEviiiPT1_PKS3_S6_S6_.has_indirect_call, 0
	.section	.AMDGPU.csdata,"",@progbits
; Kernel info:
; codeLenInByte = 2740
; TotalNumSgprs: 22
; NumVgprs: 21
; ScratchSize: 0
; MemoryBound: 0
; FloatMode: 240
; IeeeMode: 1
; LDSByteSize: 12304 bytes/workgroup (compile time only)
; SGPRBlocks: 12
; VGPRBlocks: 10
; NumSGPRsForWavesPerEU: 102
; NumVGPRsForWavesPerEU: 41
; Occupancy: 5
; WaveLimiterHint : 0
; COMPUTE_PGM_RSRC2:SCRATCH_EN: 0
; COMPUTE_PGM_RSRC2:USER_SGPR: 6
; COMPUTE_PGM_RSRC2:TRAP_HANDLER: 0
; COMPUTE_PGM_RSRC2:TGID_X_EN: 1
; COMPUTE_PGM_RSRC2:TGID_Y_EN: 1
; COMPUTE_PGM_RSRC2:TGID_Z_EN: 0
; COMPUTE_PGM_RSRC2:TIDIG_COMP_CNT: 0
	.section	.text._ZN9rocsparseL39gtsv_spike_backward_substitution_kernelILj256ELj32E21rocsparse_complex_numIfEEEviiiPT1_PKS3_S6_,"axG",@progbits,_ZN9rocsparseL39gtsv_spike_backward_substitution_kernelILj256ELj32E21rocsparse_complex_numIfEEEviiiPT1_PKS3_S6_,comdat
	.globl	_ZN9rocsparseL39gtsv_spike_backward_substitution_kernelILj256ELj32E21rocsparse_complex_numIfEEEviiiPT1_PKS3_S6_ ; -- Begin function _ZN9rocsparseL39gtsv_spike_backward_substitution_kernelILj256ELj32E21rocsparse_complex_numIfEEEviiiPT1_PKS3_S6_
	.p2align	8
	.type	_ZN9rocsparseL39gtsv_spike_backward_substitution_kernelILj256ELj32E21rocsparse_complex_numIfEEEviiiPT1_PKS3_S6_,@function
_ZN9rocsparseL39gtsv_spike_backward_substitution_kernelILj256ELj32E21rocsparse_complex_numIfEEEviiiPT1_PKS3_S6_: ; @_ZN9rocsparseL39gtsv_spike_backward_substitution_kernelILj256ELj32E21rocsparse_complex_numIfEEEviiiPT1_PKS3_S6_
; %bb.0:
	s_load_dword s12, s[4:5], 0x0
	s_lshl_b32 s6, s6, 8
	v_or_b32_e32 v5, s6, v0
	s_waitcnt lgkmcnt(0)
	s_lshr_b32 s10, s12, 5
	v_cmp_gt_i32_e32 vcc, s10, v5
	s_and_saveexec_b64 s[0:1], vcc
	s_cbranch_execz .LBB235_9
; %bb.1:
	s_load_dwordx2 s[8:9], s[4:5], 0x10
	v_cmp_lt_i32_e32 vcc, 0, v5
	v_mov_b32_e32 v1, 0
	s_mul_i32 s11, s12, s7
	v_mov_b32_e32 v2, 0
	s_and_saveexec_b64 s[0:1], vcc
	s_cbranch_execz .LBB235_3
; %bb.2:
	s_mul_i32 s2, s10, 31
	s_mul_i32 s3, s12, s7
	s_add_i32 s2, s2, s3
	v_add3_u32 v1, v5, s2, -1
	v_mov_b32_e32 v2, 0
	v_lshlrev_b64 v[1:2], 3, v[1:2]
	s_waitcnt lgkmcnt(0)
	v_mov_b32_e32 v3, s9
	v_add_co_u32_e32 v1, vcc, s8, v1
	v_addc_co_u32_e32 v2, vcc, v3, v2, vcc
	global_load_dwordx2 v[1:2], v[1:2], off
.LBB235_3:
	s_or_b64 exec, exec, s[0:1]
	s_load_dwordx4 s[0:3], s[4:5], 0x18
	v_add_u32_e32 v3, 32, v5
	v_cmp_le_u32_e32 vcc, s12, v3
	s_and_saveexec_b64 s[4:5], vcc
	s_xor_b64 s[4:5], exec, s[4:5]
; %bb.4:
                                        ; implicit-def: $vgpr5
; %bb.5:
	s_or_saveexec_b64 s[4:5], s[4:5]
	v_mov_b32_e32 v3, 0
	v_mov_b32_e32 v9, s11
	;; [unrolled: 1-line block ×3, first 2 shown]
	s_xor_b64 exec, exec, s[4:5]
	s_cbranch_execz .LBB235_7
; %bb.6:
	s_ashr_i32 s7, s11, 31
	v_ashrrev_i32_e32 v4, 31, v5
	v_mov_b32_e32 v6, s7
	v_add_co_u32_e32 v3, vcc, s11, v5
	v_addc_co_u32_e32 v4, vcc, v4, v6, vcc
	v_lshlrev_b64 v[3:4], 3, v[3:4]
	s_waitcnt lgkmcnt(0)
	v_mov_b32_e32 v5, s9
	v_add_co_u32_e32 v3, vcc, s8, v3
	v_addc_co_u32_e32 v4, vcc, v5, v4, vcc
	global_load_dwordx2 v[3:4], v[3:4], off offset:8
	v_mov_b32_e32 v9, s11
.LBB235_7:
	s_or_b64 exec, exec, s[4:5]
	s_lshl_b32 s5, s10, 1
	s_mul_i32 s4, s10, 3
	v_add_u32_e32 v7, v0, v9
	v_add_u32_e32 v6, s5, v0
	v_add_u32_e32 v8, s4, v0
	v_add_u32_e32 v0, s10, v0
	v_add_u32_e32 v5, s5, v7
	v_add_u32_e32 v7, s4, v7
	v_add_u32_e32 v9, v0, v9
	s_mov_b32 s5, 30
	s_waitcnt lgkmcnt(0)
	v_mov_b32_e32 v10, s9
	v_mov_b32_e32 v11, s1
	;; [unrolled: 1-line block ×3, first 2 shown]
.LBB235_8:                              ; =>This Inner Loop Header: Depth=1
	v_add_u32_e32 v15, s6, v9
	v_ashrrev_i32_e32 v16, 31, v15
	v_add_u32_e32 v13, s6, v0
	v_lshlrev_b64 v[15:16], 3, v[15:16]
	v_ashrrev_i32_e32 v14, 31, v13
	v_lshlrev_b64 v[13:14], 3, v[13:14]
	v_add_co_u32_e32 v15, vcc, s8, v15
	v_addc_co_u32_e32 v16, vcc, v10, v16, vcc
	v_add_co_u32_e32 v17, vcc, s0, v13
	v_addc_co_u32_e32 v18, vcc, v11, v14, vcc
	v_add_co_u32_e32 v13, vcc, s2, v13
	global_load_dwordx2 v[17:18], v[17:18], off
	v_addc_co_u32_e32 v14, vcc, v12, v14, vcc
	global_load_dwordx2 v[13:14], v[13:14], off
	s_add_i32 s5, s5, -3
	v_add_u32_e32 v0, s4, v0
	v_add_u32_e32 v9, s4, v9
	s_cmp_lg_u32 s5, 0
	s_waitcnt vmcnt(1)
	v_mul_f32_e64 v19, v2, -v18
	v_fmac_f32_e32 v19, v17, v1
	v_mul_f32_e32 v17, v2, v17
	v_fmac_f32_e32 v17, v18, v1
	s_waitcnt vmcnt(0)
	v_mul_f32_e64 v18, v4, -v14
	v_mul_f32_e32 v20, v4, v13
	v_fmac_f32_e32 v18, v13, v3
	v_fmac_f32_e32 v20, v14, v3
	global_load_dwordx2 v[13:14], v[15:16], off
	s_waitcnt vmcnt(0)
	v_sub_f32_e32 v13, v13, v19
	v_sub_f32_e32 v14, v14, v17
	;; [unrolled: 1-line block ×4, first 2 shown]
	global_store_dwordx2 v[15:16], v[13:14], off
	v_add_u32_e32 v13, s6, v5
	v_ashrrev_i32_e32 v14, 31, v13
	v_add_u32_e32 v17, s6, v6
	v_lshlrev_b64 v[13:14], 3, v[13:14]
	v_ashrrev_i32_e32 v18, 31, v17
	v_lshlrev_b64 v[15:16], 3, v[17:18]
	v_add_co_u32_e32 v13, vcc, s8, v13
	v_addc_co_u32_e32 v14, vcc, v10, v14, vcc
	v_add_co_u32_e32 v17, vcc, s0, v15
	v_addc_co_u32_e32 v18, vcc, v11, v16, vcc
	v_add_co_u32_e32 v15, vcc, s2, v15
	global_load_dwordx2 v[17:18], v[17:18], off
	v_addc_co_u32_e32 v16, vcc, v12, v16, vcc
	global_load_dwordx2 v[15:16], v[15:16], off
	v_add_u32_e32 v5, s4, v5
	v_add_u32_e32 v6, s4, v6
	s_waitcnt vmcnt(1)
	v_mul_f32_e64 v19, v2, -v18
	v_fmac_f32_e32 v19, v17, v1
	v_mul_f32_e32 v17, v2, v17
	v_fmac_f32_e32 v17, v18, v1
	s_waitcnt vmcnt(0)
	v_mul_f32_e64 v18, v4, -v16
	v_mul_f32_e32 v20, v4, v15
	v_fmac_f32_e32 v18, v15, v3
	v_fmac_f32_e32 v20, v16, v3
	global_load_dwordx2 v[15:16], v[13:14], off
	s_waitcnt vmcnt(0)
	v_sub_f32_e32 v15, v15, v19
	v_sub_f32_e32 v16, v16, v17
	;; [unrolled: 1-line block ×4, first 2 shown]
	global_store_dwordx2 v[13:14], v[15:16], off
	v_add_u32_e32 v13, s6, v7
	v_ashrrev_i32_e32 v14, 31, v13
	v_add_u32_e32 v17, s6, v8
	v_lshlrev_b64 v[13:14], 3, v[13:14]
	v_ashrrev_i32_e32 v18, 31, v17
	v_lshlrev_b64 v[15:16], 3, v[17:18]
	v_add_co_u32_e32 v13, vcc, s8, v13
	v_addc_co_u32_e32 v14, vcc, v10, v14, vcc
	v_add_co_u32_e32 v17, vcc, s0, v15
	v_addc_co_u32_e32 v18, vcc, v11, v16, vcc
	v_add_co_u32_e32 v15, vcc, s2, v15
	global_load_dwordx2 v[17:18], v[17:18], off
	v_addc_co_u32_e32 v16, vcc, v12, v16, vcc
	global_load_dwordx2 v[15:16], v[15:16], off
	v_add_u32_e32 v7, s4, v7
	v_add_u32_e32 v8, s4, v8
	s_waitcnt vmcnt(1)
	v_mul_f32_e64 v19, v2, -v18
	v_fmac_f32_e32 v19, v17, v1
	v_mul_f32_e32 v17, v2, v17
	v_fmac_f32_e32 v17, v18, v1
	s_waitcnt vmcnt(0)
	v_mul_f32_e64 v18, v4, -v16
	v_mul_f32_e32 v20, v4, v15
	v_fmac_f32_e32 v18, v15, v3
	v_fmac_f32_e32 v20, v16, v3
	global_load_dwordx2 v[15:16], v[13:14], off
	s_waitcnt vmcnt(0)
	v_sub_f32_e32 v15, v15, v19
	v_sub_f32_e32 v16, v16, v17
	;; [unrolled: 1-line block ×4, first 2 shown]
	global_store_dwordx2 v[13:14], v[15:16], off
	s_cbranch_scc1 .LBB235_8
.LBB235_9:
	s_endpgm
	.section	.rodata,"a",@progbits
	.p2align	6, 0x0
	.amdhsa_kernel _ZN9rocsparseL39gtsv_spike_backward_substitution_kernelILj256ELj32E21rocsparse_complex_numIfEEEviiiPT1_PKS3_S6_
		.amdhsa_group_segment_fixed_size 0
		.amdhsa_private_segment_fixed_size 0
		.amdhsa_kernarg_size 40
		.amdhsa_user_sgpr_count 6
		.amdhsa_user_sgpr_private_segment_buffer 1
		.amdhsa_user_sgpr_dispatch_ptr 0
		.amdhsa_user_sgpr_queue_ptr 0
		.amdhsa_user_sgpr_kernarg_segment_ptr 1
		.amdhsa_user_sgpr_dispatch_id 0
		.amdhsa_user_sgpr_flat_scratch_init 0
		.amdhsa_user_sgpr_private_segment_size 0
		.amdhsa_uses_dynamic_stack 0
		.amdhsa_system_sgpr_private_segment_wavefront_offset 0
		.amdhsa_system_sgpr_workgroup_id_x 1
		.amdhsa_system_sgpr_workgroup_id_y 1
		.amdhsa_system_sgpr_workgroup_id_z 0
		.amdhsa_system_sgpr_workgroup_info 0
		.amdhsa_system_vgpr_workitem_id 0
		.amdhsa_next_free_vgpr 21
		.amdhsa_next_free_sgpr 13
		.amdhsa_reserve_vcc 1
		.amdhsa_reserve_flat_scratch 0
		.amdhsa_float_round_mode_32 0
		.amdhsa_float_round_mode_16_64 0
		.amdhsa_float_denorm_mode_32 3
		.amdhsa_float_denorm_mode_16_64 3
		.amdhsa_dx10_clamp 1
		.amdhsa_ieee_mode 1
		.amdhsa_fp16_overflow 0
		.amdhsa_exception_fp_ieee_invalid_op 0
		.amdhsa_exception_fp_denorm_src 0
		.amdhsa_exception_fp_ieee_div_zero 0
		.amdhsa_exception_fp_ieee_overflow 0
		.amdhsa_exception_fp_ieee_underflow 0
		.amdhsa_exception_fp_ieee_inexact 0
		.amdhsa_exception_int_div_zero 0
	.end_amdhsa_kernel
	.section	.text._ZN9rocsparseL39gtsv_spike_backward_substitution_kernelILj256ELj32E21rocsparse_complex_numIfEEEviiiPT1_PKS3_S6_,"axG",@progbits,_ZN9rocsparseL39gtsv_spike_backward_substitution_kernelILj256ELj32E21rocsparse_complex_numIfEEEviiiPT1_PKS3_S6_,comdat
.Lfunc_end235:
	.size	_ZN9rocsparseL39gtsv_spike_backward_substitution_kernelILj256ELj32E21rocsparse_complex_numIfEEEviiiPT1_PKS3_S6_, .Lfunc_end235-_ZN9rocsparseL39gtsv_spike_backward_substitution_kernelILj256ELj32E21rocsparse_complex_numIfEEEviiiPT1_PKS3_S6_
                                        ; -- End function
	.set _ZN9rocsparseL39gtsv_spike_backward_substitution_kernelILj256ELj32E21rocsparse_complex_numIfEEEviiiPT1_PKS3_S6_.num_vgpr, 21
	.set _ZN9rocsparseL39gtsv_spike_backward_substitution_kernelILj256ELj32E21rocsparse_complex_numIfEEEviiiPT1_PKS3_S6_.num_agpr, 0
	.set _ZN9rocsparseL39gtsv_spike_backward_substitution_kernelILj256ELj32E21rocsparse_complex_numIfEEEviiiPT1_PKS3_S6_.numbered_sgpr, 13
	.set _ZN9rocsparseL39gtsv_spike_backward_substitution_kernelILj256ELj32E21rocsparse_complex_numIfEEEviiiPT1_PKS3_S6_.num_named_barrier, 0
	.set _ZN9rocsparseL39gtsv_spike_backward_substitution_kernelILj256ELj32E21rocsparse_complex_numIfEEEviiiPT1_PKS3_S6_.private_seg_size, 0
	.set _ZN9rocsparseL39gtsv_spike_backward_substitution_kernelILj256ELj32E21rocsparse_complex_numIfEEEviiiPT1_PKS3_S6_.uses_vcc, 1
	.set _ZN9rocsparseL39gtsv_spike_backward_substitution_kernelILj256ELj32E21rocsparse_complex_numIfEEEviiiPT1_PKS3_S6_.uses_flat_scratch, 0
	.set _ZN9rocsparseL39gtsv_spike_backward_substitution_kernelILj256ELj32E21rocsparse_complex_numIfEEEviiiPT1_PKS3_S6_.has_dyn_sized_stack, 0
	.set _ZN9rocsparseL39gtsv_spike_backward_substitution_kernelILj256ELj32E21rocsparse_complex_numIfEEEviiiPT1_PKS3_S6_.has_recursion, 0
	.set _ZN9rocsparseL39gtsv_spike_backward_substitution_kernelILj256ELj32E21rocsparse_complex_numIfEEEviiiPT1_PKS3_S6_.has_indirect_call, 0
	.section	.AMDGPU.csdata,"",@progbits
; Kernel info:
; codeLenInByte = 800
; TotalNumSgprs: 17
; NumVgprs: 21
; ScratchSize: 0
; MemoryBound: 0
; FloatMode: 240
; IeeeMode: 1
; LDSByteSize: 0 bytes/workgroup (compile time only)
; SGPRBlocks: 2
; VGPRBlocks: 5
; NumSGPRsForWavesPerEU: 17
; NumVGPRsForWavesPerEU: 21
; Occupancy: 10
; WaveLimiterHint : 0
; COMPUTE_PGM_RSRC2:SCRATCH_EN: 0
; COMPUTE_PGM_RSRC2:USER_SGPR: 6
; COMPUTE_PGM_RSRC2:TRAP_HANDLER: 0
; COMPUTE_PGM_RSRC2:TGID_X_EN: 1
; COMPUTE_PGM_RSRC2:TGID_Y_EN: 1
; COMPUTE_PGM_RSRC2:TGID_Z_EN: 0
; COMPUTE_PGM_RSRC2:TIDIG_COMP_CNT: 0
	.section	.text._ZN9rocsparseL32gtsv_transpose_back_array_kernelILj256ELj32E21rocsparse_complex_numIfEEEviiiPKT1_PS3_,"axG",@progbits,_ZN9rocsparseL32gtsv_transpose_back_array_kernelILj256ELj32E21rocsparse_complex_numIfEEEviiiPKT1_PS3_,comdat
	.globl	_ZN9rocsparseL32gtsv_transpose_back_array_kernelILj256ELj32E21rocsparse_complex_numIfEEEviiiPKT1_PS3_ ; -- Begin function _ZN9rocsparseL32gtsv_transpose_back_array_kernelILj256ELj32E21rocsparse_complex_numIfEEEviiiPKT1_PS3_
	.p2align	8
	.type	_ZN9rocsparseL32gtsv_transpose_back_array_kernelILj256ELj32E21rocsparse_complex_numIfEEEviiiPKT1_PS3_,@function
_ZN9rocsparseL32gtsv_transpose_back_array_kernelILj256ELj32E21rocsparse_complex_numIfEEEviiiPKT1_PS3_: ; @_ZN9rocsparseL32gtsv_transpose_back_array_kernelILj256ELj32E21rocsparse_complex_numIfEEEviiiPKT1_PS3_
; %bb.0:
	s_load_dwordx4 s[0:3], s[4:5], 0x0
	s_waitcnt lgkmcnt(0)
	v_cvt_f32_u32_e32 v1, s1
	s_sub_i32 s3, 0, s1
	v_rcp_iflag_f32_e32 v1, v1
	v_mul_f32_e32 v1, 0x4f7ffffe, v1
	v_cvt_u32_f32_e32 v2, v1
	v_mul_lo_u32 v1, s3, v2
	v_mul_hi_u32 v3, v2, v1
	v_lshl_or_b32 v1, s6, 8, v0
	v_lshlrev_b32_e32 v0, 5, v1
	v_add_u32_e32 v2, v2, v3
	v_mul_hi_u32 v2, v0, v2
	v_mul_lo_u32 v3, v2, s1
	v_add_u32_e32 v4, 1, v2
	v_sub_u32_e32 v3, v0, v3
	v_cmp_le_u32_e32 vcc, s1, v3
	v_cndmask_b32_e32 v2, v2, v4, vcc
	v_subrev_u32_e32 v4, s1, v3
	v_cndmask_b32_e32 v3, v3, v4, vcc
	v_add_u32_e32 v4, 1, v2
	v_cmp_le_u32_e32 vcc, s1, v3
	v_cndmask_b32_e32 v2, v2, v4, vcc
	v_mul_lo_u32 v3, v2, s1
	v_sub_u32_e32 v0, v0, v3
	v_add_u32_e32 v0, v2, v0
	v_cmp_gt_i32_e32 vcc, s0, v0
	s_and_saveexec_b64 s[8:9], vcc
	s_cbranch_execz .LBB236_2
; %bb.1:
	s_load_dwordx4 s[8:11], s[4:5], 0x10
	s_mul_i32 s0, s1, s7
	v_add_u32_e32 v1, s0, v1
	v_ashrrev_i32_e32 v2, 31, v1
	v_lshlrev_b64 v[1:2], 3, v[1:2]
	s_waitcnt lgkmcnt(0)
	v_mov_b32_e32 v3, s9
	v_add_co_u32_e32 v1, vcc, s8, v1
	v_addc_co_u32_e32 v2, vcc, v3, v2, vcc
	global_load_dwordx2 v[1:2], v[1:2], off
	s_mul_i32 s0, s2, s7
	v_add_u32_e32 v3, s0, v0
	v_ashrrev_i32_e32 v4, 31, v3
	v_lshlrev_b64 v[3:4], 3, v[3:4]
	v_mov_b32_e32 v0, s11
	v_add_co_u32_e32 v3, vcc, s10, v3
	v_addc_co_u32_e32 v4, vcc, v0, v4, vcc
	s_waitcnt vmcnt(0)
	global_store_dwordx2 v[3:4], v[1:2], off
.LBB236_2:
	s_endpgm
	.section	.rodata,"a",@progbits
	.p2align	6, 0x0
	.amdhsa_kernel _ZN9rocsparseL32gtsv_transpose_back_array_kernelILj256ELj32E21rocsparse_complex_numIfEEEviiiPKT1_PS3_
		.amdhsa_group_segment_fixed_size 0
		.amdhsa_private_segment_fixed_size 0
		.amdhsa_kernarg_size 32
		.amdhsa_user_sgpr_count 6
		.amdhsa_user_sgpr_private_segment_buffer 1
		.amdhsa_user_sgpr_dispatch_ptr 0
		.amdhsa_user_sgpr_queue_ptr 0
		.amdhsa_user_sgpr_kernarg_segment_ptr 1
		.amdhsa_user_sgpr_dispatch_id 0
		.amdhsa_user_sgpr_flat_scratch_init 0
		.amdhsa_user_sgpr_private_segment_size 0
		.amdhsa_uses_dynamic_stack 0
		.amdhsa_system_sgpr_private_segment_wavefront_offset 0
		.amdhsa_system_sgpr_workgroup_id_x 1
		.amdhsa_system_sgpr_workgroup_id_y 1
		.amdhsa_system_sgpr_workgroup_id_z 0
		.amdhsa_system_sgpr_workgroup_info 0
		.amdhsa_system_vgpr_workitem_id 0
		.amdhsa_next_free_vgpr 5
		.amdhsa_next_free_sgpr 12
		.amdhsa_reserve_vcc 1
		.amdhsa_reserve_flat_scratch 0
		.amdhsa_float_round_mode_32 0
		.amdhsa_float_round_mode_16_64 0
		.amdhsa_float_denorm_mode_32 3
		.amdhsa_float_denorm_mode_16_64 3
		.amdhsa_dx10_clamp 1
		.amdhsa_ieee_mode 1
		.amdhsa_fp16_overflow 0
		.amdhsa_exception_fp_ieee_invalid_op 0
		.amdhsa_exception_fp_denorm_src 0
		.amdhsa_exception_fp_ieee_div_zero 0
		.amdhsa_exception_fp_ieee_overflow 0
		.amdhsa_exception_fp_ieee_underflow 0
		.amdhsa_exception_fp_ieee_inexact 0
		.amdhsa_exception_int_div_zero 0
	.end_amdhsa_kernel
	.section	.text._ZN9rocsparseL32gtsv_transpose_back_array_kernelILj256ELj32E21rocsparse_complex_numIfEEEviiiPKT1_PS3_,"axG",@progbits,_ZN9rocsparseL32gtsv_transpose_back_array_kernelILj256ELj32E21rocsparse_complex_numIfEEEviiiPKT1_PS3_,comdat
.Lfunc_end236:
	.size	_ZN9rocsparseL32gtsv_transpose_back_array_kernelILj256ELj32E21rocsparse_complex_numIfEEEviiiPKT1_PS3_, .Lfunc_end236-_ZN9rocsparseL32gtsv_transpose_back_array_kernelILj256ELj32E21rocsparse_complex_numIfEEEviiiPKT1_PS3_
                                        ; -- End function
	.set _ZN9rocsparseL32gtsv_transpose_back_array_kernelILj256ELj32E21rocsparse_complex_numIfEEEviiiPKT1_PS3_.num_vgpr, 5
	.set _ZN9rocsparseL32gtsv_transpose_back_array_kernelILj256ELj32E21rocsparse_complex_numIfEEEviiiPKT1_PS3_.num_agpr, 0
	.set _ZN9rocsparseL32gtsv_transpose_back_array_kernelILj256ELj32E21rocsparse_complex_numIfEEEviiiPKT1_PS3_.numbered_sgpr, 12
	.set _ZN9rocsparseL32gtsv_transpose_back_array_kernelILj256ELj32E21rocsparse_complex_numIfEEEviiiPKT1_PS3_.num_named_barrier, 0
	.set _ZN9rocsparseL32gtsv_transpose_back_array_kernelILj256ELj32E21rocsparse_complex_numIfEEEviiiPKT1_PS3_.private_seg_size, 0
	.set _ZN9rocsparseL32gtsv_transpose_back_array_kernelILj256ELj32E21rocsparse_complex_numIfEEEviiiPKT1_PS3_.uses_vcc, 1
	.set _ZN9rocsparseL32gtsv_transpose_back_array_kernelILj256ELj32E21rocsparse_complex_numIfEEEviiiPKT1_PS3_.uses_flat_scratch, 0
	.set _ZN9rocsparseL32gtsv_transpose_back_array_kernelILj256ELj32E21rocsparse_complex_numIfEEEviiiPKT1_PS3_.has_dyn_sized_stack, 0
	.set _ZN9rocsparseL32gtsv_transpose_back_array_kernelILj256ELj32E21rocsparse_complex_numIfEEEviiiPKT1_PS3_.has_recursion, 0
	.set _ZN9rocsparseL32gtsv_transpose_back_array_kernelILj256ELj32E21rocsparse_complex_numIfEEEviiiPKT1_PS3_.has_indirect_call, 0
	.section	.AMDGPU.csdata,"",@progbits
; Kernel info:
; codeLenInByte = 248
; TotalNumSgprs: 16
; NumVgprs: 5
; ScratchSize: 0
; MemoryBound: 0
; FloatMode: 240
; IeeeMode: 1
; LDSByteSize: 0 bytes/workgroup (compile time only)
; SGPRBlocks: 1
; VGPRBlocks: 1
; NumSGPRsForWavesPerEU: 16
; NumVGPRsForWavesPerEU: 5
; Occupancy: 10
; WaveLimiterHint : 0
; COMPUTE_PGM_RSRC2:SCRATCH_EN: 0
; COMPUTE_PGM_RSRC2:USER_SGPR: 6
; COMPUTE_PGM_RSRC2:TRAP_HANDLER: 0
; COMPUTE_PGM_RSRC2:TGID_X_EN: 1
; COMPUTE_PGM_RSRC2:TGID_Y_EN: 1
; COMPUTE_PGM_RSRC2:TGID_Z_EN: 0
; COMPUTE_PGM_RSRC2:TIDIG_COMP_CNT: 0
	.section	.text._ZN9rocsparseL42gtsv_transpose_and_pad_array_shared_kernelILj256ELj64E21rocsparse_complex_numIfEEEviiiPKT1_PS3_S3_,"axG",@progbits,_ZN9rocsparseL42gtsv_transpose_and_pad_array_shared_kernelILj256ELj64E21rocsparse_complex_numIfEEEviiiPKT1_PS3_S3_,comdat
	.globl	_ZN9rocsparseL42gtsv_transpose_and_pad_array_shared_kernelILj256ELj64E21rocsparse_complex_numIfEEEviiiPKT1_PS3_S3_ ; -- Begin function _ZN9rocsparseL42gtsv_transpose_and_pad_array_shared_kernelILj256ELj64E21rocsparse_complex_numIfEEEviiiPKT1_PS3_S3_
	.p2align	8
	.type	_ZN9rocsparseL42gtsv_transpose_and_pad_array_shared_kernelILj256ELj64E21rocsparse_complex_numIfEEEviiiPKT1_PS3_S3_,@function
_ZN9rocsparseL42gtsv_transpose_and_pad_array_shared_kernelILj256ELj64E21rocsparse_complex_numIfEEEviiiPKT1_PS3_S3_: ; @_ZN9rocsparseL42gtsv_transpose_and_pad_array_shared_kernelILj256ELj64E21rocsparse_complex_numIfEEEviiiPKT1_PS3_S3_
; %bb.0:
	s_load_dwordx4 s[0:3], s[4:5], 0x0
	v_lshl_or_b32 v3, s6, 8, v0
                                        ; implicit-def: $sgpr10_sgpr11
	s_waitcnt lgkmcnt(0)
	v_cmp_le_i32_e32 vcc, s0, v3
	s_and_saveexec_b64 s[8:9], vcc
	s_xor_b64 s[8:9], exec, s[8:9]
; %bb.1:
	s_load_dwordx2 s[10:11], s[4:5], 0x20
                                        ; implicit-def: $vgpr3
; %bb.2:
	s_or_saveexec_b64 s[8:9], s[8:9]
	s_waitcnt lgkmcnt(0)
	v_mov_b32_e32 v1, s10
	v_mov_b32_e32 v2, s11
	s_xor_b64 exec, exec, s[8:9]
	s_cbranch_execz .LBB237_4
; %bb.3:
	s_load_dwordx2 s[10:11], s[4:5], 0x10
	s_mul_i32 s0, s2, s7
	v_add_u32_e32 v1, s0, v3
	v_ashrrev_i32_e32 v2, 31, v1
	v_lshlrev_b64 v[1:2], 3, v[1:2]
	s_waitcnt lgkmcnt(0)
	v_mov_b32_e32 v3, s11
	v_add_co_u32_e32 v1, vcc, s10, v1
	v_addc_co_u32_e32 v2, vcc, v3, v2, vcc
	global_load_dwordx2 v[1:2], v[1:2], off
.LBB237_4:
	s_or_b64 exec, exec, s[8:9]
	v_lshrrev_b32_e32 v3, 2, v0
	v_and_b32_e32 v4, 3, v0
	v_lshlrev_b32_e32 v0, 3, v0
	s_waitcnt vmcnt(0)
	ds_write_b64 v0, v[1:2]
	s_lshr_b32 s0, s1, 6
	v_lshl_or_b32 v0, s6, 2, v4
	v_mad_u64_u32 v[0:1], s[2:3], s0, v3, v[0:1]
	s_waitcnt lgkmcnt(0)
	s_barrier
	v_cmp_gt_i32_e32 vcc, s1, v0
	s_and_saveexec_b64 s[2:3], vcc
	s_cbranch_execz .LBB237_6
; %bb.5:
	s_load_dwordx2 s[2:3], s[4:5], 0x18
	v_lshlrev_b32_e32 v1, 3, v3
	s_mul_i32 s0, s1, s7
	v_lshl_or_b32 v2, v4, 9, v1
	v_add_u32_e32 v0, s0, v0
	v_ashrrev_i32_e32 v1, 31, v0
	ds_read_b64 v[2:3], v2
	v_lshlrev_b64 v[0:1], 3, v[0:1]
	s_waitcnt lgkmcnt(0)
	v_mov_b32_e32 v4, s3
	v_add_co_u32_e32 v0, vcc, s2, v0
	v_addc_co_u32_e32 v1, vcc, v4, v1, vcc
	global_store_dwordx2 v[0:1], v[2:3], off
.LBB237_6:
	s_endpgm
	.section	.rodata,"a",@progbits
	.p2align	6, 0x0
	.amdhsa_kernel _ZN9rocsparseL42gtsv_transpose_and_pad_array_shared_kernelILj256ELj64E21rocsparse_complex_numIfEEEviiiPKT1_PS3_S3_
		.amdhsa_group_segment_fixed_size 2048
		.amdhsa_private_segment_fixed_size 0
		.amdhsa_kernarg_size 40
		.amdhsa_user_sgpr_count 6
		.amdhsa_user_sgpr_private_segment_buffer 1
		.amdhsa_user_sgpr_dispatch_ptr 0
		.amdhsa_user_sgpr_queue_ptr 0
		.amdhsa_user_sgpr_kernarg_segment_ptr 1
		.amdhsa_user_sgpr_dispatch_id 0
		.amdhsa_user_sgpr_flat_scratch_init 0
		.amdhsa_user_sgpr_private_segment_size 0
		.amdhsa_uses_dynamic_stack 0
		.amdhsa_system_sgpr_private_segment_wavefront_offset 0
		.amdhsa_system_sgpr_workgroup_id_x 1
		.amdhsa_system_sgpr_workgroup_id_y 1
		.amdhsa_system_sgpr_workgroup_id_z 0
		.amdhsa_system_sgpr_workgroup_info 0
		.amdhsa_system_vgpr_workitem_id 0
		.amdhsa_next_free_vgpr 5
		.amdhsa_next_free_sgpr 12
		.amdhsa_reserve_vcc 1
		.amdhsa_reserve_flat_scratch 0
		.amdhsa_float_round_mode_32 0
		.amdhsa_float_round_mode_16_64 0
		.amdhsa_float_denorm_mode_32 3
		.amdhsa_float_denorm_mode_16_64 3
		.amdhsa_dx10_clamp 1
		.amdhsa_ieee_mode 1
		.amdhsa_fp16_overflow 0
		.amdhsa_exception_fp_ieee_invalid_op 0
		.amdhsa_exception_fp_denorm_src 0
		.amdhsa_exception_fp_ieee_div_zero 0
		.amdhsa_exception_fp_ieee_overflow 0
		.amdhsa_exception_fp_ieee_underflow 0
		.amdhsa_exception_fp_ieee_inexact 0
		.amdhsa_exception_int_div_zero 0
	.end_amdhsa_kernel
	.section	.text._ZN9rocsparseL42gtsv_transpose_and_pad_array_shared_kernelILj256ELj64E21rocsparse_complex_numIfEEEviiiPKT1_PS3_S3_,"axG",@progbits,_ZN9rocsparseL42gtsv_transpose_and_pad_array_shared_kernelILj256ELj64E21rocsparse_complex_numIfEEEviiiPKT1_PS3_S3_,comdat
.Lfunc_end237:
	.size	_ZN9rocsparseL42gtsv_transpose_and_pad_array_shared_kernelILj256ELj64E21rocsparse_complex_numIfEEEviiiPKT1_PS3_S3_, .Lfunc_end237-_ZN9rocsparseL42gtsv_transpose_and_pad_array_shared_kernelILj256ELj64E21rocsparse_complex_numIfEEEviiiPKT1_PS3_S3_
                                        ; -- End function
	.set _ZN9rocsparseL42gtsv_transpose_and_pad_array_shared_kernelILj256ELj64E21rocsparse_complex_numIfEEEviiiPKT1_PS3_S3_.num_vgpr, 5
	.set _ZN9rocsparseL42gtsv_transpose_and_pad_array_shared_kernelILj256ELj64E21rocsparse_complex_numIfEEEviiiPKT1_PS3_S3_.num_agpr, 0
	.set _ZN9rocsparseL42gtsv_transpose_and_pad_array_shared_kernelILj256ELj64E21rocsparse_complex_numIfEEEviiiPKT1_PS3_S3_.numbered_sgpr, 12
	.set _ZN9rocsparseL42gtsv_transpose_and_pad_array_shared_kernelILj256ELj64E21rocsparse_complex_numIfEEEviiiPKT1_PS3_S3_.num_named_barrier, 0
	.set _ZN9rocsparseL42gtsv_transpose_and_pad_array_shared_kernelILj256ELj64E21rocsparse_complex_numIfEEEviiiPKT1_PS3_S3_.private_seg_size, 0
	.set _ZN9rocsparseL42gtsv_transpose_and_pad_array_shared_kernelILj256ELj64E21rocsparse_complex_numIfEEEviiiPKT1_PS3_S3_.uses_vcc, 1
	.set _ZN9rocsparseL42gtsv_transpose_and_pad_array_shared_kernelILj256ELj64E21rocsparse_complex_numIfEEEviiiPKT1_PS3_S3_.uses_flat_scratch, 0
	.set _ZN9rocsparseL42gtsv_transpose_and_pad_array_shared_kernelILj256ELj64E21rocsparse_complex_numIfEEEviiiPKT1_PS3_S3_.has_dyn_sized_stack, 0
	.set _ZN9rocsparseL42gtsv_transpose_and_pad_array_shared_kernelILj256ELj64E21rocsparse_complex_numIfEEEviiiPKT1_PS3_S3_.has_recursion, 0
	.set _ZN9rocsparseL42gtsv_transpose_and_pad_array_shared_kernelILj256ELj64E21rocsparse_complex_numIfEEEviiiPKT1_PS3_S3_.has_indirect_call, 0
	.section	.AMDGPU.csdata,"",@progbits
; Kernel info:
; codeLenInByte = 260
; TotalNumSgprs: 16
; NumVgprs: 5
; ScratchSize: 0
; MemoryBound: 0
; FloatMode: 240
; IeeeMode: 1
; LDSByteSize: 2048 bytes/workgroup (compile time only)
; SGPRBlocks: 1
; VGPRBlocks: 1
; NumSGPRsForWavesPerEU: 16
; NumVGPRsForWavesPerEU: 5
; Occupancy: 10
; WaveLimiterHint : 0
; COMPUTE_PGM_RSRC2:SCRATCH_EN: 0
; COMPUTE_PGM_RSRC2:USER_SGPR: 6
; COMPUTE_PGM_RSRC2:TRAP_HANDLER: 0
; COMPUTE_PGM_RSRC2:TGID_X_EN: 1
; COMPUTE_PGM_RSRC2:TGID_Y_EN: 1
; COMPUTE_PGM_RSRC2:TGID_Z_EN: 0
; COMPUTE_PGM_RSRC2:TIDIG_COMP_CNT: 0
	.section	.text._ZN9rocsparseL18gtsv_LBM_wv_kernelILj256ELj64E21rocsparse_complex_numIfEEEviiiPKT1_S5_S5_PS3_S6_S6_Pi,"axG",@progbits,_ZN9rocsparseL18gtsv_LBM_wv_kernelILj256ELj64E21rocsparse_complex_numIfEEEviiiPKT1_S5_S5_PS3_S6_S6_Pi,comdat
	.globl	_ZN9rocsparseL18gtsv_LBM_wv_kernelILj256ELj64E21rocsparse_complex_numIfEEEviiiPKT1_S5_S5_PS3_S6_S6_Pi ; -- Begin function _ZN9rocsparseL18gtsv_LBM_wv_kernelILj256ELj64E21rocsparse_complex_numIfEEEviiiPKT1_S5_S5_PS3_S6_S6_Pi
	.p2align	8
	.type	_ZN9rocsparseL18gtsv_LBM_wv_kernelILj256ELj64E21rocsparse_complex_numIfEEEviiiPKT1_S5_S5_PS3_S6_S6_Pi,@function
_ZN9rocsparseL18gtsv_LBM_wv_kernelILj256ELj64E21rocsparse_complex_numIfEEEviiiPKT1_S5_S5_PS3_S6_S6_Pi: ; @_ZN9rocsparseL18gtsv_LBM_wv_kernelILj256ELj64E21rocsparse_complex_numIfEEEviiiPKT1_S5_S5_PS3_S6_S6_Pi
; %bb.0:
	s_load_dword s29, s[4:5], 0x0
	v_lshl_or_b32 v0, s6, 8, v0
	s_waitcnt lgkmcnt(0)
	s_lshr_b32 s28, s29, 6
	v_cmp_gt_i32_e32 vcc, s28, v0
	s_and_saveexec_b64 s[0:1], vcc
	s_cbranch_execz .LBB238_72
; %bb.1:
	s_load_dwordx2 s[16:17], s[4:5], 0x10
	s_load_dwordx8 s[8:15], s[4:5], 0x20
	v_ashrrev_i32_e32 v1, 31, v0
	v_lshlrev_b64 v[4:5], 3, v[0:1]
	s_mul_i32 s30, s28, 63
	s_waitcnt lgkmcnt(0)
	v_mov_b32_e32 v2, s17
	v_add_co_u32_e32 v1, vcc, s16, v4
	v_addc_co_u32_e32 v2, vcc, v2, v5, vcc
	global_load_dwordx2 v[6:7], v[1:2], off
	v_add_u32_e32 v2, s30, v0
	v_mov_b32_e32 v3, 0
	v_lshlrev_b64 v[8:9], 3, v[2:3]
	v_mov_b32_e32 v2, s9
	v_add_co_u32_e32 v1, vcc, s8, v8
	v_addc_co_u32_e32 v2, vcc, v2, v9, vcc
	global_load_dwordx2 v[10:11], v[1:2], off
	s_load_dwordx2 s[6:7], s[4:5], 0x40
	v_mov_b32_e32 v2, s11
	v_add_co_u32_e32 v1, vcc, s10, v4
	v_addc_co_u32_e32 v2, vcc, v2, v5, vcc
	s_cmp_lt_i32 s29, 1
	v_add_u32_e32 v35, s28, v0
	v_mov_b32_e32 v12, s13
	v_add_co_u32_e32 v8, vcc, s12, v8
	v_addc_co_u32_e32 v9, vcc, v12, v9, vcc
	s_waitcnt vmcnt(1)
	global_store_dwordx2 v[1:2], v[6:7], off
	s_waitcnt vmcnt(1)
	global_store_dwordx2 v[8:9], v[10:11], off
	s_cbranch_scc1 .LBB238_65
; %bb.2:
	s_load_dwordx2 s[18:19], s[4:5], 0x18
	s_mov_b32 s22, 0x372fe950
	s_mul_i32 s31, s28, 62
	s_lshl_b32 s33, s28, 1
	v_add_u32_e32 v36, s28, v35
	s_waitcnt lgkmcnt(0)
	v_mov_b32_e32 v6, s19
	v_add_co_u32_e32 v3, vcc, s18, v4
	v_addc_co_u32_e32 v4, vcc, v6, v5, vcc
	global_load_dwordx2 v[7:8], v[3:4], off
	v_mov_b32_e32 v3, 0
	s_mov_b64 s[20:21], 0
	s_mov_b32 s34, 0xf800000
	v_mov_b32_e32 v37, 0x260
	s_mov_b32 s23, 0x3fe3c6ef
	v_mov_b32_e32 v38, 2
	v_mov_b32_e32 v39, 1
	s_branch .LBB238_5
.LBB238_3:                              ;   in Loop: Header=BB238_5 Depth=1
	s_or_b64 exec, exec, s[4:5]
	v_mul_f32_e64 v5, v7, -v25
	v_mul_f32_e32 v6, v7, v24
	v_fmac_f32_e32 v5, v24, v4
	v_fmac_f32_e32 v6, v25, v4
	v_sub_f32_e32 v7, v19, v5
	v_sub_f32_e32 v8, v20, v6
	v_mov_b32_e32 v4, s28
.LBB238_4:                              ;   in Loop: Header=BB238_5 Depth=1
	s_or_b64 exec, exec, s[2:3]
	v_add_u32_e32 v3, v4, v3
	v_cmp_le_i32_e32 vcc, s29, v3
	s_or_b64 s[20:21], vcc, s[20:21]
	s_andn2_b64 exec, exec, s[20:21]
	s_cbranch_execz .LBB238_64
.LBB238_5:                              ; =>This Inner Loop Header: Depth=1
	v_add_u32_e32 v11, v3, v0
	v_ashrrev_i32_e32 v12, 31, v11
	v_lshlrev_b64 v[15:16], 3, v[11:12]
	v_mov_b32_e32 v5, s9
	v_add_co_u32_e32 v4, vcc, s8, v15
	v_addc_co_u32_e32 v5, vcc, v5, v16, vcc
	global_load_dwordx2 v[13:14], v[4:5], off
	v_cmp_gt_u32_e64 s[0:1], s30, v3
	v_mov_b32_e32 v5, 0
	v_mov_b32_e32 v6, 0
	s_and_saveexec_b64 s[2:3], s[0:1]
	s_cbranch_execz .LBB238_7
; %bb.6:                                ;   in Loop: Header=BB238_5 Depth=1
	v_add_u32_e32 v4, v35, v3
	v_ashrrev_i32_e32 v5, 31, v4
	v_lshlrev_b64 v[4:5], 3, v[4:5]
	v_mov_b32_e32 v6, s17
	v_add_co_u32_e32 v4, vcc, s16, v4
	v_addc_co_u32_e32 v5, vcc, v6, v5, vcc
	global_load_dwordx2 v[5:6], v[4:5], off
.LBB238_7:                              ;   in Loop: Header=BB238_5 Depth=1
	s_or_b64 exec, exec, s[2:3]
	v_mov_b32_e32 v9, 0
	v_mov_b32_e32 v19, 0
	;; [unrolled: 1-line block ×3, first 2 shown]
	s_and_saveexec_b64 s[2:3], s[0:1]
	s_cbranch_execz .LBB238_9
; %bb.8:                                ;   in Loop: Header=BB238_5 Depth=1
	v_add_u32_e32 v17, v35, v3
	v_ashrrev_i32_e32 v18, 31, v17
	v_lshlrev_b64 v[17:18], 3, v[17:18]
	v_mov_b32_e32 v4, s19
	v_add_co_u32_e32 v17, vcc, s18, v17
	v_addc_co_u32_e32 v18, vcc, v4, v18, vcc
	global_load_dwordx2 v[19:20], v[17:18], off
.LBB238_9:                              ;   in Loop: Header=BB238_5 Depth=1
	s_or_b64 exec, exec, s[2:3]
	v_mov_b32_e32 v10, 0
	s_and_saveexec_b64 s[2:3], s[0:1]
	s_cbranch_execz .LBB238_11
; %bb.10:                               ;   in Loop: Header=BB238_5 Depth=1
	v_add_u32_e32 v9, v35, v3
	v_ashrrev_i32_e32 v10, 31, v9
	v_lshlrev_b64 v[9:10], 3, v[9:10]
	v_mov_b32_e32 v4, s9
	v_add_co_u32_e32 v9, vcc, s8, v9
	v_addc_co_u32_e32 v10, vcc, v4, v10, vcc
	global_load_dwordx2 v[9:10], v[9:10], off
.LBB238_11:                             ;   in Loop: Header=BB238_5 Depth=1
	s_or_b64 exec, exec, s[2:3]
	v_cmp_gt_u32_e64 s[2:3], s31, v3
	v_mov_b32_e32 v17, 0
	v_mov_b32_e32 v18, 0
	s_and_saveexec_b64 s[4:5], s[2:3]
	s_cbranch_execz .LBB238_13
; %bb.12:                               ;   in Loop: Header=BB238_5 Depth=1
	v_add_u32_e32 v17, v36, v3
	v_ashrrev_i32_e32 v18, 31, v17
	v_lshlrev_b64 v[17:18], 3, v[17:18]
	v_mov_b32_e32 v4, s17
	v_add_co_u32_e32 v17, vcc, s16, v17
	v_addc_co_u32_e32 v18, vcc, v4, v18, vcc
	global_load_dwordx2 v[17:18], v[17:18], off
.LBB238_13:                             ;   in Loop: Header=BB238_5 Depth=1
	s_or_b64 exec, exec, s[4:5]
	s_waitcnt vmcnt(0)
	v_cmp_gt_f32_e32 vcc, 0, v5
	v_cndmask_b32_e64 v21, v5, -v5, vcc
	v_cmp_gt_f32_e32 vcc, 0, v6
	v_cndmask_b32_e64 v22, v6, -v6, vcc
	v_cmp_ngt_f32_e32 vcc, v21, v22
                                        ; implicit-def: $vgpr4
	s_and_saveexec_b64 s[4:5], vcc
	s_xor_b64 s[24:25], exec, s[4:5]
	s_cbranch_execz .LBB238_17
; %bb.14:                               ;   in Loop: Header=BB238_5 Depth=1
	v_mov_b32_e32 v4, 0
	v_cmp_neq_f32_e32 vcc, 0, v6
	s_and_saveexec_b64 s[26:27], vcc
	s_cbranch_execz .LBB238_16
; %bb.15:                               ;   in Loop: Header=BB238_5 Depth=1
	v_div_scale_f32 v4, s[4:5], v22, v22, v21
	v_div_scale_f32 v23, vcc, v21, v22, v21
	v_rcp_f32_e32 v24, v4
	v_fma_f32 v25, -v4, v24, 1.0
	v_fmac_f32_e32 v24, v25, v24
	v_mul_f32_e32 v25, v23, v24
	v_fma_f32 v26, -v4, v25, v23
	v_fmac_f32_e32 v25, v26, v24
	v_fma_f32 v4, -v4, v25, v23
	v_div_fmas_f32 v4, v4, v24, v25
	v_div_fixup_f32 v4, v4, v22, v21
	v_fma_f32 v4, v4, v4, 1.0
	v_mul_f32_e32 v21, 0x4f800000, v4
	v_cmp_gt_f32_e32 vcc, s34, v4
	v_cndmask_b32_e32 v4, v4, v21, vcc
	v_sqrt_f32_e32 v21, v4
	v_add_u32_e32 v23, -1, v21
	v_add_u32_e32 v24, 1, v21
	v_fma_f32 v25, -v23, v21, v4
	v_fma_f32 v26, -v24, v21, v4
	v_cmp_ge_f32_e64 s[4:5], 0, v25
	v_cndmask_b32_e64 v21, v21, v23, s[4:5]
	v_cmp_lt_f32_e64 s[4:5], 0, v26
	v_cndmask_b32_e64 v21, v21, v24, s[4:5]
	v_mul_f32_e32 v23, 0x37800000, v21
	v_cndmask_b32_e32 v21, v21, v23, vcc
	v_cmp_class_f32_e32 vcc, v4, v37
	v_cndmask_b32_e32 v4, v21, v4, vcc
	v_mul_f32_e32 v4, v22, v4
.LBB238_16:                             ;   in Loop: Header=BB238_5 Depth=1
	s_or_b64 exec, exec, s[26:27]
                                        ; implicit-def: $vgpr21
                                        ; implicit-def: $vgpr22
.LBB238_17:                             ;   in Loop: Header=BB238_5 Depth=1
	s_andn2_saveexec_b64 s[24:25], s[24:25]
	s_cbranch_execz .LBB238_19
; %bb.18:                               ;   in Loop: Header=BB238_5 Depth=1
	v_div_scale_f32 v4, s[4:5], v21, v21, v22
	v_div_scale_f32 v23, vcc, v22, v21, v22
	v_rcp_f32_e32 v24, v4
	v_fma_f32 v25, -v4, v24, 1.0
	v_fmac_f32_e32 v24, v25, v24
	v_mul_f32_e32 v25, v23, v24
	v_fma_f32 v26, -v4, v25, v23
	v_fmac_f32_e32 v25, v26, v24
	v_fma_f32 v4, -v4, v25, v23
	v_div_fmas_f32 v4, v4, v24, v25
	v_div_fixup_f32 v4, v4, v21, v22
	v_fma_f32 v4, v4, v4, 1.0
	v_mul_f32_e32 v22, 0x4f800000, v4
	v_cmp_gt_f32_e32 vcc, s34, v4
	v_cndmask_b32_e32 v4, v4, v22, vcc
	v_sqrt_f32_e32 v22, v4
	v_add_u32_e32 v23, -1, v22
	v_add_u32_e32 v24, 1, v22
	v_fma_f32 v25, -v23, v22, v4
	v_fma_f32 v26, -v24, v22, v4
	v_cmp_ge_f32_e64 s[4:5], 0, v25
	v_cndmask_b32_e64 v22, v22, v23, s[4:5]
	v_cmp_lt_f32_e64 s[4:5], 0, v26
	v_cndmask_b32_e64 v22, v22, v24, s[4:5]
	v_mul_f32_e32 v23, 0x37800000, v22
	v_cndmask_b32_e32 v22, v22, v23, vcc
	v_cmp_class_f32_e32 vcc, v4, v37
	v_cndmask_b32_e32 v4, v22, v4, vcc
	v_mul_f32_e32 v4, v21, v4
.LBB238_19:                             ;   in Loop: Header=BB238_5 Depth=1
	s_or_b64 exec, exec, s[24:25]
	v_cmp_gt_f32_e32 vcc, 0, v17
	v_cndmask_b32_e64 v22, v17, -v17, vcc
	v_cmp_gt_f32_e32 vcc, 0, v18
	v_cndmask_b32_e64 v23, v18, -v18, vcc
	v_cmp_ngt_f32_e32 vcc, v22, v23
                                        ; implicit-def: $vgpr21
	s_and_saveexec_b64 s[4:5], vcc
	s_xor_b64 s[24:25], exec, s[4:5]
	s_cbranch_execz .LBB238_23
; %bb.20:                               ;   in Loop: Header=BB238_5 Depth=1
	v_mov_b32_e32 v21, 0
	v_cmp_neq_f32_e32 vcc, 0, v18
	s_and_saveexec_b64 s[26:27], vcc
	s_cbranch_execz .LBB238_22
; %bb.21:                               ;   in Loop: Header=BB238_5 Depth=1
	v_div_scale_f32 v21, s[4:5], v23, v23, v22
	v_div_scale_f32 v24, vcc, v22, v23, v22
	v_rcp_f32_e32 v25, v21
	v_fma_f32 v26, -v21, v25, 1.0
	v_fmac_f32_e32 v25, v26, v25
	v_mul_f32_e32 v26, v24, v25
	v_fma_f32 v27, -v21, v26, v24
	v_fmac_f32_e32 v26, v27, v25
	v_fma_f32 v21, -v21, v26, v24
	v_div_fmas_f32 v21, v21, v25, v26
	v_div_fixup_f32 v21, v21, v23, v22
	v_fma_f32 v21, v21, v21, 1.0
	v_mul_f32_e32 v22, 0x4f800000, v21
	v_cmp_gt_f32_e32 vcc, s34, v21
	v_cndmask_b32_e32 v21, v21, v22, vcc
	v_sqrt_f32_e32 v22, v21
	v_add_u32_e32 v24, -1, v22
	v_add_u32_e32 v25, 1, v22
	v_fma_f32 v26, -v24, v22, v21
	v_fma_f32 v27, -v25, v22, v21
	v_cmp_ge_f32_e64 s[4:5], 0, v26
	v_cndmask_b32_e64 v22, v22, v24, s[4:5]
	v_cmp_lt_f32_e64 s[4:5], 0, v27
	v_cndmask_b32_e64 v22, v22, v25, s[4:5]
	v_mul_f32_e32 v24, 0x37800000, v22
	v_cndmask_b32_e32 v22, v22, v24, vcc
	v_cmp_class_f32_e32 vcc, v21, v37
	v_cndmask_b32_e32 v21, v22, v21, vcc
	v_mul_f32_e32 v21, v23, v21
.LBB238_22:                             ;   in Loop: Header=BB238_5 Depth=1
	s_or_b64 exec, exec, s[26:27]
                                        ; implicit-def: $vgpr22
                                        ; implicit-def: $vgpr23
.LBB238_23:                             ;   in Loop: Header=BB238_5 Depth=1
	s_andn2_saveexec_b64 s[24:25], s[24:25]
	s_cbranch_execz .LBB238_25
; %bb.24:                               ;   in Loop: Header=BB238_5 Depth=1
	v_div_scale_f32 v21, s[4:5], v22, v22, v23
	v_div_scale_f32 v24, vcc, v23, v22, v23
	v_rcp_f32_e32 v25, v21
	v_fma_f32 v26, -v21, v25, 1.0
	v_fmac_f32_e32 v25, v26, v25
	v_mul_f32_e32 v26, v24, v25
	v_fma_f32 v27, -v21, v26, v24
	v_fmac_f32_e32 v26, v27, v25
	v_fma_f32 v21, -v21, v26, v24
	v_div_fmas_f32 v21, v21, v25, v26
	v_div_fixup_f32 v21, v21, v22, v23
	v_fma_f32 v21, v21, v21, 1.0
	v_mul_f32_e32 v23, 0x4f800000, v21
	v_cmp_gt_f32_e32 vcc, s34, v21
	v_cndmask_b32_e32 v21, v21, v23, vcc
	v_sqrt_f32_e32 v23, v21
	v_add_u32_e32 v24, -1, v23
	v_add_u32_e32 v25, 1, v23
	v_fma_f32 v26, -v24, v23, v21
	v_fma_f32 v27, -v25, v23, v21
	v_cmp_ge_f32_e64 s[4:5], 0, v26
	v_cndmask_b32_e64 v23, v23, v24, s[4:5]
	v_cmp_lt_f32_e64 s[4:5], 0, v27
	v_cndmask_b32_e64 v23, v23, v25, s[4:5]
	v_mul_f32_e32 v24, 0x37800000, v23
	v_cndmask_b32_e32 v23, v23, v24, vcc
	v_cmp_class_f32_e32 vcc, v21, v37
	v_cndmask_b32_e32 v21, v23, v21, vcc
	v_mul_f32_e32 v21, v22, v21
.LBB238_25:                             ;   in Loop: Header=BB238_5 Depth=1
	s_or_b64 exec, exec, s[24:25]
	v_cmp_gt_f32_e32 vcc, 0, v19
	v_cndmask_b32_e64 v23, v19, -v19, vcc
	v_cmp_gt_f32_e32 vcc, 0, v20
	v_cndmask_b32_e64 v24, v20, -v20, vcc
	v_cmp_ngt_f32_e32 vcc, v23, v24
                                        ; implicit-def: $vgpr22
	s_and_saveexec_b64 s[4:5], vcc
	s_xor_b64 s[24:25], exec, s[4:5]
	s_cbranch_execz .LBB238_29
; %bb.26:                               ;   in Loop: Header=BB238_5 Depth=1
	v_mov_b32_e32 v22, 0
	v_cmp_neq_f32_e32 vcc, 0, v20
	s_and_saveexec_b64 s[26:27], vcc
	s_cbranch_execz .LBB238_28
; %bb.27:                               ;   in Loop: Header=BB238_5 Depth=1
	v_div_scale_f32 v22, s[4:5], v24, v24, v23
	v_div_scale_f32 v25, vcc, v23, v24, v23
	v_rcp_f32_e32 v26, v22
	v_fma_f32 v27, -v22, v26, 1.0
	v_fmac_f32_e32 v26, v27, v26
	v_mul_f32_e32 v27, v25, v26
	v_fma_f32 v28, -v22, v27, v25
	v_fmac_f32_e32 v27, v28, v26
	v_fma_f32 v22, -v22, v27, v25
	v_div_fmas_f32 v22, v22, v26, v27
	v_div_fixup_f32 v22, v22, v24, v23
	v_fma_f32 v22, v22, v22, 1.0
	v_mul_f32_e32 v23, 0x4f800000, v22
	v_cmp_gt_f32_e32 vcc, s34, v22
	v_cndmask_b32_e32 v22, v22, v23, vcc
	v_sqrt_f32_e32 v23, v22
	v_add_u32_e32 v25, -1, v23
	v_add_u32_e32 v26, 1, v23
	v_fma_f32 v27, -v25, v23, v22
	v_fma_f32 v28, -v26, v23, v22
	v_cmp_ge_f32_e64 s[4:5], 0, v27
	v_cndmask_b32_e64 v23, v23, v25, s[4:5]
	v_cmp_lt_f32_e64 s[4:5], 0, v28
	v_cndmask_b32_e64 v23, v23, v26, s[4:5]
	v_mul_f32_e32 v25, 0x37800000, v23
	v_cndmask_b32_e32 v23, v23, v25, vcc
	v_cmp_class_f32_e32 vcc, v22, v37
	v_cndmask_b32_e32 v22, v23, v22, vcc
	v_mul_f32_e32 v22, v24, v22
.LBB238_28:                             ;   in Loop: Header=BB238_5 Depth=1
	s_or_b64 exec, exec, s[26:27]
                                        ; implicit-def: $vgpr23
                                        ; implicit-def: $vgpr24
.LBB238_29:                             ;   in Loop: Header=BB238_5 Depth=1
	s_andn2_saveexec_b64 s[24:25], s[24:25]
	s_cbranch_execz .LBB238_31
; %bb.30:                               ;   in Loop: Header=BB238_5 Depth=1
	v_div_scale_f32 v22, s[4:5], v23, v23, v24
	v_div_scale_f32 v25, vcc, v24, v23, v24
	v_rcp_f32_e32 v26, v22
	v_fma_f32 v27, -v22, v26, 1.0
	v_fmac_f32_e32 v26, v27, v26
	v_mul_f32_e32 v27, v25, v26
	v_fma_f32 v28, -v22, v27, v25
	v_fmac_f32_e32 v27, v28, v26
	v_fma_f32 v22, -v22, v27, v25
	v_div_fmas_f32 v22, v22, v26, v27
	v_div_fixup_f32 v22, v22, v23, v24
	v_fma_f32 v22, v22, v22, 1.0
	v_mul_f32_e32 v24, 0x4f800000, v22
	v_cmp_gt_f32_e32 vcc, s34, v22
	v_cndmask_b32_e32 v22, v22, v24, vcc
	v_sqrt_f32_e32 v24, v22
	v_add_u32_e32 v25, -1, v24
	v_add_u32_e32 v26, 1, v24
	v_fma_f32 v27, -v25, v24, v22
	v_fma_f32 v28, -v26, v24, v22
	v_cmp_ge_f32_e64 s[4:5], 0, v27
	v_cndmask_b32_e64 v24, v24, v25, s[4:5]
	v_cmp_lt_f32_e64 s[4:5], 0, v28
	v_cndmask_b32_e64 v24, v24, v26, s[4:5]
	v_mul_f32_e32 v25, 0x37800000, v24
	v_cndmask_b32_e32 v24, v24, v25, vcc
	v_cmp_class_f32_e32 vcc, v22, v37
	v_cndmask_b32_e32 v22, v24, v22, vcc
	v_mul_f32_e32 v22, v23, v22
.LBB238_31:                             ;   in Loop: Header=BB238_5 Depth=1
	s_or_b64 exec, exec, s[24:25]
	v_cmp_gt_f32_e32 vcc, 0, v13
	v_cndmask_b32_e64 v24, v13, -v13, vcc
	v_cmp_gt_f32_e32 vcc, 0, v14
	v_cndmask_b32_e64 v25, v14, -v14, vcc
	v_cmp_ngt_f32_e32 vcc, v24, v25
                                        ; implicit-def: $vgpr23
	s_and_saveexec_b64 s[4:5], vcc
	s_xor_b64 s[24:25], exec, s[4:5]
	s_cbranch_execz .LBB238_35
; %bb.32:                               ;   in Loop: Header=BB238_5 Depth=1
	v_mov_b32_e32 v23, 0
	v_cmp_neq_f32_e32 vcc, 0, v14
	s_and_saveexec_b64 s[26:27], vcc
	s_cbranch_execz .LBB238_34
; %bb.33:                               ;   in Loop: Header=BB238_5 Depth=1
	v_div_scale_f32 v23, s[4:5], v25, v25, v24
	v_div_scale_f32 v26, vcc, v24, v25, v24
	v_rcp_f32_e32 v27, v23
	v_fma_f32 v28, -v23, v27, 1.0
	v_fmac_f32_e32 v27, v28, v27
	v_mul_f32_e32 v28, v26, v27
	v_fma_f32 v29, -v23, v28, v26
	v_fmac_f32_e32 v28, v29, v27
	v_fma_f32 v23, -v23, v28, v26
	v_div_fmas_f32 v23, v23, v27, v28
	v_div_fixup_f32 v23, v23, v25, v24
	v_fma_f32 v23, v23, v23, 1.0
	v_mul_f32_e32 v24, 0x4f800000, v23
	v_cmp_gt_f32_e32 vcc, s34, v23
	v_cndmask_b32_e32 v23, v23, v24, vcc
	v_sqrt_f32_e32 v24, v23
	v_add_u32_e32 v26, -1, v24
	v_add_u32_e32 v27, 1, v24
	v_fma_f32 v28, -v26, v24, v23
	v_fma_f32 v29, -v27, v24, v23
	v_cmp_ge_f32_e64 s[4:5], 0, v28
	v_cndmask_b32_e64 v24, v24, v26, s[4:5]
	v_cmp_lt_f32_e64 s[4:5], 0, v29
	v_cndmask_b32_e64 v24, v24, v27, s[4:5]
	v_mul_f32_e32 v26, 0x37800000, v24
	v_cndmask_b32_e32 v24, v24, v26, vcc
	v_cmp_class_f32_e32 vcc, v23, v37
	v_cndmask_b32_e32 v23, v24, v23, vcc
	v_mul_f32_e32 v23, v25, v23
.LBB238_34:                             ;   in Loop: Header=BB238_5 Depth=1
	s_or_b64 exec, exec, s[26:27]
                                        ; implicit-def: $vgpr24
                                        ; implicit-def: $vgpr25
.LBB238_35:                             ;   in Loop: Header=BB238_5 Depth=1
	s_andn2_saveexec_b64 s[24:25], s[24:25]
	s_cbranch_execz .LBB238_37
; %bb.36:                               ;   in Loop: Header=BB238_5 Depth=1
	v_div_scale_f32 v23, s[4:5], v24, v24, v25
	v_div_scale_f32 v26, vcc, v25, v24, v25
	v_rcp_f32_e32 v27, v23
	v_fma_f32 v28, -v23, v27, 1.0
	v_fmac_f32_e32 v27, v28, v27
	v_mul_f32_e32 v28, v26, v27
	v_fma_f32 v29, -v23, v28, v26
	v_fmac_f32_e32 v28, v29, v27
	v_fma_f32 v23, -v23, v28, v26
	v_div_fmas_f32 v23, v23, v27, v28
	v_div_fixup_f32 v23, v23, v24, v25
	v_fma_f32 v23, v23, v23, 1.0
	v_mul_f32_e32 v25, 0x4f800000, v23
	v_cmp_gt_f32_e32 vcc, s34, v23
	v_cndmask_b32_e32 v23, v23, v25, vcc
	v_sqrt_f32_e32 v25, v23
	v_add_u32_e32 v26, -1, v25
	v_add_u32_e32 v27, 1, v25
	v_fma_f32 v28, -v26, v25, v23
	v_fma_f32 v29, -v27, v25, v23
	v_cmp_ge_f32_e64 s[4:5], 0, v28
	v_cndmask_b32_e64 v25, v25, v26, s[4:5]
	v_cmp_lt_f32_e64 s[4:5], 0, v29
	v_cndmask_b32_e64 v25, v25, v27, s[4:5]
	v_mul_f32_e32 v26, 0x37800000, v25
	v_cndmask_b32_e32 v25, v25, v26, vcc
	v_cmp_class_f32_e32 vcc, v23, v37
	v_cndmask_b32_e32 v23, v25, v23, vcc
	v_mul_f32_e32 v23, v24, v23
.LBB238_37:                             ;   in Loop: Header=BB238_5 Depth=1
	s_or_b64 exec, exec, s[24:25]
	v_cmp_gt_f32_e32 vcc, 0, v9
	v_cndmask_b32_e64 v24, v9, -v9, vcc
	v_cmp_gt_f32_e32 vcc, 0, v10
	v_cndmask_b32_e64 v25, v10, -v10, vcc
	v_cmp_ngt_f32_e32 vcc, v24, v25
                                        ; implicit-def: $vgpr26
	s_and_saveexec_b64 s[4:5], vcc
	s_xor_b64 s[24:25], exec, s[4:5]
	s_cbranch_execz .LBB238_41
; %bb.38:                               ;   in Loop: Header=BB238_5 Depth=1
	v_mov_b32_e32 v26, 0
	v_cmp_neq_f32_e32 vcc, 0, v10
	s_and_saveexec_b64 s[26:27], vcc
	s_cbranch_execz .LBB238_40
; %bb.39:                               ;   in Loop: Header=BB238_5 Depth=1
	v_div_scale_f32 v26, s[4:5], v25, v25, v24
	v_div_scale_f32 v27, vcc, v24, v25, v24
	v_rcp_f32_e32 v28, v26
	v_fma_f32 v29, -v26, v28, 1.0
	v_fmac_f32_e32 v28, v29, v28
	v_mul_f32_e32 v29, v27, v28
	v_fma_f32 v30, -v26, v29, v27
	v_fmac_f32_e32 v29, v30, v28
	v_fma_f32 v26, -v26, v29, v27
	v_div_fmas_f32 v26, v26, v28, v29
	v_div_fixup_f32 v24, v26, v25, v24
	v_fma_f32 v24, v24, v24, 1.0
	v_mul_f32_e32 v26, 0x4f800000, v24
	v_cmp_gt_f32_e32 vcc, s34, v24
	v_cndmask_b32_e32 v24, v24, v26, vcc
	v_sqrt_f32_e32 v26, v24
	v_add_u32_e32 v27, -1, v26
	v_add_u32_e32 v28, 1, v26
	v_fma_f32 v29, -v27, v26, v24
	v_fma_f32 v30, -v28, v26, v24
	v_cmp_ge_f32_e64 s[4:5], 0, v29
	v_cndmask_b32_e64 v26, v26, v27, s[4:5]
	v_cmp_lt_f32_e64 s[4:5], 0, v30
	v_cndmask_b32_e64 v26, v26, v28, s[4:5]
	v_mul_f32_e32 v27, 0x37800000, v26
	v_cndmask_b32_e32 v26, v26, v27, vcc
	v_cmp_class_f32_e32 vcc, v24, v37
	v_cndmask_b32_e32 v24, v26, v24, vcc
	v_mul_f32_e32 v26, v25, v24
.LBB238_40:                             ;   in Loop: Header=BB238_5 Depth=1
	s_or_b64 exec, exec, s[26:27]
                                        ; implicit-def: $vgpr24
                                        ; implicit-def: $vgpr25
.LBB238_41:                             ;   in Loop: Header=BB238_5 Depth=1
	s_andn2_saveexec_b64 s[24:25], s[24:25]
	s_cbranch_execz .LBB238_43
; %bb.42:                               ;   in Loop: Header=BB238_5 Depth=1
	v_div_scale_f32 v26, s[4:5], v24, v24, v25
	v_div_scale_f32 v27, vcc, v25, v24, v25
	v_rcp_f32_e32 v28, v26
	v_fma_f32 v29, -v26, v28, 1.0
	v_fmac_f32_e32 v28, v29, v28
	v_mul_f32_e32 v29, v27, v28
	v_fma_f32 v30, -v26, v29, v27
	v_fmac_f32_e32 v29, v30, v28
	v_fma_f32 v26, -v26, v29, v27
	v_div_fmas_f32 v26, v26, v28, v29
	v_div_fixup_f32 v25, v26, v24, v25
	v_fma_f32 v25, v25, v25, 1.0
	v_mul_f32_e32 v26, 0x4f800000, v25
	v_cmp_gt_f32_e32 vcc, s34, v25
	v_cndmask_b32_e32 v25, v25, v26, vcc
	v_sqrt_f32_e32 v26, v25
	v_add_u32_e32 v27, -1, v26
	v_add_u32_e32 v28, 1, v26
	v_fma_f32 v29, -v27, v26, v25
	v_fma_f32 v30, -v28, v26, v25
	v_cmp_ge_f32_e64 s[4:5], 0, v29
	v_cndmask_b32_e64 v26, v26, v27, s[4:5]
	v_cmp_lt_f32_e64 s[4:5], 0, v30
	v_cndmask_b32_e64 v26, v26, v28, s[4:5]
	v_mul_f32_e32 v27, 0x37800000, v26
	v_cndmask_b32_e32 v26, v26, v27, vcc
	v_cmp_class_f32_e32 vcc, v25, v37
	v_cndmask_b32_e32 v25, v26, v25, vcc
	v_mul_f32_e32 v26, v24, v25
.LBB238_43:                             ;   in Loop: Header=BB238_5 Depth=1
	s_or_b64 exec, exec, s[24:25]
	v_cmp_gt_f32_e32 vcc, 0, v7
	v_cndmask_b32_e64 v24, v7, -v7, vcc
	v_cmp_gt_f32_e32 vcc, 0, v8
	v_cndmask_b32_e64 v25, v8, -v8, vcc
	v_cmp_ngt_f32_e32 vcc, v24, v25
                                        ; implicit-def: $vgpr27
	s_and_saveexec_b64 s[4:5], vcc
	s_xor_b64 s[24:25], exec, s[4:5]
	s_cbranch_execz .LBB238_47
; %bb.44:                               ;   in Loop: Header=BB238_5 Depth=1
	v_mov_b32_e32 v27, 0
	v_cmp_neq_f32_e32 vcc, 0, v8
	s_and_saveexec_b64 s[26:27], vcc
	s_cbranch_execz .LBB238_46
; %bb.45:                               ;   in Loop: Header=BB238_5 Depth=1
	v_div_scale_f32 v27, s[4:5], v25, v25, v24
	v_div_scale_f32 v28, vcc, v24, v25, v24
	v_rcp_f32_e32 v29, v27
	v_fma_f32 v30, -v27, v29, 1.0
	v_fmac_f32_e32 v29, v30, v29
	v_mul_f32_e32 v30, v28, v29
	v_fma_f32 v31, -v27, v30, v28
	v_fmac_f32_e32 v30, v31, v29
	v_fma_f32 v27, -v27, v30, v28
	v_div_fmas_f32 v27, v27, v29, v30
	v_div_fixup_f32 v24, v27, v25, v24
	v_fma_f32 v24, v24, v24, 1.0
	v_mul_f32_e32 v27, 0x4f800000, v24
	v_cmp_gt_f32_e32 vcc, s34, v24
	v_cndmask_b32_e32 v24, v24, v27, vcc
	v_sqrt_f32_e32 v27, v24
	v_add_u32_e32 v28, -1, v27
	v_add_u32_e32 v29, 1, v27
	v_fma_f32 v30, -v28, v27, v24
	v_fma_f32 v31, -v29, v27, v24
	v_cmp_ge_f32_e64 s[4:5], 0, v30
	v_cndmask_b32_e64 v27, v27, v28, s[4:5]
	v_cmp_lt_f32_e64 s[4:5], 0, v31
	v_cndmask_b32_e64 v27, v27, v29, s[4:5]
	v_mul_f32_e32 v28, 0x37800000, v27
	v_cndmask_b32_e32 v27, v27, v28, vcc
	v_cmp_class_f32_e32 vcc, v24, v37
	v_cndmask_b32_e32 v24, v27, v24, vcc
	v_mul_f32_e32 v27, v25, v24
.LBB238_46:                             ;   in Loop: Header=BB238_5 Depth=1
	s_or_b64 exec, exec, s[26:27]
                                        ; implicit-def: $vgpr24
                                        ; implicit-def: $vgpr25
.LBB238_47:                             ;   in Loop: Header=BB238_5 Depth=1
	s_andn2_saveexec_b64 s[24:25], s[24:25]
	s_cbranch_execz .LBB238_49
; %bb.48:                               ;   in Loop: Header=BB238_5 Depth=1
	v_div_scale_f32 v27, s[4:5], v24, v24, v25
	v_div_scale_f32 v28, vcc, v25, v24, v25
	v_rcp_f32_e32 v29, v27
	v_fma_f32 v30, -v27, v29, 1.0
	v_fmac_f32_e32 v29, v30, v29
	v_mul_f32_e32 v30, v28, v29
	v_fma_f32 v31, -v27, v30, v28
	v_fmac_f32_e32 v30, v31, v29
	v_fma_f32 v27, -v27, v30, v28
	v_div_fmas_f32 v27, v27, v29, v30
	v_div_fixup_f32 v25, v27, v24, v25
	v_fma_f32 v25, v25, v25, 1.0
	v_mul_f32_e32 v27, 0x4f800000, v25
	v_cmp_gt_f32_e32 vcc, s34, v25
	v_cndmask_b32_e32 v25, v25, v27, vcc
	v_sqrt_f32_e32 v27, v25
	v_add_u32_e32 v28, -1, v27
	v_add_u32_e32 v29, 1, v27
	v_fma_f32 v30, -v28, v27, v25
	v_fma_f32 v31, -v29, v27, v25
	v_cmp_ge_f32_e64 s[4:5], 0, v30
	v_cndmask_b32_e64 v27, v27, v28, s[4:5]
	v_cmp_lt_f32_e64 s[4:5], 0, v31
	v_cndmask_b32_e64 v27, v27, v29, s[4:5]
	v_mul_f32_e32 v28, 0x37800000, v27
	v_cndmask_b32_e32 v27, v27, v28, vcc
	v_cmp_class_f32_e32 vcc, v25, v37
	v_cndmask_b32_e32 v25, v27, v25, vcc
	v_mul_f32_e32 v27, v24, v25
.LBB238_49:                             ;   in Loop: Header=BB238_5 Depth=1
	s_or_b64 exec, exec, s[24:25]
	v_mul_f32_e64 v24, v14, -v6
	v_fmac_f32_e32 v24, v5, v13
	v_mul_f32_e32 v25, v5, v14
	v_fmac_f32_e32 v25, v6, v13
	v_cmp_gt_f32_e32 vcc, 0, v24
	v_cndmask_b32_e64 v28, v24, -v24, vcc
	v_cmp_gt_f32_e32 vcc, 0, v25
	v_cndmask_b32_e64 v29, v25, -v25, vcc
	v_cmp_ngt_f32_e32 vcc, v28, v29
                                        ; implicit-def: $vgpr30
	s_and_saveexec_b64 s[4:5], vcc
	s_xor_b64 s[24:25], exec, s[4:5]
	s_cbranch_execz .LBB238_53
; %bb.50:                               ;   in Loop: Header=BB238_5 Depth=1
	v_mov_b32_e32 v30, 0
	v_cmp_neq_f32_e32 vcc, 0, v25
	s_and_saveexec_b64 s[26:27], vcc
	s_cbranch_execz .LBB238_52
; %bb.51:                               ;   in Loop: Header=BB238_5 Depth=1
	v_div_scale_f32 v30, s[4:5], v29, v29, v28
	v_div_scale_f32 v31, vcc, v28, v29, v28
	v_rcp_f32_e32 v32, v30
	v_fma_f32 v33, -v30, v32, 1.0
	v_fmac_f32_e32 v32, v33, v32
	v_mul_f32_e32 v33, v31, v32
	v_fma_f32 v34, -v30, v33, v31
	v_fmac_f32_e32 v33, v34, v32
	v_fma_f32 v30, -v30, v33, v31
	v_div_fmas_f32 v30, v30, v32, v33
	v_div_fixup_f32 v28, v30, v29, v28
	v_fma_f32 v28, v28, v28, 1.0
	v_mul_f32_e32 v30, 0x4f800000, v28
	v_cmp_gt_f32_e32 vcc, s34, v28
	v_cndmask_b32_e32 v28, v28, v30, vcc
	v_sqrt_f32_e32 v30, v28
	v_add_u32_e32 v31, -1, v30
	v_add_u32_e32 v32, 1, v30
	v_fma_f32 v33, -v31, v30, v28
	v_fma_f32 v34, -v32, v30, v28
	v_cmp_ge_f32_e64 s[4:5], 0, v33
	v_cndmask_b32_e64 v30, v30, v31, s[4:5]
	v_cmp_lt_f32_e64 s[4:5], 0, v34
	v_cndmask_b32_e64 v30, v30, v32, s[4:5]
	v_mul_f32_e32 v31, 0x37800000, v30
	v_cndmask_b32_e32 v30, v30, v31, vcc
	v_cmp_class_f32_e32 vcc, v28, v37
	v_cndmask_b32_e32 v28, v30, v28, vcc
	v_mul_f32_e32 v30, v29, v28
.LBB238_52:                             ;   in Loop: Header=BB238_5 Depth=1
	s_or_b64 exec, exec, s[26:27]
                                        ; implicit-def: $vgpr28
                                        ; implicit-def: $vgpr29
.LBB238_53:                             ;   in Loop: Header=BB238_5 Depth=1
	s_andn2_saveexec_b64 s[24:25], s[24:25]
	s_cbranch_execz .LBB238_55
; %bb.54:                               ;   in Loop: Header=BB238_5 Depth=1
	v_div_scale_f32 v30, s[4:5], v28, v28, v29
	v_div_scale_f32 v31, vcc, v29, v28, v29
	v_rcp_f32_e32 v32, v30
	v_fma_f32 v33, -v30, v32, 1.0
	v_fmac_f32_e32 v32, v33, v32
	v_mul_f32_e32 v33, v31, v32
	v_fma_f32 v34, -v30, v33, v31
	v_fmac_f32_e32 v33, v34, v32
	v_fma_f32 v30, -v30, v33, v31
	v_div_fmas_f32 v30, v30, v32, v33
	v_div_fixup_f32 v29, v30, v28, v29
	v_fma_f32 v29, v29, v29, 1.0
	v_mul_f32_e32 v30, 0x4f800000, v29
	v_cmp_gt_f32_e32 vcc, s34, v29
	v_cndmask_b32_e32 v29, v29, v30, vcc
	v_sqrt_f32_e32 v30, v29
	v_add_u32_e32 v31, -1, v30
	v_add_u32_e32 v32, 1, v30
	v_fma_f32 v33, -v31, v30, v29
	v_fma_f32 v34, -v32, v30, v29
	v_cmp_ge_f32_e64 s[4:5], 0, v33
	v_cndmask_b32_e64 v30, v30, v31, s[4:5]
	v_cmp_lt_f32_e64 s[4:5], 0, v34
	v_cndmask_b32_e64 v30, v30, v32, s[4:5]
	v_mul_f32_e32 v31, 0x37800000, v30
	v_cndmask_b32_e32 v30, v30, v31, vcc
	v_cmp_class_f32_e32 vcc, v29, v37
	v_cndmask_b32_e32 v29, v30, v29, vcc
	v_mul_f32_e32 v30, v28, v29
.LBB238_55:                             ;   in Loop: Header=BB238_5 Depth=1
	s_or_b64 exec, exec, s[24:25]
	v_cmp_lt_f32_e32 vcc, v4, v21
	v_cndmask_b32_e32 v4, v4, v21, vcc
	v_cmp_lt_f32_e32 vcc, v22, v4
	v_cndmask_b32_e32 v4, v22, v4, vcc
	;; [unrolled: 2-line block ×4, first 2 shown]
	v_cvt_f64_f32_e32 v[21:22], v4
	v_cvt_f64_f32_e32 v[26:27], v27
	;; [unrolled: 1-line block ×3, first 2 shown]
	v_cmp_ne_u32_e64 s[4:5], s30, v3
	v_mul_f64 v[21:22], v[21:22], v[26:27]
	v_mul_f64 v[26:27], v[28:29], s[22:23]
	v_cmp_nge_f64_e32 vcc, v[21:22], v[26:27]
	s_and_b64 s[4:5], s[4:5], vcc
	s_and_saveexec_b64 s[24:25], s[4:5]
	s_xor_b64 s[4:5], exec, s[24:25]
	s_cbranch_execz .LBB238_61
; %bb.56:                               ;   in Loop: Header=BB238_5 Depth=1
	v_mul_f32_e64 v4, v20, -v8
	v_mul_f32_e32 v21, v7, v20
	v_fmac_f32_e32 v4, v7, v19
	v_fmac_f32_e32 v21, v8, v19
	v_sub_f32_e32 v23, v4, v24
	v_sub_f32_e32 v24, v21, v25
	v_mul_f32_e32 v33, v24, v24
	v_fmac_f32_e32 v33, v23, v23
	v_div_scale_f32 v21, s[24:25], v33, v33, 1.0
	v_div_scale_f32 v22, vcc, 1.0, v33, 1.0
	v_ashrrev_i32_e32 v4, 31, v3
	v_mov_b32_e32 v30, s11
	v_lshlrev_b64 v[11:12], 2, v[11:12]
	v_rcp_f32_e32 v25, v21
	v_fma_f32 v26, -v21, v25, 1.0
	v_fmac_f32_e32 v25, v26, v25
	v_mul_f32_e32 v26, v22, v25
	v_fma_f32 v27, -v21, v26, v22
	v_fmac_f32_e32 v26, v27, v25
	v_fma_f32 v21, -v21, v26, v22
	v_div_fmas_f32 v34, v21, v25, v26
	v_add_u32_e32 v25, v35, v3
	v_lshlrev_b64 v[21:22], 3, v[3:4]
	v_ashrrev_i32_e32 v26, 31, v25
	v_add_co_u32_e32 v31, vcc, v1, v21
	v_lshlrev_b64 v[27:28], 3, v[25:26]
	v_addc_co_u32_e32 v32, vcc, v2, v22, vcc
	v_add_co_u32_e32 v29, vcc, s10, v27
	v_fma_f32 v4, 0, v24, v23
	v_fma_f32 v23, v23, 0, -v24
	v_addc_co_u32_e32 v30, vcc, v30, v28, vcc
	v_div_fixup_f32 v21, v34, v33, 1.0
	v_mul_f32_e32 v4, v4, v21
	v_mul_f32_e32 v40, v23, v21
	global_load_dwordx2 v[21:22], v[31:32], off
	global_load_dwordx2 v[23:24], v[29:30], off
	s_waitcnt vmcnt(1)
	v_mul_f32_e64 v33, v22, -v20
	s_waitcnt vmcnt(0)
	v_mul_f32_e64 v34, v24, -v14
	v_fmac_f32_e32 v33, v19, v21
	v_fmac_f32_e32 v34, v13, v23
	v_sub_f32_e32 v41, v33, v34
	v_mul_f32_e32 v33, v19, v22
	v_mul_f32_e32 v34, v24, v13
	v_fmac_f32_e32 v33, v20, v21
	v_fmac_f32_e32 v34, v14, v23
	v_sub_f32_e32 v42, v33, v34
	v_mul_f32_e64 v33, v40, -v42
	v_mul_f32_e32 v34, v40, v41
	v_fmac_f32_e32 v33, v41, v4
	v_fmac_f32_e32 v34, v42, v4
	global_store_dwordx2 v[31:32], v[33:34], off
	v_mov_b32_e32 v31, s13
	v_add_co_u32_e32 v41, vcc, s12, v15
	v_addc_co_u32_e32 v42, vcc, v31, v16, vcc
	global_load_dwordx2 v[31:32], v[41:42], off
	s_waitcnt vmcnt(0)
	v_mul_f32_e64 v43, v32, -v20
	v_mul_f32_e32 v44, v19, v32
	v_fmac_f32_e32 v43, v19, v31
	v_fmac_f32_e32 v44, v20, v31
	v_mov_b32_e32 v20, s13
	v_add_co_u32_e32 v19, vcc, s12, v27
	v_addc_co_u32_e32 v20, vcc, v20, v28, vcc
	global_load_dwordx2 v[33:34], v[19:20], off
	v_add_co_u32_e32 v15, vcc, s14, v15
	s_waitcnt vmcnt(0)
	v_mul_f32_e64 v45, v34, -v14
	v_fmac_f32_e32 v45, v13, v33
	v_sub_f32_e32 v45, v43, v45
	v_mul_f32_e32 v43, v34, v13
	v_fmac_f32_e32 v43, v14, v33
	v_sub_f32_e32 v46, v44, v43
	v_mul_f32_e64 v43, v40, -v46
	v_mul_f32_e32 v44, v40, v45
	v_fmac_f32_e32 v43, v45, v4
	v_fmac_f32_e32 v44, v46, v4
	global_store_dwordx2 v[41:42], v[43:44], off
	v_mov_b32_e32 v41, s15
	v_addc_co_u32_e32 v16, vcc, v41, v16, vcc
	v_mul_f32_e32 v41, v10, v14
	v_fma_f32 v41, -v13, v9, v41
	v_mul_f32_e64 v13, v10, -v13
	v_fma_f32 v42, -v14, v9, v13
	v_mul_f32_e64 v13, v40, -v42
	v_mul_f32_e32 v14, v40, v41
	v_fmac_f32_e32 v13, v41, v4
	v_fmac_f32_e32 v14, v42, v4
	global_store_dwordx2 v[15:16], v[13:14], off
	v_mov_b32_e32 v13, s7
	v_add_co_u32_e32 v11, vcc, s6, v11
	v_addc_co_u32_e32 v12, vcc, v13, v12, vcc
	global_store_dword v[11:12], v38, off
	s_and_saveexec_b64 s[24:25], s[0:1]
	s_cbranch_execz .LBB238_58
; %bb.57:                               ;   in Loop: Header=BB238_5 Depth=1
	v_mul_f32_e32 v11, v6, v22
	v_mul_f32_e64 v12, v22, -v5
	v_mul_f32_e64 v13, v24, -v8
	v_mul_f32_e32 v14, v7, v24
	v_fma_f32 v11, -v5, v21, v11
	v_fma_f32 v12, -v6, v21, v12
	v_fmac_f32_e32 v13, v7, v23
	v_fmac_f32_e32 v14, v8, v23
	v_add_f32_e32 v13, v11, v13
	v_add_f32_e32 v14, v12, v14
	v_mul_f32_e64 v11, v40, -v14
	v_mul_f32_e32 v12, v40, v13
	v_fmac_f32_e32 v11, v13, v4
	v_fmac_f32_e32 v12, v14, v4
	global_store_dwordx2 v[29:30], v[11:12], off
	v_mul_f32_e32 v11, v6, v32
	v_mul_f32_e64 v12, v32, -v5
	v_mul_f32_e64 v13, v34, -v8
	v_mul_f32_e32 v14, v7, v34
	v_fma_f32 v11, -v5, v31, v11
	v_fma_f32 v12, -v6, v31, v12
	v_fmac_f32_e32 v13, v7, v33
	v_fmac_f32_e32 v14, v8, v33
	v_add_f32_e32 v13, v11, v13
	v_add_f32_e32 v14, v12, v14
	v_mul_f32_e64 v11, v40, -v14
	v_mul_f32_e32 v12, v40, v13
	v_fmac_f32_e32 v11, v13, v4
	v_fmac_f32_e32 v12, v14, v4
	v_mul_f32_e32 v13, v7, v10
	global_store_dwordx2 v[19:20], v[11:12], off
	v_mul_f32_e64 v12, v10, -v8
	v_fmac_f32_e32 v13, v8, v9
	v_fmac_f32_e32 v12, v7, v9
	v_mul_f32_e64 v11, v40, -v13
	v_fmac_f32_e32 v11, v12, v4
	v_mul_f32_e32 v12, v40, v12
	v_fmac_f32_e32 v12, v13, v4
	v_mov_b32_e32 v14, s15
	v_add_co_u32_e32 v13, vcc, s14, v27
	v_addc_co_u32_e32 v14, vcc, v14, v28, vcc
	global_store_dwordx2 v[13:14], v[11:12], off
	v_lshlrev_b64 v[11:12], 2, v[25:26]
	v_mov_b32_e32 v13, s7
	v_add_co_u32_e32 v11, vcc, s6, v11
	v_addc_co_u32_e32 v12, vcc, v13, v12, vcc
	global_store_dword v[11:12], v38, off
.LBB238_58:                             ;   in Loop: Header=BB238_5 Depth=1
	s_or_b64 exec, exec, s[24:25]
	v_mov_b32_e32 v12, 0
	v_mov_b32_e32 v11, 0
	s_and_saveexec_b64 s[24:25], s[2:3]
	s_cbranch_execz .LBB238_60
; %bb.59:                               ;   in Loop: Header=BB238_5 Depth=1
	v_add_u32_e32 v11, v36, v3
	v_ashrrev_i32_e32 v12, 31, v11
	v_lshlrev_b64 v[11:12], 3, v[11:12]
	v_mov_b32_e32 v14, s11
	v_add_co_u32_e32 v13, vcc, s10, v11
	v_addc_co_u32_e32 v14, vcc, v14, v12, vcc
	v_mov_b32_e32 v19, s19
	v_add_co_u32_e32 v11, vcc, s18, v11
	v_addc_co_u32_e32 v12, vcc, v19, v12, vcc
	global_load_dwordx2 v[15:16], v[13:14], off
	v_mul_f32_e32 v19, v6, v18
	global_load_dwordx2 v[11:12], v[11:12], off
	v_mul_f32_e64 v20, v18, -v5
	v_mul_f32_e64 v25, v18, -v8
	v_mul_f32_e32 v26, v7, v18
	v_mul_f32_e64 v27, v8, -v18
	v_mul_f32_e32 v28, v8, v17
	v_fma_f32 v5, -v5, v17, v19
	v_fma_f32 v6, -v6, v17, v20
	v_fmac_f32_e32 v25, v7, v17
	v_fmac_f32_e32 v26, v8, v17
	;; [unrolled: 1-line block ×4, first 2 shown]
	v_mul_f32_e64 v7, v40, -v6
	v_mul_f32_e32 v8, v40, v5
	v_mul_f32_e64 v17, v40, -v26
	v_mul_f32_e32 v18, v40, v25
	;; [unrolled: 2-line block ×3, first 2 shown]
	v_fmac_f32_e32 v7, v5, v4
	v_fmac_f32_e32 v8, v6, v4
	;; [unrolled: 1-line block ×6, first 2 shown]
	v_mul_f32_e32 v5, v8, v22
	v_mul_f32_e64 v6, v22, -v7
	v_mul_f32_e64 v9, v24, -v18
	v_mul_f32_e32 v20, v17, v24
	v_mul_f32_e64 v22, v40, -v10
	v_mul_f32_e32 v24, v40, v19
	v_fma_f32 v5, -v7, v21, v5
	v_fma_f32 v6, -v8, v21, v6
	v_fmac_f32_e32 v9, v17, v23
	v_fmac_f32_e32 v20, v18, v23
	;; [unrolled: 1-line block ×4, first 2 shown]
	v_sub_f32_e32 v4, v5, v9
	v_sub_f32_e32 v5, v6, v20
	s_waitcnt vmcnt(1)
	v_add_f32_e32 v4, v4, v15
	v_add_f32_e32 v5, v5, v16
	s_waitcnt vmcnt(0)
	v_sub_f32_e32 v11, v11, v22
	v_sub_f32_e32 v12, v12, v24
	global_store_dwordx2 v[13:14], v[4:5], off
.LBB238_60:                             ;   in Loop: Header=BB238_5 Depth=1
	s_or_b64 exec, exec, s[24:25]
	v_mov_b32_e32 v8, v12
	v_mov_b32_e32 v7, v11
                                        ; implicit-def: $vgpr13_vgpr14
                                        ; implicit-def: $vgpr5
                                        ; implicit-def: $vgpr19
                                        ; implicit-def: $vgpr24
                                        ; implicit-def: $vgpr25
                                        ; implicit-def: $vgpr11_vgpr12
                                        ; implicit-def: $vgpr15_vgpr16
.LBB238_61:                             ;   in Loop: Header=BB238_5 Depth=1
	s_or_saveexec_b64 s[2:3], s[4:5]
	v_mov_b32_e32 v4, s33
	s_xor_b64 exec, exec, s[2:3]
	s_cbranch_execz .LBB238_4
; %bb.62:                               ;   in Loop: Header=BB238_5 Depth=1
	v_ashrrev_i32_e32 v4, 31, v3
	v_lshlrev_b64 v[9:10], 3, v[3:4]
	v_mov_b32_e32 v4, s13
	v_add_co_u32_e32 v17, vcc, s12, v15
	v_addc_co_u32_e32 v18, vcc, v4, v16, vcc
	v_add_co_u32_e32 v26, vcc, v1, v9
	v_addc_co_u32_e32 v27, vcc, v2, v10, vcc
	global_load_dwordx2 v[21:22], v[17:18], off
	global_load_dwordx2 v[9:10], v[26:27], off
	v_mul_f32_e32 v4, v8, v8
	v_fmac_f32_e32 v4, v7, v7
	v_div_scale_f32 v23, s[4:5], v4, v4, 1.0
	v_div_scale_f32 v28, vcc, 1.0, v4, 1.0
	v_rcp_f32_e32 v29, v23
	v_fma_f32 v30, -v23, v29, 1.0
	v_fmac_f32_e32 v29, v30, v29
	v_mul_f32_e32 v30, v28, v29
	v_fma_f32 v31, -v23, v30, v28
	v_fmac_f32_e32 v30, v31, v29
	v_fma_f32 v23, -v23, v30, v28
	v_div_fmas_f32 v23, v23, v29, v30
	v_fma_f32 v28, 0, v8, v7
	v_fma_f32 v29, v7, 0, -v8
	v_mov_b32_e32 v30, s15
	v_lshlrev_b64 v[7:8], 2, v[11:12]
	v_add_co_u32_e32 v11, vcc, s14, v15
	v_addc_co_u32_e32 v12, vcc, v30, v16, vcc
	v_add_co_u32_e32 v15, vcc, s6, v7
	v_mov_b32_e32 v31, s7
	v_addc_co_u32_e32 v16, vcc, v31, v8, vcc
	v_div_fixup_f32 v7, v23, v4, 1.0
	v_mul_f32_e32 v4, v28, v7
	v_mul_f32_e32 v7, v29, v7
	v_mul_f32_e64 v28, v7, -v14
	v_mul_f32_e32 v29, v7, v13
	v_fmac_f32_e32 v28, v13, v4
	v_fmac_f32_e32 v29, v14, v4
	global_store_dwordx2 v[11:12], v[28:29], off
	s_waitcnt vmcnt(2)
	v_mul_f32_e64 v11, v7, -v22
	v_mul_f32_e32 v12, v7, v21
	s_waitcnt vmcnt(1)
	v_mul_f32_e64 v13, v7, -v10
	v_mul_f32_e32 v14, v7, v9
	v_fmac_f32_e32 v11, v21, v4
	v_fmac_f32_e32 v12, v22, v4
	;; [unrolled: 1-line block ×4, first 2 shown]
	global_store_dwordx2 v[17:18], v[11:12], off
	global_store_dwordx2 v[26:27], v[13:14], off
	global_store_dword v[15:16], v39, off
	s_and_saveexec_b64 s[4:5], s[0:1]
	s_cbranch_execz .LBB238_3
; %bb.63:                               ;   in Loop: Header=BB238_5 Depth=1
	v_add_u32_e32 v11, v35, v3
	v_ashrrev_i32_e32 v12, 31, v11
	v_lshlrev_b64 v[11:12], 3, v[11:12]
	v_mov_b32_e32 v8, s11
	v_add_co_u32_e32 v11, vcc, s10, v11
	v_addc_co_u32_e32 v12, vcc, v8, v12, vcc
	global_load_dwordx2 v[13:14], v[11:12], off
	v_mul_f32_e32 v8, v7, v5
	v_mul_f32_e64 v15, v7, -v6
	v_fmac_f32_e32 v8, v6, v4
	v_fmac_f32_e32 v15, v5, v4
	v_mul_f32_e32 v5, v8, v10
	v_mul_f32_e64 v6, v10, -v15
	v_fma_f32 v5, -v15, v9, v5
	v_fma_f32 v6, -v8, v9, v6
	s_waitcnt vmcnt(0)
	v_add_f32_e32 v5, v5, v13
	v_add_f32_e32 v6, v6, v14
	global_store_dwordx2 v[11:12], v[5:6], off
	s_branch .LBB238_3
.LBB238_64:
	s_or_b64 exec, exec, s[20:21]
.LBB238_65:
	v_subrev_u32_e32 v5, s28, v3
	v_add_u32_e32 v3, v5, v0
	v_ashrrev_i32_e32 v4, 31, v3
	v_lshlrev_b64 v[3:4], 2, v[3:4]
	s_waitcnt lgkmcnt(0)
	v_mov_b32_e32 v6, s7
	v_add_co_u32_e32 v3, vcc, s6, v3
	v_addc_co_u32_e32 v4, vcc, v6, v4, vcc
	s_waitcnt vmcnt(0)
	buffer_wbinvl1_vol
	global_load_dword v3, v[3:4], off
	s_waitcnt vmcnt(0)
	v_mul_lo_u32 v3, v3, s28
	v_sub_u32_e32 v3, v5, v3
	v_cmp_lt_i32_e32 vcc, -1, v3
	s_and_b64 exec, exec, vcc
	s_cbranch_execz .LBB238_72
; %bb.66:
	v_subrev_u32_e32 v11, s28, v0
	s_lshl_b32 s4, s28, 1
	s_mov_b64 s[0:1], 0
	v_mov_b32_e32 v12, s7
	v_mov_b32_e32 v13, s15
	s_branch .LBB238_68
.LBB238_67:                             ;   in Loop: Header=BB238_68 Depth=1
	s_or_b64 exec, exec, s[2:3]
	s_waitcnt vmcnt(0)
	v_lshlrev_b64 v[5:6], 3, v[7:8]
	v_mov_b32_e32 v7, s13
	v_add_co_u32_e32 v5, vcc, s12, v5
	v_addc_co_u32_e32 v6, vcc, v7, v6, vcc
	global_load_dwordx2 v[7:8], v[5:6], off
	v_sub_u32_e32 v3, v3, v9
	v_cmp_gt_i32_e32 vcc, 0, v3
	s_or_b64 s[0:1], vcc, s[0:1]
	s_waitcnt vmcnt(0)
	v_add_f32_e32 v7, v7, v4
	v_add_f32_e32 v8, v14, v8
	global_store_dwordx2 v[5:6], v[7:8], off
	s_andn2_b64 exec, exec, s[0:1]
	s_cbranch_execz .LBB238_72
.LBB238_68:                             ; =>This Inner Loop Header: Depth=1
	v_add_u32_e32 v7, v3, v0
	v_ashrrev_i32_e32 v8, 31, v7
	v_lshlrev_b64 v[4:5], 2, v[7:8]
	v_lshlrev_b64 v[9:10], 3, v[7:8]
	v_add_co_u32_e32 v4, vcc, s6, v4
	v_addc_co_u32_e32 v5, vcc, v12, v5, vcc
	global_load_dword v14, v[4:5], off
	v_add_co_u32_e32 v4, vcc, s14, v9
	v_addc_co_u32_e32 v5, vcc, v13, v10, vcc
	global_load_dwordx2 v[5:6], v[4:5], off
                                        ; implicit-def: $vgpr4
	s_waitcnt vmcnt(1)
	v_cmp_ne_u32_e32 vcc, 1, v14
                                        ; implicit-def: $vgpr14
	s_and_saveexec_b64 s[2:3], vcc
	s_xor_b64 s[2:3], exec, s[2:3]
	s_cbranch_execz .LBB238_70
; %bb.69:                               ;   in Loop: Header=BB238_68 Depth=1
	v_add_u32_e32 v7, v35, v3
	v_ashrrev_i32_e32 v8, 31, v7
	v_lshlrev_b64 v[7:8], 3, v[7:8]
	v_mov_b32_e32 v4, s11
	v_add_co_u32_e32 v14, vcc, s10, v7
	v_addc_co_u32_e32 v15, vcc, v4, v8, vcc
	v_ashrrev_i32_e32 v4, 31, v3
	v_lshlrev_b64 v[18:19], 3, v[3:4]
	v_mov_b32_e32 v4, s13
	v_add_co_u32_e32 v20, vcc, s12, v7
	v_addc_co_u32_e32 v21, vcc, v4, v8, vcc
	global_load_dwordx2 v[16:17], v[14:15], off
	v_add_co_u32_e32 v18, vcc, v1, v18
	global_load_dwordx2 v[22:23], v[20:21], off
	v_addc_co_u32_e32 v19, vcc, v2, v19, vcc
	global_load_dwordx2 v[24:25], v[18:19], off
	v_add_co_u32_e32 v9, vcc, s12, v9
	v_addc_co_u32_e32 v10, vcc, v4, v10, vcc
	global_load_dwordx2 v[26:27], v[9:10], off
	v_add_u32_e32 v7, v11, v3
	v_ashrrev_i32_e32 v8, 31, v7
	v_lshlrev_b64 v[28:29], 3, v[7:8]
	v_mov_b32_e32 v4, s15
	v_add_co_u32_e32 v30, vcc, s14, v28
	v_addc_co_u32_e32 v31, vcc, v4, v29, vcc
	v_mov_b32_e32 v32, s11
	global_load_dwordx2 v[30:31], v[30:31], off
	s_waitcnt vmcnt(4)
	v_mul_f32_e32 v4, v6, v17
	v_mul_f32_e64 v17, v17, -v5
	v_fma_f32 v4, -v5, v16, v4
	s_waitcnt vmcnt(3)
	v_mul_f32_e32 v33, v6, v23
	v_fma_f32 v16, -v6, v16, v17
	v_mul_f32_e64 v23, v23, -v5
	v_fma_f32 v17, -v5, v22, v33
	s_waitcnt vmcnt(2)
	v_add_f32_e32 v4, v24, v4
	v_add_f32_e32 v5, v16, v25
	v_fma_f32 v6, -v6, v22, v23
	global_store_dwordx2 v[18:19], v[4:5], off
	s_waitcnt vmcnt(2)
	v_add_f32_e32 v16, v26, v17
	v_add_f32_e32 v17, v6, v27
	global_load_dwordx2 v[4:5], v[14:15], off
	v_add_co_u32_e32 v14, vcc, s10, v28
	global_store_dwordx2 v[9:10], v[16:17], off
	v_addc_co_u32_e32 v15, vcc, v32, v29, vcc
	global_load_dwordx2 v[9:10], v[20:21], off
	global_load_dwordx2 v[16:17], v[14:15], off
	s_waitcnt vmcnt(3)
	v_mul_f32_e32 v6, v31, v5
	v_mul_f32_e64 v5, v5, -v30
	v_fma_f32 v6, -v30, v4, v6
	v_fma_f32 v19, -v31, v4, v5
	s_waitcnt vmcnt(1)
	v_mul_f32_e32 v18, v31, v10
	v_mul_f32_e64 v10, v10, -v30
	s_waitcnt vmcnt(0)
	v_add_f32_e32 v5, v16, v6
	v_add_f32_e32 v6, v19, v17
	v_fma_f32 v4, -v30, v9, v18
	global_store_dwordx2 v[14:15], v[5:6], off
	v_fma_f32 v14, -v31, v9, v10
                                        ; implicit-def: $vgpr5_vgpr6
.LBB238_70:                             ;   in Loop: Header=BB238_68 Depth=1
	s_or_saveexec_b64 s[2:3], s[2:3]
	v_mov_b32_e32 v9, s4
	s_xor_b64 exec, exec, s[2:3]
	s_cbranch_execz .LBB238_67
; %bb.71:                               ;   in Loop: Header=BB238_68 Depth=1
	v_add_u32_e32 v9, v35, v3
	v_ashrrev_i32_e32 v10, 31, v9
	v_lshlrev_b64 v[9:10], 3, v[9:10]
	v_mov_b32_e32 v4, s11
	v_add_co_u32_e32 v14, vcc, s10, v9
	v_addc_co_u32_e32 v15, vcc, v4, v10, vcc
	v_ashrrev_i32_e32 v4, 31, v3
	v_mov_b32_e32 v16, s13
	v_add_co_u32_e32 v9, vcc, s12, v9
	v_addc_co_u32_e32 v10, vcc, v16, v10, vcc
	v_lshlrev_b64 v[16:17], 3, v[3:4]
	global_load_dwordx2 v[14:15], v[14:15], off
	v_add_co_u32_e32 v16, vcc, v1, v16
	global_load_dwordx2 v[9:10], v[9:10], off
	v_addc_co_u32_e32 v17, vcc, v2, v17, vcc
	global_load_dwordx2 v[18:19], v[16:17], off
	s_waitcnt vmcnt(2)
	v_mul_f32_e32 v4, v6, v15
	v_mul_f32_e64 v15, v15, -v5
	v_fma_f32 v21, -v5, v14, v4
	s_waitcnt vmcnt(1)
	v_mul_f32_e32 v20, v6, v10
	v_mul_f32_e64 v10, v10, -v5
	v_fma_f32 v15, -v6, v14, v15
	v_fma_f32 v4, -v5, v9, v20
	;; [unrolled: 1-line block ×3, first 2 shown]
	s_waitcnt vmcnt(0)
	v_add_f32_e32 v5, v18, v21
	v_add_f32_e32 v6, v15, v19
	v_mov_b32_e32 v9, s28
	global_store_dwordx2 v[16:17], v[5:6], off
	s_branch .LBB238_67
.LBB238_72:
	s_endpgm
	.section	.rodata,"a",@progbits
	.p2align	6, 0x0
	.amdhsa_kernel _ZN9rocsparseL18gtsv_LBM_wv_kernelILj256ELj64E21rocsparse_complex_numIfEEEviiiPKT1_S5_S5_PS3_S6_S6_Pi
		.amdhsa_group_segment_fixed_size 0
		.amdhsa_private_segment_fixed_size 0
		.amdhsa_kernarg_size 72
		.amdhsa_user_sgpr_count 6
		.amdhsa_user_sgpr_private_segment_buffer 1
		.amdhsa_user_sgpr_dispatch_ptr 0
		.amdhsa_user_sgpr_queue_ptr 0
		.amdhsa_user_sgpr_kernarg_segment_ptr 1
		.amdhsa_user_sgpr_dispatch_id 0
		.amdhsa_user_sgpr_flat_scratch_init 0
		.amdhsa_user_sgpr_private_segment_size 0
		.amdhsa_uses_dynamic_stack 0
		.amdhsa_system_sgpr_private_segment_wavefront_offset 0
		.amdhsa_system_sgpr_workgroup_id_x 1
		.amdhsa_system_sgpr_workgroup_id_y 0
		.amdhsa_system_sgpr_workgroup_id_z 0
		.amdhsa_system_sgpr_workgroup_info 0
		.amdhsa_system_vgpr_workitem_id 0
		.amdhsa_next_free_vgpr 47
		.amdhsa_next_free_sgpr 35
		.amdhsa_reserve_vcc 1
		.amdhsa_reserve_flat_scratch 0
		.amdhsa_float_round_mode_32 0
		.amdhsa_float_round_mode_16_64 0
		.amdhsa_float_denorm_mode_32 3
		.amdhsa_float_denorm_mode_16_64 3
		.amdhsa_dx10_clamp 1
		.amdhsa_ieee_mode 1
		.amdhsa_fp16_overflow 0
		.amdhsa_exception_fp_ieee_invalid_op 0
		.amdhsa_exception_fp_denorm_src 0
		.amdhsa_exception_fp_ieee_div_zero 0
		.amdhsa_exception_fp_ieee_overflow 0
		.amdhsa_exception_fp_ieee_underflow 0
		.amdhsa_exception_fp_ieee_inexact 0
		.amdhsa_exception_int_div_zero 0
	.end_amdhsa_kernel
	.section	.text._ZN9rocsparseL18gtsv_LBM_wv_kernelILj256ELj64E21rocsparse_complex_numIfEEEviiiPKT1_S5_S5_PS3_S6_S6_Pi,"axG",@progbits,_ZN9rocsparseL18gtsv_LBM_wv_kernelILj256ELj64E21rocsparse_complex_numIfEEEviiiPKT1_S5_S5_PS3_S6_S6_Pi,comdat
.Lfunc_end238:
	.size	_ZN9rocsparseL18gtsv_LBM_wv_kernelILj256ELj64E21rocsparse_complex_numIfEEEviiiPKT1_S5_S5_PS3_S6_S6_Pi, .Lfunc_end238-_ZN9rocsparseL18gtsv_LBM_wv_kernelILj256ELj64E21rocsparse_complex_numIfEEEviiiPKT1_S5_S5_PS3_S6_S6_Pi
                                        ; -- End function
	.set _ZN9rocsparseL18gtsv_LBM_wv_kernelILj256ELj64E21rocsparse_complex_numIfEEEviiiPKT1_S5_S5_PS3_S6_S6_Pi.num_vgpr, 47
	.set _ZN9rocsparseL18gtsv_LBM_wv_kernelILj256ELj64E21rocsparse_complex_numIfEEEviiiPKT1_S5_S5_PS3_S6_S6_Pi.num_agpr, 0
	.set _ZN9rocsparseL18gtsv_LBM_wv_kernelILj256ELj64E21rocsparse_complex_numIfEEEviiiPKT1_S5_S5_PS3_S6_S6_Pi.numbered_sgpr, 35
	.set _ZN9rocsparseL18gtsv_LBM_wv_kernelILj256ELj64E21rocsparse_complex_numIfEEEviiiPKT1_S5_S5_PS3_S6_S6_Pi.num_named_barrier, 0
	.set _ZN9rocsparseL18gtsv_LBM_wv_kernelILj256ELj64E21rocsparse_complex_numIfEEEviiiPKT1_S5_S5_PS3_S6_S6_Pi.private_seg_size, 0
	.set _ZN9rocsparseL18gtsv_LBM_wv_kernelILj256ELj64E21rocsparse_complex_numIfEEEviiiPKT1_S5_S5_PS3_S6_S6_Pi.uses_vcc, 1
	.set _ZN9rocsparseL18gtsv_LBM_wv_kernelILj256ELj64E21rocsparse_complex_numIfEEEviiiPKT1_S5_S5_PS3_S6_S6_Pi.uses_flat_scratch, 0
	.set _ZN9rocsparseL18gtsv_LBM_wv_kernelILj256ELj64E21rocsparse_complex_numIfEEEviiiPKT1_S5_S5_PS3_S6_S6_Pi.has_dyn_sized_stack, 0
	.set _ZN9rocsparseL18gtsv_LBM_wv_kernelILj256ELj64E21rocsparse_complex_numIfEEEviiiPKT1_S5_S5_PS3_S6_S6_Pi.has_recursion, 0
	.set _ZN9rocsparseL18gtsv_LBM_wv_kernelILj256ELj64E21rocsparse_complex_numIfEEEviiiPKT1_S5_S5_PS3_S6_S6_Pi.has_indirect_call, 0
	.section	.AMDGPU.csdata,"",@progbits
; Kernel info:
; codeLenInByte = 6088
; TotalNumSgprs: 39
; NumVgprs: 47
; ScratchSize: 0
; MemoryBound: 0
; FloatMode: 240
; IeeeMode: 1
; LDSByteSize: 0 bytes/workgroup (compile time only)
; SGPRBlocks: 4
; VGPRBlocks: 11
; NumSGPRsForWavesPerEU: 39
; NumVGPRsForWavesPerEU: 47
; Occupancy: 5
; WaveLimiterHint : 0
; COMPUTE_PGM_RSRC2:SCRATCH_EN: 0
; COMPUTE_PGM_RSRC2:USER_SGPR: 6
; COMPUTE_PGM_RSRC2:TRAP_HANDLER: 0
; COMPUTE_PGM_RSRC2:TGID_X_EN: 1
; COMPUTE_PGM_RSRC2:TGID_Y_EN: 0
; COMPUTE_PGM_RSRC2:TGID_Z_EN: 0
; COMPUTE_PGM_RSRC2:TIDIG_COMP_CNT: 0
	.section	.text._ZN9rocsparseL19gtsv_LBM_rhs_kernelILj256ELj64ELj8E21rocsparse_complex_numIfEEEviiiPKT2_S5_S5_PS3_S5_PKi,"axG",@progbits,_ZN9rocsparseL19gtsv_LBM_rhs_kernelILj256ELj64ELj8E21rocsparse_complex_numIfEEEviiiPKT2_S5_S5_PS3_S5_PKi,comdat
	.globl	_ZN9rocsparseL19gtsv_LBM_rhs_kernelILj256ELj64ELj8E21rocsparse_complex_numIfEEEviiiPKT2_S5_S5_PS3_S5_PKi ; -- Begin function _ZN9rocsparseL19gtsv_LBM_rhs_kernelILj256ELj64ELj8E21rocsparse_complex_numIfEEEviiiPKT2_S5_S5_PS3_S5_PKi
	.p2align	8
	.type	_ZN9rocsparseL19gtsv_LBM_rhs_kernelILj256ELj64ELj8E21rocsparse_complex_numIfEEEviiiPKT2_S5_S5_PS3_S5_PKi,@function
_ZN9rocsparseL19gtsv_LBM_rhs_kernelILj256ELj64ELj8E21rocsparse_complex_numIfEEEviiiPKT2_S5_S5_PS3_S5_PKi: ; @_ZN9rocsparseL19gtsv_LBM_rhs_kernelILj256ELj64ELj8E21rocsparse_complex_numIfEEEviiiPKT2_S5_S5_PS3_S5_PKi
; %bb.0:
	s_load_dword s23, s[4:5], 0x0
	v_lshl_or_b32 v0, s6, 8, v0
	s_waitcnt lgkmcnt(0)
	s_lshr_b32 s22, s23, 6
	v_cmp_gt_i32_e32 vcc, s22, v0
	s_and_saveexec_b64 s[0:1], vcc
	s_cbranch_execz .LBB239_29
; %bb.1:
	s_load_dwordx4 s[8:11], s[4:5], 0x28
	s_load_dwordx2 s[16:17], s[4:5], 0x38
	s_cmp_lt_i32 s23, 1
	v_add_u32_e32 v25, s22, v0
	s_mul_i32 s24, s7, s23
	s_cbranch_scc1 .LBB239_21
; %bb.2:
	s_load_dwordx4 s[12:15], s[4:5], 0x10
	s_load_dwordx2 s[6:7], s[4:5], 0x20
	v_ashrrev_i32_e32 v1, 31, v0
	v_lshlrev_b64 v[1:2], 3, v[0:1]
	s_lshl_b32 s28, s24, 3
	s_waitcnt lgkmcnt(0)
	v_mov_b32_e32 v3, s15
	v_add_co_u32_e32 v1, vcc, s14, v1
	v_addc_co_u32_e32 v2, vcc, v3, v2, vcc
	global_load_dwordx2 v[3:4], v[1:2], off
	s_add_i32 s29, s28, s23
	s_add_i32 s30, s29, s23
	;; [unrolled: 1-line block ×6, first 2 shown]
	s_mul_i32 s25, s22, 63
	s_mul_i32 s26, s22, 62
	s_lshl_b32 s27, s22, 1
	v_add_u32_e32 v26, s22, v25
	s_add_i32 s36, s35, s23
	v_mov_b32_e32 v2, 0
	s_mov_b64 s[18:19], 0
	v_mov_b32_e32 v28, s7
	v_mov_b32_e32 v27, 0
	s_branch .LBB239_5
.LBB239_3:                              ;   in Loop: Header=BB239_5 Depth=1
	s_or_b64 exec, exec, s[4:5]
	v_fmac_f32_e32 v30, v5, v7
	v_fmac_f32_e32 v29, v6, v7
	v_mul_f32_e64 v1, v31, -v29
	v_mul_f32_e32 v4, v31, v30
	v_fmac_f32_e32 v1, v30, v8
	v_fmac_f32_e32 v4, v29, v8
	v_sub_f32_e32 v3, v9, v1
	v_sub_f32_e32 v4, v10, v4
	v_mov_b32_e32 v8, s22
.LBB239_4:                              ;   in Loop: Header=BB239_5 Depth=1
	s_or_b64 exec, exec, s[2:3]
	v_add_u32_e32 v27, v8, v27
	v_cmp_le_i32_e32 vcc, s23, v27
	s_or_b64 s[18:19], vcc, s[18:19]
	s_andn2_b64 exec, exec, s[18:19]
	s_cbranch_execz .LBB239_20
.LBB239_5:                              ; =>This Inner Loop Header: Depth=1
	v_add_u32_e32 v15, v27, v0
	v_ashrrev_i32_e32 v16, 31, v15
	v_lshlrev_b64 v[5:6], 3, v[15:16]
	v_cmp_gt_u32_e64 s[0:1], s25, v27
	v_add_co_u32_e32 v5, vcc, s6, v5
	v_addc_co_u32_e32 v6, vcc, v28, v6, vcc
	global_load_dwordx2 v[7:8], v[5:6], off
	v_mov_b32_e32 v5, 0
	v_mov_b32_e32 v6, 0
	s_and_saveexec_b64 s[2:3], s[0:1]
	s_cbranch_execz .LBB239_7
; %bb.6:                                ;   in Loop: Header=BB239_5 Depth=1
	v_add_u32_e32 v5, v25, v27
	v_ashrrev_i32_e32 v6, 31, v5
	v_lshlrev_b64 v[5:6], 3, v[5:6]
	v_mov_b32_e32 v1, s13
	v_add_co_u32_e32 v5, vcc, s12, v5
	v_addc_co_u32_e32 v6, vcc, v1, v6, vcc
	global_load_dwordx2 v[5:6], v[5:6], off
.LBB239_7:                              ;   in Loop: Header=BB239_5 Depth=1
	s_or_b64 exec, exec, s[2:3]
	v_mov_b32_e32 v11, 0
	v_mov_b32_e32 v9, 0
	v_mov_b32_e32 v10, 0
	s_and_saveexec_b64 s[2:3], s[0:1]
	s_cbranch_execz .LBB239_9
; %bb.8:                                ;   in Loop: Header=BB239_5 Depth=1
	v_add_u32_e32 v9, v25, v27
	v_ashrrev_i32_e32 v10, 31, v9
	v_lshlrev_b64 v[9:10], 3, v[9:10]
	v_mov_b32_e32 v1, s15
	v_add_co_u32_e32 v9, vcc, s14, v9
	v_addc_co_u32_e32 v10, vcc, v1, v10, vcc
	global_load_dwordx2 v[9:10], v[9:10], off
.LBB239_9:                              ;   in Loop: Header=BB239_5 Depth=1
	s_or_b64 exec, exec, s[2:3]
	v_mov_b32_e32 v12, 0
	s_and_saveexec_b64 s[2:3], s[0:1]
	s_cbranch_execz .LBB239_11
; %bb.10:                               ;   in Loop: Header=BB239_5 Depth=1
	v_add_u32_e32 v11, v25, v27
	v_ashrrev_i32_e32 v12, 31, v11
	v_lshlrev_b64 v[11:12], 3, v[11:12]
	v_mov_b32_e32 v1, s7
	v_add_co_u32_e32 v11, vcc, s6, v11
	v_addc_co_u32_e32 v12, vcc, v1, v12, vcc
	global_load_dwordx2 v[11:12], v[11:12], off
.LBB239_11:                             ;   in Loop: Header=BB239_5 Depth=1
	s_or_b64 exec, exec, s[2:3]
	v_cmp_gt_u32_e64 s[2:3], s26, v27
	v_mov_b32_e32 v13, 0
	v_mov_b32_e32 v14, 0
	s_and_saveexec_b64 s[4:5], s[2:3]
	s_cbranch_execz .LBB239_13
; %bb.12:                               ;   in Loop: Header=BB239_5 Depth=1
	v_add_u32_e32 v13, v26, v27
	v_ashrrev_i32_e32 v14, 31, v13
	v_lshlrev_b64 v[13:14], 3, v[13:14]
	v_mov_b32_e32 v1, s13
	v_add_co_u32_e32 v13, vcc, s12, v13
	v_addc_co_u32_e32 v14, vcc, v1, v14, vcc
	global_load_dwordx2 v[13:14], v[13:14], off
.LBB239_13:                             ;   in Loop: Header=BB239_5 Depth=1
	s_or_b64 exec, exec, s[4:5]
	v_lshlrev_b64 v[16:17], 2, v[15:16]
	v_mov_b32_e32 v1, s17
	v_add_co_u32_e32 v16, vcc, s16, v16
	v_addc_co_u32_e32 v17, vcc, v1, v17, vcc
	global_load_dword v20, v[16:17], off
	v_cmp_ne_u32_e32 vcc, s25, v27
	s_waitcnt vmcnt(1)
	v_mul_f32_e64 v30, v8, -v6
	v_mul_f32_e32 v29, v5, v8
	v_add_u32_e32 v1, s28, v15
	v_add_u32_e32 v23, s29, v15
	;; [unrolled: 1-line block ×8, first 2 shown]
	s_waitcnt vmcnt(0)
	v_cmp_ne_u32_e64 s[4:5], 1, v20
	s_and_b64 s[4:5], vcc, s[4:5]
	s_and_saveexec_b64 s[20:21], s[4:5]
	s_xor_b64 s[4:5], exec, s[20:21]
	s_cbranch_execz .LBB239_17
; %bb.14:                               ;   in Loop: Header=BB239_5 Depth=1
	v_mul_f32_e32 v22, v3, v10
	v_mul_f32_e64 v20, v10, -v4
	v_fmac_f32_e32 v22, v4, v9
	v_fmac_f32_e32 v29, v6, v7
	;; [unrolled: 1-line block ×4, first 2 shown]
	v_sub_f32_e32 v33, v22, v29
	v_sub_f32_e32 v20, v20, v30
	v_mul_f32_e32 v35, v33, v33
	v_fmac_f32_e32 v35, v20, v20
	v_div_scale_f32 v31, s[20:21], v35, v35, 1.0
	v_div_scale_f32 v32, vcc, 1.0, v35, 1.0
	v_lshlrev_b64 v[29:30], 3, v[1:2]
	v_mov_b32_e32 v24, v2
	v_mov_b32_e32 v1, s9
	v_lshlrev_b64 v[23:24], 3, v[23:24]
	v_mov_b32_e32 v36, s9
	v_mov_b32_e32 v22, v2
	;; [unrolled: 1-line block ×3, first 2 shown]
	v_rcp_f32_e32 v34, v31
	v_fma_f32 v37, -v31, v34, 1.0
	v_fmac_f32_e32 v34, v37, v34
	v_mul_f32_e32 v37, v32, v34
	v_fma_f32 v38, -v31, v37, v32
	v_fmac_f32_e32 v37, v38, v34
	v_fma_f32 v31, -v31, v37, v32
	v_div_fmas_f32 v39, v31, v34, v37
	v_add_co_u32_e32 v29, vcc, s8, v29
	v_addc_co_u32_e32 v30, vcc, v1, v30, vcc
	v_add_co_u32_e32 v23, vcc, s8, v23
	v_fma_f32 v1, 0, v33, v20
	v_fma_f32 v20, v20, 0, -v33
	v_addc_co_u32_e32 v24, vcc, v36, v24, vcc
	global_load_dwordx2 v[33:34], v[29:30], off
	global_load_dwordx2 v[37:38], v[23:24], off
	v_lshlrev_b64 v[31:32], 3, v[21:22]
	v_add_co_u32_e32 v31, vcc, s8, v31
	v_div_fixup_f32 v22, v39, v35, 1.0
	v_mul_f32_e32 v21, v1, v22
	v_mul_f32_e32 v22, v20, v22
	v_mov_b32_e32 v20, v2
	v_lshlrev_b64 v[19:20], 3, v[19:20]
	v_addc_co_u32_e32 v32, vcc, v40, v32, vcc
	v_add_co_u32_e32 v42, vcc, s8, v19
	v_mov_b32_e32 v19, v2
	v_mov_b32_e32 v1, s9
	v_lshlrev_b64 v[18:19], 3, v[18:19]
	v_addc_co_u32_e32 v43, vcc, v1, v20, vcc
	v_add_co_u32_e32 v53, vcc, s8, v18
	v_add_u32_e32 v39, v25, v27
	v_addc_co_u32_e32 v54, vcc, v1, v19, vcc
	v_add_u32_e32 v1, s28, v39
	v_lshlrev_b64 v[19:20], 3, v[1:2]
	v_mov_b32_e32 v18, v2
	v_mov_b32_e32 v1, s9
	v_add_co_u32_e32 v55, vcc, s8, v19
	v_lshlrev_b64 v[17:18], 3, v[17:18]
	v_addc_co_u32_e32 v56, vcc, v1, v20, vcc
	v_add_co_u32_e32 v57, vcc, s8, v17
	v_mov_b32_e32 v17, v2
	v_lshlrev_b64 v[16:17], 3, v[16:17]
	v_addc_co_u32_e32 v58, vcc, v1, v18, vcc
	v_add_co_u32_e32 v59, vcc, s8, v16
	v_addc_co_u32_e32 v60, vcc, v1, v17, vcc
	v_add_u32_e32 v1, s29, v39
	v_lshlrev_b64 v[17:18], 3, v[1:2]
	v_mov_b32_e32 v16, v2
	v_lshlrev_b64 v[15:16], 3, v[15:16]
	v_mov_b32_e32 v1, s9
	v_add_co_u32_e32 v61, vcc, s8, v17
	v_addc_co_u32_e32 v62, vcc, v1, v18, vcc
	v_mov_b32_e32 v35, s9
	v_add_co_u32_e32 v63, vcc, s8, v15
	v_add_u32_e32 v1, s30, v39
	v_addc_co_u32_e32 v64, vcc, v35, v16, vcc
	v_lshlrev_b64 v[15:16], 3, v[1:2]
	v_mov_b32_e32 v1, s9
	v_add_co_u32_e32 v65, vcc, s8, v15
	global_load_dwordx2 v[19:20], v[55:56], off
	global_load_dwordx2 v[46:47], v[31:32], off
	;; [unrolled: 1-line block ×3, first 2 shown]
	v_addc_co_u32_e32 v66, vcc, v1, v16, vcc
	v_add_u32_e32 v1, s31, v39
	v_lshlrev_b64 v[15:16], 3, v[1:2]
	global_load_dwordx2 v[17:18], v[61:62], off
	v_mov_b32_e32 v1, s9
	v_add_co_u32_e32 v67, vcc, s8, v15
	v_addc_co_u32_e32 v68, vcc, v1, v16, vcc
	v_add_u32_e32 v1, s33, v39
	v_lshlrev_b64 v[35:36], 3, v[1:2]
	global_load_dwordx2 v[15:16], v[65:66], off
	global_load_dwordx2 v[75:76], v[67:68], off
	v_mov_b32_e32 v1, s9
	v_add_co_u32_e32 v69, vcc, s8, v35
	v_addc_co_u32_e32 v70, vcc, v1, v36, vcc
	v_add_u32_e32 v1, s34, v39
	v_lshlrev_b64 v[35:36], 3, v[1:2]
	v_mov_b32_e32 v1, s9
	v_add_co_u32_e32 v71, vcc, s8, v35
	v_addc_co_u32_e32 v72, vcc, v1, v36, vcc
	v_add_u32_e32 v1, s35, v39
	v_lshlrev_b64 v[35:36], 3, v[1:2]
	s_waitcnt vmcnt(7)
	v_mul_f32_e64 v45, v22, -v34
	v_mul_f32_e32 v48, v22, v33
	v_mov_b32_e32 v1, s9
	v_add_co_u32_e32 v77, vcc, s8, v35
	v_fmac_f32_e32 v45, v33, v21
	v_fmac_f32_e32 v48, v34, v21
	global_load_dwordx2 v[33:34], v[53:54], off
	global_load_dwordx2 v[81:82], v[69:70], off
	v_addc_co_u32_e32 v78, vcc, v1, v36, vcc
	v_add_u32_e32 v1, s36, v39
	v_lshlrev_b64 v[35:36], 3, v[1:2]
	v_mov_b32_e32 v1, s9
	v_add_co_u32_e32 v79, vcc, s8, v35
	v_addc_co_u32_e32 v80, vcc, v1, v36, vcc
	global_load_dwordx2 v[83:84], v[57:58], off
	global_load_dwordx2 v[85:86], v[59:60], off
	;; [unrolled: 1-line block ×6, first 2 shown]
	v_mul_f32_e64 v1, v48, -v10
	v_fmac_f32_e32 v1, v9, v45
	s_waitcnt vmcnt(14)
	v_mul_f32_e32 v39, v22, v37
	v_mul_f32_e64 v36, v22, -v38
	v_fmac_f32_e32 v39, v38, v21
	v_fmac_f32_e32 v36, v37, v21
	s_waitcnt vmcnt(13)
	v_mul_f32_e32 v52, v22, v19
	v_mul_f32_e64 v51, v22, -v20
	v_fmac_f32_e32 v52, v20, v21
	v_fmac_f32_e32 v51, v19, v21
	v_mul_f32_e32 v20, v9, v48
	v_mul_f32_e64 v19, v52, -v8
	v_mul_f32_e32 v35, v52, v7
	v_fmac_f32_e32 v20, v10, v45
	v_fmac_f32_e32 v19, v7, v51
	v_fmac_f32_e32 v35, v8, v51
	s_waitcnt vmcnt(10)
	v_mul_f32_e32 v41, v22, v17
	v_sub_f32_e32 v19, v1, v19
	v_sub_f32_e32 v20, v20, v35
	v_mul_f32_e64 v38, v22, -v18
	v_fmac_f32_e32 v41, v18, v21
	global_store_dwordx2 v[29:30], v[19:20], off
	v_fmac_f32_e32 v38, v17, v21
	v_mul_f32_e64 v1, v39, -v10
	v_mul_f32_e32 v18, v9, v39
	v_mul_f32_e64 v17, v41, -v8
	v_mul_f32_e32 v19, v41, v7
	v_fmac_f32_e32 v1, v9, v36
	v_fmac_f32_e32 v18, v10, v36
	;; [unrolled: 1-line block ×4, first 2 shown]
	v_mul_f32_e32 v49, v22, v46
	s_waitcnt vmcnt(10)
	v_mul_f32_e32 v50, v22, v15
	v_sub_f32_e32 v17, v1, v17
	v_sub_f32_e32 v18, v18, v19
	v_mul_f32_e64 v44, v22, -v47
	v_fmac_f32_e32 v49, v47, v21
	v_mul_f32_e64 v47, v22, -v16
	v_fmac_f32_e32 v50, v16, v21
	global_store_dwordx2 v[23:24], v[17:18], off
	v_fmac_f32_e32 v44, v46, v21
	v_fmac_f32_e32 v47, v15, v21
	v_mul_f32_e64 v1, v49, -v10
	v_mul_f32_e32 v16, v9, v49
	v_mul_f32_e64 v15, v50, -v8
	v_mul_f32_e32 v17, v50, v7
	v_fmac_f32_e32 v1, v9, v44
	v_fmac_f32_e32 v16, v10, v44
	v_fmac_f32_e32 v15, v7, v47
	v_fmac_f32_e32 v17, v8, v47
	v_sub_f32_e32 v15, v1, v15
	v_sub_f32_e32 v16, v16, v17
	v_mul_f32_e32 v35, v22, v73
	s_waitcnt vmcnt(10)
	v_mul_f32_e32 v37, v22, v75
	global_store_dwordx2 v[31:32], v[15:16], off
	v_mul_f32_e64 v30, v22, -v74
	v_fmac_f32_e32 v35, v74, v21
	v_mul_f32_e64 v32, v22, -v76
	v_fmac_f32_e32 v37, v76, v21
	v_fmac_f32_e32 v30, v73, v21
	;; [unrolled: 1-line block ×3, first 2 shown]
	v_mul_f32_e64 v1, v35, -v10
	v_mul_f32_e32 v16, v9, v35
	v_mul_f32_e64 v15, v37, -v8
	v_mul_f32_e32 v17, v37, v7
	v_fmac_f32_e32 v1, v9, v30
	v_fmac_f32_e32 v16, v10, v30
	;; [unrolled: 1-line block ×4, first 2 shown]
	v_sub_f32_e32 v15, v1, v15
	v_sub_f32_e32 v16, v16, v17
	global_store_dwordx2 v[42:43], v[15:16], off
	s_waitcnt vmcnt(11)
	v_mul_f32_e32 v43, v22, v33
	s_waitcnt vmcnt(10)
	v_mul_f32_e32 v46, v22, v81
	v_mul_f32_e64 v40, v22, -v34
	v_fmac_f32_e32 v43, v34, v21
	v_mul_f32_e64 v42, v22, -v82
	v_fmac_f32_e32 v46, v82, v21
	v_fmac_f32_e32 v40, v33, v21
	;; [unrolled: 1-line block ×3, first 2 shown]
	v_mul_f32_e64 v1, v43, -v10
	v_mul_f32_e32 v16, v9, v43
	v_mul_f32_e64 v15, v46, -v8
	v_mul_f32_e32 v17, v46, v7
	v_fmac_f32_e32 v1, v9, v40
	v_fmac_f32_e32 v16, v10, v40
	;; [unrolled: 1-line block ×4, first 2 shown]
	s_waitcnt vmcnt(9)
	v_mul_f32_e32 v33, v22, v83
	s_waitcnt vmcnt(6)
	v_mul_f32_e32 v34, v22, v89
	v_sub_f32_e32 v15, v1, v15
	v_sub_f32_e32 v16, v16, v17
	v_mul_f32_e64 v29, v22, -v84
	v_fmac_f32_e32 v33, v84, v21
	v_mul_f32_e64 v31, v22, -v90
	v_fmac_f32_e32 v34, v90, v21
	global_store_dwordx2 v[53:54], v[15:16], off
	v_fmac_f32_e32 v29, v83, v21
	v_fmac_f32_e32 v31, v89, v21
	v_mul_f32_e64 v1, v33, -v10
	v_mul_f32_e32 v16, v9, v33
	v_mul_f32_e64 v15, v34, -v8
	v_mul_f32_e32 v17, v34, v7
	v_fmac_f32_e32 v1, v9, v29
	v_fmac_f32_e32 v16, v10, v29
	;; [unrolled: 1-line block ×4, first 2 shown]
	v_mul_f32_e32 v23, v22, v85
	s_waitcnt vmcnt(6)
	v_mul_f32_e32 v24, v22, v91
	v_sub_f32_e32 v15, v1, v15
	v_sub_f32_e32 v16, v16, v17
	v_mul_f32_e64 v17, v22, -v86
	v_fmac_f32_e32 v23, v86, v21
	v_mul_f32_e64 v19, v22, -v92
	v_fmac_f32_e32 v24, v92, v21
	global_store_dwordx2 v[57:58], v[15:16], off
	v_fmac_f32_e32 v17, v85, v21
	v_fmac_f32_e32 v19, v91, v21
	v_mul_f32_e64 v1, v23, -v10
	v_mul_f32_e32 v16, v9, v23
	v_mul_f32_e64 v15, v24, -v8
	v_mul_f32_e32 v18, v24, v7
	v_fmac_f32_e32 v1, v9, v17
	v_fmac_f32_e32 v16, v10, v17
	;; [unrolled: 1-line block ×4, first 2 shown]
	v_sub_f32_e32 v15, v1, v15
	v_sub_f32_e32 v16, v16, v18
	v_mul_f32_e32 v18, v22, v87
	global_store_dwordx2 v[59:60], v[15:16], off
	v_mul_f32_e64 v15, v22, -v88
	v_fmac_f32_e32 v18, v88, v21
	v_fmac_f32_e32 v15, v87, v21
	s_waitcnt vmcnt(7)
	v_mul_f32_e32 v20, v22, v93
	v_mul_f32_e64 v1, v18, -v10
	v_mul_f32_e64 v16, v22, -v94
	v_fmac_f32_e32 v20, v94, v21
	v_fmac_f32_e32 v1, v9, v15
	v_mul_f32_e32 v9, v9, v18
	v_fmac_f32_e32 v16, v93, v21
	v_fmac_f32_e32 v9, v10, v15
	v_mul_f32_e64 v10, v20, -v8
	v_mul_f32_e32 v53, v20, v7
	v_fmac_f32_e32 v10, v7, v16
	v_fmac_f32_e32 v53, v8, v16
	v_sub_f32_e32 v7, v1, v10
	v_sub_f32_e32 v8, v9, v53
	global_store_dwordx2 v[63:64], v[7:8], off
	v_mul_f32_e64 v7, v48, -v5
	v_mul_f32_e32 v1, v6, v48
	v_fma_f32 v8, -v6, v45, v7
	v_mul_f32_e64 v7, v52, -v4
	v_mul_f32_e32 v9, v3, v52
	v_fma_f32 v1, -v5, v45, v1
	v_fmac_f32_e32 v7, v3, v51
	v_fmac_f32_e32 v9, v4, v51
	v_add_f32_e32 v7, v1, v7
	v_add_f32_e32 v8, v8, v9
	global_store_dwordx2 v[55:56], v[7:8], off
	v_mul_f32_e64 v7, v39, -v5
	v_mul_f32_e32 v1, v6, v39
	v_fma_f32 v8, -v6, v36, v7
	v_mul_f32_e64 v7, v41, -v4
	v_mul_f32_e32 v9, v3, v41
	v_fma_f32 v1, -v5, v36, v1
	v_fmac_f32_e32 v7, v3, v38
	v_fmac_f32_e32 v9, v4, v38
	v_add_f32_e32 v7, v1, v7
	v_add_f32_e32 v8, v8, v9
	global_store_dwordx2 v[61:62], v[7:8], off
	v_mul_f32_e32 v7, v6, v49
	v_mul_f32_e64 v8, v49, -v5
	v_mul_f32_e64 v9, v50, -v4
	v_mul_f32_e32 v10, v3, v50
	v_fma_f32 v7, -v5, v44, v7
	v_fma_f32 v8, -v6, v44, v8
	v_fmac_f32_e32 v9, v3, v47
	v_fmac_f32_e32 v10, v4, v47
	v_add_f32_e32 v7, v7, v9
	v_add_f32_e32 v8, v8, v10
	global_store_dwordx2 v[65:66], v[7:8], off
	v_mul_f32_e32 v7, v6, v35
	v_mul_f32_e64 v8, v35, -v5
	v_mul_f32_e64 v9, v37, -v4
	v_mul_f32_e32 v10, v3, v37
	v_fma_f32 v7, -v5, v30, v7
	;; [unrolled: 11-line block ×6, first 2 shown]
	v_fma_f32 v8, -v6, v15, v8
	v_fmac_f32_e32 v9, v3, v16
	v_fmac_f32_e32 v10, v4, v16
	v_add_f32_e32 v7, v7, v9
	v_add_f32_e32 v8, v8, v10
	v_mov_b32_e32 v1, 0
	global_store_dwordx2 v[79:80], v[7:8], off
	v_mov_b32_e32 v7, 0
	s_and_saveexec_b64 s[20:21], s[2:3]
	s_cbranch_execz .LBB239_16
; %bb.15:                               ;   in Loop: Header=BB239_5 Depth=1
	v_add_u32_e32 v7, v26, v27
	v_add_u32_e32 v1, s28, v7
	v_lshlrev_b64 v[8:9], 3, v[1:2]
	v_mov_b32_e32 v1, s9
	v_add_co_u32_e32 v8, vcc, s8, v8
	v_addc_co_u32_e32 v9, vcc, v1, v9, vcc
	global_load_dwordx2 v[53:54], v[8:9], off
	v_mul_f32_e32 v1, v6, v14
	v_mul_f32_e64 v10, v14, -v5
	v_mul_f32_e64 v57, v14, -v4
	v_mul_f32_e32 v58, v3, v14
	v_fma_f32 v60, -v5, v13, v1
	v_fma_f32 v10, -v6, v13, v10
	v_fmac_f32_e32 v57, v3, v13
	v_fmac_f32_e32 v58, v4, v13
	v_mul_f32_e32 v5, v10, v48
	v_mul_f32_e64 v6, v48, -v60
	v_add_u32_e32 v1, s29, v7
	v_mul_f32_e64 v48, v52, -v58
	v_mul_f32_e32 v52, v57, v52
	v_fma_f32 v56, -v60, v45, v5
	v_fma_f32 v45, -v10, v45, v6
	v_lshlrev_b64 v[5:6], 3, v[1:2]
	v_fmac_f32_e32 v52, v58, v51
	v_add_u32_e32 v1, s30, v7
	v_mov_b32_e32 v55, s9
	v_fmac_f32_e32 v48, v57, v51
	v_sub_f32_e32 v45, v45, v52
	v_lshlrev_b64 v[51:52], 3, v[1:2]
	v_add_co_u32_e32 v5, vcc, s8, v5
	v_sub_f32_e32 v48, v56, v48
	v_addc_co_u32_e32 v6, vcc, v55, v6, vcc
	v_mov_b32_e32 v59, s9
	global_load_dwordx2 v[55:56], v[5:6], off
	v_add_co_u32_e32 v51, vcc, s8, v51
	v_addc_co_u32_e32 v52, vcc, v59, v52, vcc
	v_mul_f32_e32 v1, v10, v39
	v_mul_f32_e64 v39, v39, -v60
	v_mul_f32_e64 v59, v50, -v58
	v_mul_f32_e32 v50, v57, v50
	v_fma_f32 v1, -v60, v36, v1
	v_fma_f32 v36, -v10, v36, v39
	v_fmac_f32_e32 v59, v57, v47
	v_fmac_f32_e32 v50, v58, v47
	s_waitcnt vmcnt(1)
	v_add_f32_e32 v53, v48, v53
	v_add_f32_e32 v54, v45, v54
	global_store_dwordx2 v[8:9], v[53:54], off
	global_load_dwordx2 v[8:9], v[51:52], off
	v_mul_f32_e64 v45, v41, -v58
	v_mul_f32_e32 v41, v57, v41
	v_mul_f32_e32 v54, v10, v49
	v_mul_f32_e64 v49, v49, -v60
	v_fmac_f32_e32 v45, v57, v38
	v_fmac_f32_e32 v41, v58, v38
	v_fma_f32 v38, -v60, v44, v54
	v_fma_f32 v39, -v10, v44, v49
	v_sub_f32_e32 v47, v1, v45
	v_add_u32_e32 v1, s31, v7
	v_sub_f32_e32 v36, v36, v41
	v_sub_f32_e32 v41, v38, v59
	;; [unrolled: 1-line block ×3, first 2 shown]
	v_lshlrev_b64 v[38:39], 3, v[1:2]
	v_add_u32_e32 v1, s33, v7
	v_mov_b32_e32 v48, s9
	v_lshlrev_b64 v[44:45], 3, v[1:2]
	v_add_co_u32_e32 v38, vcc, s8, v38
	v_addc_co_u32_e32 v39, vcc, v48, v39, vcc
	v_mov_b32_e32 v53, s9
	v_add_co_u32_e32 v44, vcc, s8, v44
	v_addc_co_u32_e32 v45, vcc, v53, v45, vcc
	s_waitcnt vmcnt(2)
	v_add_f32_e32 v47, v47, v55
	v_add_f32_e32 v48, v36, v56
	global_store_dwordx2 v[5:6], v[47:48], off
	global_load_dwordx2 v[5:6], v[38:39], off
	v_mul_f32_e32 v1, v10, v35
	v_mul_f32_e64 v36, v37, -v58
	v_mul_f32_e64 v35, v35, -v60
	v_mul_f32_e32 v37, v57, v37
	v_mul_f32_e32 v47, v10, v43
	v_mul_f32_e64 v43, v43, -v60
	v_mul_f32_e64 v48, v46, -v58
	v_mul_f32_e32 v46, v57, v46
	v_fma_f32 v1, -v60, v30, v1
	v_fmac_f32_e32 v36, v57, v32
	v_fma_f32 v30, -v10, v30, v35
	v_fmac_f32_e32 v37, v58, v32
	v_fma_f32 v32, -v60, v40, v47
	v_fma_f32 v35, -v10, v40, v43
	v_fmac_f32_e32 v46, v58, v42
	v_sub_f32_e32 v40, v1, v36
	v_add_u32_e32 v1, s34, v7
	v_fmac_f32_e32 v48, v57, v42
	v_sub_f32_e32 v30, v30, v37
	v_sub_f32_e32 v37, v35, v46
	v_lshlrev_b64 v[35:36], 3, v[1:2]
	v_sub_f32_e32 v32, v32, v48
	v_add_co_u32_e32 v35, vcc, s8, v35
	v_mul_f32_e32 v1, v10, v33
	v_fma_f32 v1, -v60, v29, v1
	s_waitcnt vmcnt(2)
	v_add_f32_e32 v8, v41, v8
	v_add_f32_e32 v9, v49, v9
	global_store_dwordx2 v[51:52], v[8:9], off
	global_load_dwordx2 v[8:9], v[44:45], off
	v_mov_b32_e32 v41, s9
	v_addc_co_u32_e32 v36, vcc, v41, v36, vcc
	s_waitcnt vmcnt(2)
	v_add_f32_e32 v5, v40, v5
	v_add_f32_e32 v6, v30, v6
	global_store_dwordx2 v[38:39], v[5:6], off
	v_mov_b32_e32 v30, s9
	s_waitcnt vmcnt(1)
	v_add_f32_e32 v5, v32, v8
	v_add_f32_e32 v6, v37, v9
	global_store_dwordx2 v[44:45], v[5:6], off
	global_load_dwordx2 v[5:6], v[35:36], off
	v_mul_f32_e64 v9, v34, -v58
	v_mul_f32_e64 v8, v33, -v60
	v_mul_f32_e32 v32, v57, v34
	v_fmac_f32_e32 v9, v57, v31
	v_fma_f32 v8, -v10, v29, v8
	v_fmac_f32_e32 v32, v58, v31
	v_sub_f32_e32 v31, v1, v9
	v_add_u32_e32 v1, s35, v7
	v_sub_f32_e32 v32, v8, v32
	v_lshlrev_b64 v[8:9], 3, v[1:2]
	v_mov_b32_e32 v1, s15
	v_add_co_u32_e32 v29, vcc, s8, v8
	v_addc_co_u32_e32 v30, vcc, v30, v9, vcc
	v_ashrrev_i32_e32 v8, 31, v7
	v_lshlrev_b64 v[8:9], 3, v[7:8]
	v_mul_f32_e64 v33, v24, -v58
	v_mul_f32_e32 v24, v57, v24
	v_add_co_u32_e32 v8, vcc, s14, v8
	v_fmac_f32_e32 v24, v58, v19
	v_addc_co_u32_e32 v9, vcc, v1, v9, vcc
	v_add_u32_e32 v1, s36, v7
	v_fmac_f32_e32 v33, v57, v19
	global_load_dwordx2 v[8:9], v[8:9], off
	v_mul_f32_e64 v7, v18, -v60
	v_fma_f32 v7, -v10, v15, v7
	s_waitcnt vmcnt(1)
	v_add_f32_e32 v5, v31, v5
	v_add_f32_e32 v6, v32, v6
	global_store_dwordx2 v[35:36], v[5:6], off
	global_load_dwordx2 v[5:6], v[29:30], off
	v_mul_f32_e32 v32, v10, v23
	v_mul_f32_e64 v23, v23, -v60
	v_fma_f32 v32, -v60, v17, v32
	v_fma_f32 v17, -v10, v17, v23
	v_sub_f32_e32 v17, v17, v24
	v_lshlrev_b64 v[23:24], 3, v[1:2]
	v_sub_f32_e32 v19, v32, v33
	v_mov_b32_e32 v31, s9
	v_add_co_u32_e32 v23, vcc, s8, v23
	v_addc_co_u32_e32 v24, vcc, v31, v24, vcc
	v_mul_f32_e64 v1, v4, -v14
	v_mul_f32_e32 v4, v4, v13
	v_fmac_f32_e32 v1, v13, v3
	v_fmac_f32_e32 v4, v14, v3
	v_mul_f32_e32 v3, v10, v18
	v_mul_f32_e64 v13, v20, -v58
	v_mul_f32_e32 v14, v57, v20
	v_fma_f32 v3, -v60, v15, v3
	v_fmac_f32_e32 v13, v57, v16
	v_fmac_f32_e32 v14, v58, v16
	s_waitcnt vmcnt(0)
	v_add_f32_e32 v5, v19, v5
	v_add_f32_e32 v6, v17, v6
	global_store_dwordx2 v[29:30], v[5:6], off
	global_load_dwordx2 v[5:6], v[23:24], off
	v_mul_f32_e64 v17, v12, -v4
	v_mul_f32_e32 v12, v12, v1
	v_fmac_f32_e32 v17, v1, v11
	v_fmac_f32_e32 v12, v4, v11
	v_sub_f32_e32 v1, v3, v13
	v_mul_f32_e64 v3, v22, -v12
	v_mul_f32_e32 v10, v22, v17
	v_sub_f32_e32 v4, v7, v14
	v_fmac_f32_e32 v3, v17, v21
	v_fmac_f32_e32 v10, v12, v21
	v_sub_f32_e32 v7, v8, v3
	s_waitcnt vmcnt(0)
	v_add_f32_e32 v3, v1, v5
	v_add_f32_e32 v4, v4, v6
	v_sub_f32_e32 v1, v9, v10
	global_store_dwordx2 v[23:24], v[3:4], off
.LBB239_16:                             ;   in Loop: Header=BB239_5 Depth=1
	s_or_b64 exec, exec, s[20:21]
	v_mov_b32_e32 v4, v1
	v_mov_b32_e32 v3, v7
                                        ; implicit-def: $vgpr7_vgpr8
                                        ; implicit-def: $vgpr5
                                        ; implicit-def: $vgpr9
                                        ; implicit-def: $vgpr30
                                        ; implicit-def: $vgpr29
                                        ; implicit-def: $vgpr23
                                        ; implicit-def: $vgpr21
                                        ; implicit-def: $vgpr19
                                        ; implicit-def: $vgpr18
                                        ; implicit-def: $vgpr17
                                        ; implicit-def: $vgpr16
                                        ; implicit-def: $vgpr15
.LBB239_17:                             ;   in Loop: Header=BB239_5 Depth=1
	s_or_saveexec_b64 s[2:3], s[4:5]
	v_mov_b32_e32 v8, s27
	s_xor_b64 exec, exec, s[2:3]
	s_cbranch_execz .LBB239_4
; %bb.18:                               ;   in Loop: Header=BB239_5 Depth=1
	v_lshlrev_b64 v[11:12], 3, v[1:2]
	v_mov_b32_e32 v24, v2
	v_mov_b32_e32 v1, s9
	v_lshlrev_b64 v[13:14], 3, v[23:24]
	v_add_co_u32_e32 v32, vcc, s8, v11
	v_mov_b32_e32 v22, v2
	v_addc_co_u32_e32 v33, vcc, v1, v12, vcc
	v_mov_b32_e32 v8, s9
	v_lshlrev_b64 v[21:22], 3, v[21:22]
	v_add_co_u32_e32 v34, vcc, s8, v13
	v_mov_b32_e32 v20, v2
	v_addc_co_u32_e32 v35, vcc, v8, v14, vcc
	v_mov_b32_e32 v31, s9
	v_lshlrev_b64 v[19:20], 3, v[19:20]
	v_add_co_u32_e32 v36, vcc, s8, v21
	v_addc_co_u32_e32 v37, vcc, v31, v22, vcc
	v_add_co_u32_e32 v38, vcc, s8, v19
	v_mov_b32_e32 v19, v2
	v_mov_b32_e32 v39, s9
	v_lshlrev_b64 v[13:14], 3, v[18:19]
	v_addc_co_u32_e32 v39, vcc, v39, v20, vcc
	v_add_co_u32_e32 v40, vcc, s8, v13
	v_mov_b32_e32 v18, v2
	v_addc_co_u32_e32 v41, vcc, v1, v14, vcc
	v_lshlrev_b64 v[13:14], 3, v[17:18]
	v_mov_b32_e32 v17, v2
	v_add_co_u32_e32 v44, vcc, s8, v13
	v_addc_co_u32_e32 v45, vcc, v1, v14, vcc
	v_lshlrev_b64 v[13:14], 3, v[16:17]
	v_mov_b32_e32 v16, v2
	v_add_co_u32_e32 v50, vcc, s8, v13
	v_addc_co_u32_e32 v51, vcc, v1, v14, vcc
	v_lshlrev_b64 v[13:14], 3, v[15:16]
	global_load_dwordx2 v[11:12], v[32:33], off
	v_add_co_u32_e32 v56, vcc, s8, v13
	v_addc_co_u32_e32 v57, vcc, v1, v14, vcc
	global_load_dwordx2 v[18:19], v[34:35], off
	global_load_dwordx2 v[42:43], v[36:37], off
	global_load_dwordx2 v[46:47], v[38:39], off
	global_load_dwordx2 v[48:49], v[40:41], off
	global_load_dwordx2 v[52:53], v[44:45], off
	global_load_dwordx2 v[54:55], v[50:51], off
	global_load_dwordx2 v[58:59], v[56:57], off
	v_mul_f32_e32 v1, v4, v4
	v_fmac_f32_e32 v1, v3, v3
	v_div_scale_f32 v8, s[4:5], v1, v1, 1.0
	v_div_scale_f32 v13, vcc, 1.0, v1, 1.0
	v_rcp_f32_e32 v14, v8
	v_fma_f32 v15, -v8, v14, 1.0
	v_fmac_f32_e32 v14, v15, v14
	v_mul_f32_e32 v15, v13, v14
	v_fma_f32 v16, -v8, v15, v13
	v_fmac_f32_e32 v15, v16, v14
	v_fma_f32 v8, -v8, v15, v13
	v_div_fmas_f32 v8, v8, v14, v15
	v_fma_f32 v13, 0, v4, v3
	v_fma_f32 v3, v3, 0, -v4
	v_div_fixup_f32 v1, v8, v1, 1.0
	v_mul_f32_e32 v31, v3, v1
	v_mul_f32_e32 v8, v13, v1
	s_waitcnt vmcnt(7)
	v_mul_f32_e64 v23, v31, -v12
	v_mul_f32_e32 v24, v31, v11
	v_fmac_f32_e32 v23, v11, v8
	v_fmac_f32_e32 v24, v12, v8
	s_waitcnt vmcnt(6)
	v_mul_f32_e64 v21, v31, -v19
	v_mul_f32_e32 v22, v31, v18
	v_fmac_f32_e32 v21, v18, v8
	v_fmac_f32_e32 v22, v19, v8
	s_waitcnt vmcnt(5)
	v_mul_f32_e64 v19, v31, -v43
	v_mul_f32_e32 v20, v31, v42
	s_waitcnt vmcnt(4)
	v_mul_f32_e64 v17, v31, -v47
	v_mul_f32_e32 v18, v31, v46
	;; [unrolled: 3-line block ×6, first 2 shown]
	v_fmac_f32_e32 v19, v42, v8
	v_fmac_f32_e32 v20, v43, v8
	;; [unrolled: 1-line block ×12, first 2 shown]
	global_store_dwordx2 v[32:33], v[23:24], off
	global_store_dwordx2 v[34:35], v[21:22], off
	;; [unrolled: 1-line block ×8, first 2 shown]
	s_and_saveexec_b64 s[4:5], s[0:1]
	s_cbranch_execz .LBB239_3
; %bb.19:                               ;   in Loop: Header=BB239_5 Depth=1
	v_add_u32_e32 v42, v25, v27
	v_add_u32_e32 v1, s28, v42
	v_lshlrev_b64 v[32:33], 3, v[1:2]
	v_mov_b32_e32 v1, s9
	v_add_co_u32_e32 v32, vcc, s8, v32
	v_addc_co_u32_e32 v33, vcc, v1, v33, vcc
	global_load_dwordx2 v[34:35], v[32:33], off
	v_add_u32_e32 v1, s29, v42
	v_lshlrev_b64 v[36:37], 3, v[1:2]
	v_mov_b32_e32 v40, s9
	v_add_u32_e32 v1, s30, v42
	v_add_co_u32_e32 v36, vcc, s8, v36
	v_lshlrev_b64 v[38:39], 3, v[1:2]
	v_addc_co_u32_e32 v37, vcc, v40, v37, vcc
	global_load_dwordx2 v[40:41], v[36:37], off
	v_mov_b32_e32 v43, s9
	v_add_co_u32_e32 v38, vcc, s8, v38
	v_addc_co_u32_e32 v39, vcc, v43, v39, vcc
	v_mov_b32_e32 v44, s9
	s_waitcnt vmcnt(1)
	v_fma_f32 v34, -v5, v23, v34
	v_fma_f32 v1, -v6, v23, v35
	v_fmac_f32_e32 v34, v6, v24
	v_fma_f32 v35, -v5, v24, v1
	global_store_dwordx2 v[32:33], v[34:35], off
	global_load_dwordx2 v[23:24], v[38:39], off
	v_add_u32_e32 v1, s31, v42
	v_lshlrev_b64 v[32:33], 3, v[1:2]
	v_add_u32_e32 v1, s33, v42
	v_lshlrev_b64 v[34:35], 3, v[1:2]
	v_add_co_u32_e32 v32, vcc, s8, v32
	s_waitcnt vmcnt(2)
	v_fma_f32 v40, -v5, v21, v40
	v_fma_f32 v1, -v6, v21, v41
	v_addc_co_u32_e32 v33, vcc, v43, v33, vcc
	v_fmac_f32_e32 v40, v6, v22
	v_fma_f32 v41, -v5, v22, v1
	v_add_co_u32_e32 v34, vcc, s8, v34
	global_store_dwordx2 v[36:37], v[40:41], off
	v_addc_co_u32_e32 v35, vcc, v44, v35, vcc
	global_load_dwordx2 v[21:22], v[32:33], off
	v_mov_b32_e32 v36, s9
	s_waitcnt vmcnt(2)
	v_fma_f32 v23, -v5, v19, v23
	v_fma_f32 v1, -v6, v19, v24
	v_fmac_f32_e32 v23, v6, v20
	v_fma_f32 v24, -v5, v20, v1
	global_store_dwordx2 v[38:39], v[23:24], off
	global_load_dwordx2 v[19:20], v[34:35], off
	v_add_u32_e32 v1, s34, v42
	v_lshlrev_b64 v[23:24], 3, v[1:2]
	v_add_co_u32_e32 v23, vcc, s8, v23
	v_addc_co_u32_e32 v24, vcc, v36, v24, vcc
	s_waitcnt vmcnt(2)
	v_fma_f32 v1, -v6, v17, v22
	v_fma_f32 v21, -v5, v17, v21
	;; [unrolled: 1-line block ×3, first 2 shown]
	v_fmac_f32_e32 v21, v6, v18
	global_store_dwordx2 v[32:33], v[21:22], off
	s_waitcnt vmcnt(1)
	v_fma_f32 v17, -v5, v15, v19
	v_fma_f32 v1, -v6, v15, v20
	v_fmac_f32_e32 v17, v6, v16
	v_fma_f32 v18, -v5, v16, v1
	global_store_dwordx2 v[34:35], v[17:18], off
	global_load_dwordx2 v[15:16], v[23:24], off
	v_add_u32_e32 v1, s35, v42
	v_lshlrev_b64 v[17:18], 3, v[1:2]
	v_mov_b32_e32 v19, s9
	v_add_co_u32_e32 v17, vcc, s8, v17
	v_addc_co_u32_e32 v18, vcc, v19, v18, vcc
	s_waitcnt vmcnt(0)
	v_fma_f32 v15, -v5, v13, v15
	v_fma_f32 v1, -v6, v13, v16
	v_fmac_f32_e32 v15, v6, v14
	v_fma_f32 v16, -v5, v14, v1
	global_store_dwordx2 v[23:24], v[15:16], off
	global_load_dwordx2 v[13:14], v[17:18], off
	v_add_u32_e32 v1, s36, v42
	v_lshlrev_b64 v[15:16], 3, v[1:2]
	v_add_co_u32_e32 v15, vcc, s8, v15
	v_addc_co_u32_e32 v16, vcc, v19, v16, vcc
	s_waitcnt vmcnt(0)
	v_fma_f32 v13, -v5, v11, v13
	v_fma_f32 v1, -v6, v11, v14
	v_fmac_f32_e32 v13, v6, v12
	v_fma_f32 v14, -v5, v12, v1
	global_store_dwordx2 v[17:18], v[13:14], off
	global_load_dwordx2 v[11:12], v[15:16], off
	s_waitcnt vmcnt(0)
	v_fma_f32 v11, -v5, v3, v11
	v_fma_f32 v1, -v6, v3, v12
	v_fmac_f32_e32 v11, v6, v4
	v_fma_f32 v12, -v5, v4, v1
	global_store_dwordx2 v[15:16], v[11:12], off
	s_branch .LBB239_3
.LBB239_20:
	s_or_b64 exec, exec, s[18:19]
	s_branch .LBB239_22
.LBB239_21:
	v_mov_b32_e32 v27, 0
.LBB239_22:
	v_subrev_u32_e32 v3, s22, v27
	v_add_u32_e32 v1, v3, v0
	v_ashrrev_i32_e32 v2, 31, v1
	v_lshlrev_b64 v[1:2], 2, v[1:2]
	s_waitcnt lgkmcnt(0)
	v_mov_b32_e32 v4, s17
	v_add_co_u32_e32 v1, vcc, s16, v1
	v_addc_co_u32_e32 v2, vcc, v4, v2, vcc
	s_waitcnt vmcnt(0)
	buffer_wbinvl1_vol
	global_load_dword v1, v[1:2], off
	s_waitcnt vmcnt(0)
	v_mul_lo_u32 v1, v1, s22
	v_sub_u32_e32 v7, v3, v1
	v_cmp_lt_i32_e32 vcc, -1, v7
	s_and_b64 exec, exec, vcc
	s_cbranch_execz .LBB239_29
; %bb.23:
	s_lshl_b32 s4, s24, 3
	s_add_i32 s5, s4, s23
	s_add_i32 s6, s5, s23
	;; [unrolled: 1-line block ×7, first 2 shown]
	s_lshl_b32 s18, s22, 1
	s_mov_b64 s[0:1], 0
	v_mov_b32_e32 v8, s17
	v_mov_b32_e32 v9, s11
	;; [unrolled: 1-line block ×3, first 2 shown]
	s_branch .LBB239_25
.LBB239_24:                             ;   in Loop: Header=BB239_25 Depth=1
	s_or_b64 exec, exec, s[2:3]
	v_sub_u32_e32 v7, v7, v1
	v_cmp_gt_i32_e32 vcc, 0, v7
	s_or_b64 s[0:1], vcc, s[0:1]
	s_andn2_b64 exec, exec, s[0:1]
	s_cbranch_execz .LBB239_29
.LBB239_25:                             ; =>This Inner Loop Header: Depth=1
	v_add_u32_e32 v5, v7, v0
	v_ashrrev_i32_e32 v6, 31, v5
	s_waitcnt vmcnt(0)
	v_lshlrev_b64 v[3:4], 2, v[5:6]
	v_add_co_u32_e32 v3, vcc, s16, v3
	v_addc_co_u32_e32 v4, vcc, v8, v4, vcc
	global_load_dword v1, v[3:4], off
	v_lshlrev_b64 v[3:4], 3, v[5:6]
	v_add_co_u32_e32 v3, vcc, s10, v3
	v_addc_co_u32_e32 v4, vcc, v9, v4, vcc
	global_load_dwordx2 v[3:4], v[3:4], off
	s_waitcnt vmcnt(1)
	v_cmp_ne_u32_e32 vcc, 1, v1
	s_and_saveexec_b64 s[2:3], vcc
	s_xor_b64 s[2:3], exec, s[2:3]
	s_cbranch_execz .LBB239_27
; %bb.26:                               ;   in Loop: Header=BB239_25 Depth=1
	v_add_u32_e32 v6, v25, v7
	v_add_u32_e32 v1, s4, v6
	v_lshlrev_b64 v[10:11], 3, v[1:2]
	v_mov_b32_e32 v1, s9
	v_add_co_u32_e32 v10, vcc, s8, v10
	v_addc_co_u32_e32 v11, vcc, v1, v11, vcc
	v_add_u32_e32 v1, s5, v6
	v_lshlrev_b64 v[12:13], 3, v[1:2]
	v_add_u32_e32 v1, s6, v6
	v_lshlrev_b64 v[14:15], 3, v[1:2]
	;; [unrolled: 2-line block ×8, first 2 shown]
	v_mov_b32_e32 v1, s9
	v_add_co_u32_e32 v28, vcc, s8, v28
	v_addc_co_u32_e32 v29, vcc, v1, v29, vcc
	global_load_dwordx2 v[10:11], v[10:11], off
	v_add_co_u32_e32 v12, vcc, s8, v12
	global_load_dwordx2 v[30:31], v[28:29], off
	v_addc_co_u32_e32 v13, vcc, v1, v13, vcc
	v_mov_b32_e32 v6, s9
	v_add_co_u32_e32 v14, vcc, s8, v14
	v_addc_co_u32_e32 v15, vcc, v6, v15, vcc
	v_mov_b32_e32 v24, s9
	v_add_co_u32_e32 v16, vcc, s8, v16
	v_addc_co_u32_e32 v17, vcc, v24, v17, vcc
	v_mov_b32_e32 v38, s9
	global_load_dwordx2 v[32:33], v[12:13], off
	global_load_dwordx2 v[34:35], v[14:15], off
	;; [unrolled: 1-line block ×3, first 2 shown]
	v_add_co_u32_e32 v12, vcc, s8, v18
	v_addc_co_u32_e32 v13, vcc, v38, v19, vcc
	v_mov_b32_e32 v39, s9
	v_add_co_u32_e32 v14, vcc, s8, v20
	v_addc_co_u32_e32 v15, vcc, v39, v21, vcc
	v_mov_b32_e32 v40, s9
	v_add_co_u32_e32 v16, vcc, s8, v22
	v_addc_co_u32_e32 v17, vcc, v40, v23, vcc
	v_add_u32_e32 v1, s5, v5
	v_mov_b32_e32 v41, s9
	v_add_co_u32_e32 v18, vcc, s8, v26
	v_lshlrev_b64 v[20:21], 3, v[1:2]
	v_addc_co_u32_e32 v19, vcc, v41, v27, vcc
	global_load_dwordx2 v[22:23], v[12:13], off
	global_load_dwordx2 v[26:27], v[14:15], off
	;; [unrolled: 1-line block ×4, first 2 shown]
	v_mov_b32_e32 v42, s9
	v_add_co_u32_e32 v12, vcc, s8, v20
	v_addc_co_u32_e32 v13, vcc, v42, v21, vcc
	v_mov_b32_e32 v19, s9
	s_waitcnt vmcnt(7)
	v_fma_f32 v14, -v3, v10, v30
	v_fma_f32 v1, -v4, v10, v31
	v_fmac_f32_e32 v14, v4, v11
	v_fma_f32 v15, -v3, v11, v1
	global_store_dwordx2 v[28:29], v[14:15], off
	global_load_dwordx2 v[14:15], v[12:13], off
	v_add_u32_e32 v1, s6, v5
	v_lshlrev_b64 v[16:17], 3, v[1:2]
	v_add_co_u32_e32 v16, vcc, s8, v16
	v_addc_co_u32_e32 v17, vcc, v6, v17, vcc
	s_waitcnt vmcnt(0)
	v_fma_f32 v14, -v3, v32, v14
	v_fma_f32 v1, -v4, v32, v15
	v_fmac_f32_e32 v14, v4, v33
	v_fma_f32 v15, -v3, v33, v1
	global_store_dwordx2 v[12:13], v[14:15], off
	global_load_dwordx2 v[12:13], v[16:17], off
	v_add_u32_e32 v1, s7, v5
	v_lshlrev_b64 v[14:15], 3, v[1:2]
	v_add_co_u32_e32 v14, vcc, s8, v14
	v_addc_co_u32_e32 v15, vcc, v6, v15, vcc
	;; [unrolled: 11-line block ×5, first 2 shown]
	s_waitcnt vmcnt(0)
	v_fma_f32 v12, -v3, v26, v12
	v_fma_f32 v1, -v4, v26, v13
	v_fmac_f32_e32 v12, v4, v27
	v_fma_f32 v13, -v3, v27, v1
	global_store_dwordx2 v[14:15], v[12:13], off
	global_load_dwordx2 v[12:13], v[16:17], off
	v_add_u32_e32 v1, s15, v5
	v_lshlrev_b64 v[5:6], 3, v[1:2]
	v_mov_b32_e32 v14, s9
	v_add_co_u32_e32 v5, vcc, s8, v5
	v_addc_co_u32_e32 v6, vcc, v14, v6, vcc
	s_waitcnt vmcnt(0)
	v_fma_f32 v12, -v3, v38, v12
	v_fma_f32 v1, -v4, v38, v13
	v_fmac_f32_e32 v12, v4, v39
	v_fma_f32 v13, -v3, v39, v1
	global_store_dwordx2 v[16:17], v[12:13], off
	global_load_dwordx2 v[12:13], v[5:6], off
	v_subrev_u32_e32 v1, s22, v7
	v_add_u32_e32 v14, v1, v0
	v_ashrrev_i32_e32 v15, 31, v14
	v_lshlrev_b64 v[15:16], 3, v[14:15]
	v_mov_b32_e32 v17, s11
	v_add_co_u32_e32 v15, vcc, s10, v15
	v_add_u32_e32 v1, s4, v14
	v_addc_co_u32_e32 v16, vcc, v17, v16, vcc
	v_lshlrev_b64 v[17:18], 3, v[1:2]
	global_load_dwordx2 v[15:16], v[15:16], off
	v_add_co_u32_e32 v17, vcc, s8, v17
	v_addc_co_u32_e32 v18, vcc, v19, v18, vcc
	s_waitcnt vmcnt(1)
	v_fma_f32 v12, -v3, v40, v12
	v_fma_f32 v1, -v4, v40, v13
	v_fmac_f32_e32 v12, v4, v41
	v_fma_f32 v13, -v3, v41, v1
	global_store_dwordx2 v[5:6], v[12:13], off
	global_load_dwordx2 v[3:4], v[17:18], off
	v_add_u32_e32 v1, s5, v14
	v_lshlrev_b64 v[5:6], 3, v[1:2]
	v_mov_b32_e32 v12, s9
	v_add_co_u32_e32 v5, vcc, s8, v5
	v_addc_co_u32_e32 v6, vcc, v12, v6, vcc
	s_waitcnt vmcnt(0)
	v_fma_f32 v3, -v15, v10, v3
	v_fma_f32 v1, -v16, v10, v4
	v_fmac_f32_e32 v3, v16, v11
	v_fma_f32 v4, -v15, v11, v1
	global_store_dwordx2 v[17:18], v[3:4], off
	global_load_dwordx2 v[3:4], v[5:6], off
	v_add_u32_e32 v1, s6, v14
	v_lshlrev_b64 v[10:11], 3, v[1:2]
	v_add_co_u32_e32 v10, vcc, s8, v10
	v_addc_co_u32_e32 v11, vcc, v12, v11, vcc
	s_waitcnt vmcnt(0)
	v_fma_f32 v3, -v15, v32, v3
	v_fma_f32 v1, -v16, v32, v4
	v_fmac_f32_e32 v3, v16, v33
	v_fma_f32 v4, -v15, v33, v1
	global_store_dwordx2 v[5:6], v[3:4], off
	global_load_dwordx2 v[3:4], v[10:11], off
	v_add_u32_e32 v1, s7, v14
	v_lshlrev_b64 v[5:6], 3, v[1:2]
	;; [unrolled: 11-line block ×6, first 2 shown]
	v_add_co_u32_e32 v5, vcc, s8, v5
	v_addc_co_u32_e32 v6, vcc, v12, v6, vcc
	s_waitcnt vmcnt(0)
	v_fma_f32 v3, -v15, v38, v3
	v_fma_f32 v1, -v16, v38, v4
	v_fmac_f32_e32 v3, v16, v39
	v_fma_f32 v4, -v15, v39, v1
	global_store_dwordx2 v[10:11], v[3:4], off
	global_load_dwordx2 v[3:4], v[5:6], off
	s_waitcnt vmcnt(0)
	v_fma_f32 v3, -v15, v40, v3
	v_fma_f32 v1, -v16, v40, v4
	v_fmac_f32_e32 v3, v16, v41
	v_fma_f32 v4, -v15, v41, v1
	global_store_dwordx2 v[5:6], v[3:4], off
                                        ; implicit-def: $vgpr5
                                        ; implicit-def: $vgpr3_vgpr4
.LBB239_27:                             ;   in Loop: Header=BB239_25 Depth=1
	s_or_saveexec_b64 s[2:3], s[2:3]
	v_mov_b32_e32 v1, s18
	s_xor_b64 exec, exec, s[2:3]
	s_cbranch_execz .LBB239_24
; %bb.28:                               ;   in Loop: Header=BB239_25 Depth=1
	v_add_u32_e32 v6, v25, v7
	v_add_u32_e32 v1, s4, v6
	v_lshlrev_b64 v[10:11], 3, v[1:2]
	v_mov_b32_e32 v1, s9
	v_add_co_u32_e32 v10, vcc, s8, v10
	v_addc_co_u32_e32 v11, vcc, v1, v11, vcc
	v_add_u32_e32 v1, s4, v5
	v_lshlrev_b64 v[12:13], 3, v[1:2]
	v_mov_b32_e32 v1, s9
	v_add_co_u32_e32 v12, vcc, s8, v12
	v_addc_co_u32_e32 v13, vcc, v1, v13, vcc
	global_load_dwordx2 v[14:15], v[10:11], off
	global_load_dwordx2 v[16:17], v[12:13], off
	v_add_u32_e32 v1, s5, v6
	v_lshlrev_b64 v[10:11], 3, v[1:2]
	v_add_u32_e32 v1, s5, v5
	v_mov_b32_e32 v20, s9
	v_lshlrev_b64 v[18:19], 3, v[1:2]
	v_add_co_u32_e32 v10, vcc, s8, v10
	v_addc_co_u32_e32 v11, vcc, v20, v11, vcc
	v_mov_b32_e32 v21, s9
	v_add_co_u32_e32 v18, vcc, s8, v18
	v_addc_co_u32_e32 v19, vcc, v21, v19, vcc
	s_waitcnt vmcnt(0)
	v_fma_f32 v16, -v3, v14, v16
	v_fma_f32 v1, -v4, v14, v17
	v_fmac_f32_e32 v16, v4, v15
	v_fma_f32 v17, -v3, v15, v1
	global_store_dwordx2 v[12:13], v[16:17], off
	global_load_dwordx2 v[12:13], v[10:11], off
	s_nop 0
	global_load_dwordx2 v[14:15], v[18:19], off
	v_add_u32_e32 v1, s6, v6
	v_lshlrev_b64 v[10:11], 3, v[1:2]
	v_add_u32_e32 v1, s6, v5
	v_lshlrev_b64 v[16:17], 3, v[1:2]
	v_add_co_u32_e32 v10, vcc, s8, v10
	v_addc_co_u32_e32 v11, vcc, v20, v11, vcc
	v_add_co_u32_e32 v16, vcc, s8, v16
	v_addc_co_u32_e32 v17, vcc, v21, v17, vcc
	s_waitcnt vmcnt(0)
	v_fma_f32 v14, -v3, v12, v14
	v_fma_f32 v1, -v4, v12, v15
	v_fmac_f32_e32 v14, v4, v13
	v_fma_f32 v15, -v3, v13, v1
	global_store_dwordx2 v[18:19], v[14:15], off
	global_load_dwordx2 v[12:13], v[10:11], off
	s_nop 0
	global_load_dwordx2 v[14:15], v[16:17], off
	v_add_u32_e32 v1, s7, v6
	v_lshlrev_b64 v[10:11], 3, v[1:2]
	v_add_u32_e32 v1, s7, v5
	v_lshlrev_b64 v[18:19], 3, v[1:2]
	v_add_co_u32_e32 v10, vcc, s8, v10
	v_addc_co_u32_e32 v11, vcc, v20, v11, vcc
	;; [unrolled: 17-line block ×5, first 2 shown]
	v_add_co_u32_e32 v16, vcc, s8, v16
	v_addc_co_u32_e32 v17, vcc, v21, v17, vcc
	s_waitcnt vmcnt(0)
	v_fma_f32 v14, -v3, v12, v14
	v_fma_f32 v1, -v4, v12, v15
	v_fmac_f32_e32 v14, v4, v13
	v_fma_f32 v15, -v3, v13, v1
	global_store_dwordx2 v[18:19], v[14:15], off
	global_load_dwordx2 v[12:13], v[10:11], off
	s_nop 0
	global_load_dwordx2 v[14:15], v[16:17], off
	v_add_u32_e32 v1, s15, v6
	v_lshlrev_b64 v[10:11], 3, v[1:2]
	v_add_u32_e32 v1, s15, v5
	v_mov_b32_e32 v18, s9
	v_lshlrev_b64 v[5:6], 3, v[1:2]
	v_add_co_u32_e32 v10, vcc, s8, v10
	v_addc_co_u32_e32 v11, vcc, v18, v11, vcc
	v_mov_b32_e32 v19, s9
	v_add_co_u32_e32 v5, vcc, s8, v5
	v_addc_co_u32_e32 v6, vcc, v19, v6, vcc
	s_waitcnt vmcnt(0)
	v_fma_f32 v14, -v3, v12, v14
	v_fma_f32 v1, -v4, v12, v15
	v_fmac_f32_e32 v14, v4, v13
	v_fma_f32 v15, -v3, v13, v1
	global_store_dwordx2 v[16:17], v[14:15], off
	global_load_dwordx2 v[12:13], v[10:11], off
	s_nop 0
	global_load_dwordx2 v[14:15], v[5:6], off
	s_waitcnt vmcnt(0)
	v_fma_f32 v10, -v3, v12, v14
	v_fma_f32 v1, -v4, v12, v15
	v_fmac_f32_e32 v10, v4, v13
	v_fma_f32 v11, -v3, v13, v1
	v_mov_b32_e32 v1, s22
	global_store_dwordx2 v[5:6], v[10:11], off
	s_branch .LBB239_24
.LBB239_29:
	s_endpgm
	.section	.rodata,"a",@progbits
	.p2align	6, 0x0
	.amdhsa_kernel _ZN9rocsparseL19gtsv_LBM_rhs_kernelILj256ELj64ELj8E21rocsparse_complex_numIfEEEviiiPKT2_S5_S5_PS3_S5_PKi
		.amdhsa_group_segment_fixed_size 0
		.amdhsa_private_segment_fixed_size 0
		.amdhsa_kernarg_size 64
		.amdhsa_user_sgpr_count 6
		.amdhsa_user_sgpr_private_segment_buffer 1
		.amdhsa_user_sgpr_dispatch_ptr 0
		.amdhsa_user_sgpr_queue_ptr 0
		.amdhsa_user_sgpr_kernarg_segment_ptr 1
		.amdhsa_user_sgpr_dispatch_id 0
		.amdhsa_user_sgpr_flat_scratch_init 0
		.amdhsa_user_sgpr_private_segment_size 0
		.amdhsa_uses_dynamic_stack 0
		.amdhsa_system_sgpr_private_segment_wavefront_offset 0
		.amdhsa_system_sgpr_workgroup_id_x 1
		.amdhsa_system_sgpr_workgroup_id_y 1
		.amdhsa_system_sgpr_workgroup_id_z 0
		.amdhsa_system_sgpr_workgroup_info 0
		.amdhsa_system_vgpr_workitem_id 0
		.amdhsa_next_free_vgpr 95
		.amdhsa_next_free_sgpr 37
		.amdhsa_reserve_vcc 1
		.amdhsa_reserve_flat_scratch 0
		.amdhsa_float_round_mode_32 0
		.amdhsa_float_round_mode_16_64 0
		.amdhsa_float_denorm_mode_32 3
		.amdhsa_float_denorm_mode_16_64 3
		.amdhsa_dx10_clamp 1
		.amdhsa_ieee_mode 1
		.amdhsa_fp16_overflow 0
		.amdhsa_exception_fp_ieee_invalid_op 0
		.amdhsa_exception_fp_denorm_src 0
		.amdhsa_exception_fp_ieee_div_zero 0
		.amdhsa_exception_fp_ieee_overflow 0
		.amdhsa_exception_fp_ieee_underflow 0
		.amdhsa_exception_fp_ieee_inexact 0
		.amdhsa_exception_int_div_zero 0
	.end_amdhsa_kernel
	.section	.text._ZN9rocsparseL19gtsv_LBM_rhs_kernelILj256ELj64ELj8E21rocsparse_complex_numIfEEEviiiPKT2_S5_S5_PS3_S5_PKi,"axG",@progbits,_ZN9rocsparseL19gtsv_LBM_rhs_kernelILj256ELj64ELj8E21rocsparse_complex_numIfEEEviiiPKT2_S5_S5_PS3_S5_PKi,comdat
.Lfunc_end239:
	.size	_ZN9rocsparseL19gtsv_LBM_rhs_kernelILj256ELj64ELj8E21rocsparse_complex_numIfEEEviiiPKT2_S5_S5_PS3_S5_PKi, .Lfunc_end239-_ZN9rocsparseL19gtsv_LBM_rhs_kernelILj256ELj64ELj8E21rocsparse_complex_numIfEEEviiiPKT2_S5_S5_PS3_S5_PKi
                                        ; -- End function
	.set _ZN9rocsparseL19gtsv_LBM_rhs_kernelILj256ELj64ELj8E21rocsparse_complex_numIfEEEviiiPKT2_S5_S5_PS3_S5_PKi.num_vgpr, 95
	.set _ZN9rocsparseL19gtsv_LBM_rhs_kernelILj256ELj64ELj8E21rocsparse_complex_numIfEEEviiiPKT2_S5_S5_PS3_S5_PKi.num_agpr, 0
	.set _ZN9rocsparseL19gtsv_LBM_rhs_kernelILj256ELj64ELj8E21rocsparse_complex_numIfEEEviiiPKT2_S5_S5_PS3_S5_PKi.numbered_sgpr, 37
	.set _ZN9rocsparseL19gtsv_LBM_rhs_kernelILj256ELj64ELj8E21rocsparse_complex_numIfEEEviiiPKT2_S5_S5_PS3_S5_PKi.num_named_barrier, 0
	.set _ZN9rocsparseL19gtsv_LBM_rhs_kernelILj256ELj64ELj8E21rocsparse_complex_numIfEEEviiiPKT2_S5_S5_PS3_S5_PKi.private_seg_size, 0
	.set _ZN9rocsparseL19gtsv_LBM_rhs_kernelILj256ELj64ELj8E21rocsparse_complex_numIfEEEviiiPKT2_S5_S5_PS3_S5_PKi.uses_vcc, 1
	.set _ZN9rocsparseL19gtsv_LBM_rhs_kernelILj256ELj64ELj8E21rocsparse_complex_numIfEEEviiiPKT2_S5_S5_PS3_S5_PKi.uses_flat_scratch, 0
	.set _ZN9rocsparseL19gtsv_LBM_rhs_kernelILj256ELj64ELj8E21rocsparse_complex_numIfEEEviiiPKT2_S5_S5_PS3_S5_PKi.has_dyn_sized_stack, 0
	.set _ZN9rocsparseL19gtsv_LBM_rhs_kernelILj256ELj64ELj8E21rocsparse_complex_numIfEEEviiiPKT2_S5_S5_PS3_S5_PKi.has_recursion, 0
	.set _ZN9rocsparseL19gtsv_LBM_rhs_kernelILj256ELj64ELj8E21rocsparse_complex_numIfEEEviiiPKT2_S5_S5_PS3_S5_PKi.has_indirect_call, 0
	.section	.AMDGPU.csdata,"",@progbits
; Kernel info:
; codeLenInByte = 7356
; TotalNumSgprs: 41
; NumVgprs: 95
; ScratchSize: 0
; MemoryBound: 0
; FloatMode: 240
; IeeeMode: 1
; LDSByteSize: 0 bytes/workgroup (compile time only)
; SGPRBlocks: 5
; VGPRBlocks: 23
; NumSGPRsForWavesPerEU: 41
; NumVGPRsForWavesPerEU: 95
; Occupancy: 2
; WaveLimiterHint : 0
; COMPUTE_PGM_RSRC2:SCRATCH_EN: 0
; COMPUTE_PGM_RSRC2:USER_SGPR: 6
; COMPUTE_PGM_RSRC2:TRAP_HANDLER: 0
; COMPUTE_PGM_RSRC2:TGID_X_EN: 1
; COMPUTE_PGM_RSRC2:TGID_Y_EN: 1
; COMPUTE_PGM_RSRC2:TGID_Z_EN: 0
; COMPUTE_PGM_RSRC2:TIDIG_COMP_CNT: 0
	.section	.text._ZN9rocsparseL19gtsv_LBM_rhs_kernelILj256ELj64ELj4E21rocsparse_complex_numIfEEEviiiPKT2_S5_S5_PS3_S5_PKi,"axG",@progbits,_ZN9rocsparseL19gtsv_LBM_rhs_kernelILj256ELj64ELj4E21rocsparse_complex_numIfEEEviiiPKT2_S5_S5_PS3_S5_PKi,comdat
	.globl	_ZN9rocsparseL19gtsv_LBM_rhs_kernelILj256ELj64ELj4E21rocsparse_complex_numIfEEEviiiPKT2_S5_S5_PS3_S5_PKi ; -- Begin function _ZN9rocsparseL19gtsv_LBM_rhs_kernelILj256ELj64ELj4E21rocsparse_complex_numIfEEEviiiPKT2_S5_S5_PS3_S5_PKi
	.p2align	8
	.type	_ZN9rocsparseL19gtsv_LBM_rhs_kernelILj256ELj64ELj4E21rocsparse_complex_numIfEEEviiiPKT2_S5_S5_PS3_S5_PKi,@function
_ZN9rocsparseL19gtsv_LBM_rhs_kernelILj256ELj64ELj4E21rocsparse_complex_numIfEEEviiiPKT2_S5_S5_PS3_S5_PKi: ; @_ZN9rocsparseL19gtsv_LBM_rhs_kernelILj256ELj64ELj4E21rocsparse_complex_numIfEEEviiiPKT2_S5_S5_PS3_S5_PKi
; %bb.0:
	s_load_dword s23, s[4:5], 0x0
	v_lshl_or_b32 v0, s6, 8, v0
	s_waitcnt lgkmcnt(0)
	s_lshr_b32 s22, s23, 6
	v_cmp_gt_i32_e32 vcc, s22, v0
	s_and_saveexec_b64 s[0:1], vcc
	s_cbranch_execz .LBB240_29
; %bb.1:
	s_load_dwordx4 s[8:11], s[4:5], 0x28
	s_load_dwordx2 s[16:17], s[4:5], 0x38
	s_cmp_lt_i32 s23, 1
	v_add_u32_e32 v19, s22, v0
	s_mul_i32 s24, s7, s23
	s_cbranch_scc1 .LBB240_21
; %bb.2:
	s_load_dwordx4 s[12:15], s[4:5], 0x10
	s_load_dwordx2 s[6:7], s[4:5], 0x20
	v_ashrrev_i32_e32 v1, 31, v0
	v_lshlrev_b64 v[1:2], 3, v[0:1]
	s_lshl_b32 s28, s24, 2
	s_waitcnt lgkmcnt(0)
	v_mov_b32_e32 v3, s15
	v_add_co_u32_e32 v1, vcc, s14, v1
	v_addc_co_u32_e32 v2, vcc, v3, v2, vcc
	global_load_dwordx2 v[5:6], v[1:2], off
	s_add_i32 s29, s28, s23
	s_add_i32 s30, s29, s23
	s_mul_i32 s25, s22, 63
	s_mul_i32 s26, s22, 62
	s_lshl_b32 s27, s22, 1
	v_add_u32_e32 v21, s22, v19
	s_add_i32 s31, s30, s23
	v_mov_b32_e32 v2, 0
	s_mov_b64 s[18:19], 0
	v_mov_b32_e32 v22, s7
	v_mov_b32_e32 v20, 0
	s_branch .LBB240_5
.LBB240_3:                              ;   in Loop: Header=BB240_5 Depth=1
	s_or_b64 exec, exec, s[4:5]
	v_fmac_f32_e32 v24, v3, v7
	v_fmac_f32_e32 v23, v4, v7
	v_mul_f32_e64 v1, v17, -v23
	v_mul_f32_e32 v3, v17, v24
	v_fmac_f32_e32 v1, v24, v8
	v_fmac_f32_e32 v3, v23, v8
	v_sub_f32_e32 v5, v9, v1
	v_sub_f32_e32 v6, v10, v3
	v_mov_b32_e32 v8, s22
.LBB240_4:                              ;   in Loop: Header=BB240_5 Depth=1
	s_or_b64 exec, exec, s[2:3]
	v_add_u32_e32 v20, v8, v20
	v_cmp_le_i32_e32 vcc, s23, v20
	s_or_b64 s[18:19], vcc, s[18:19]
	s_andn2_b64 exec, exec, s[18:19]
	s_cbranch_execz .LBB240_20
.LBB240_5:                              ; =>This Inner Loop Header: Depth=1
	v_add_u32_e32 v15, v20, v0
	v_ashrrev_i32_e32 v16, 31, v15
	v_lshlrev_b64 v[3:4], 3, v[15:16]
	v_cmp_gt_u32_e64 s[0:1], s25, v20
	v_add_co_u32_e32 v3, vcc, s6, v3
	v_addc_co_u32_e32 v4, vcc, v22, v4, vcc
	global_load_dwordx2 v[7:8], v[3:4], off
	v_mov_b32_e32 v3, 0
	v_mov_b32_e32 v4, 0
	s_and_saveexec_b64 s[2:3], s[0:1]
	s_cbranch_execz .LBB240_7
; %bb.6:                                ;   in Loop: Header=BB240_5 Depth=1
	v_add_u32_e32 v3, v19, v20
	v_ashrrev_i32_e32 v4, 31, v3
	v_lshlrev_b64 v[3:4], 3, v[3:4]
	v_mov_b32_e32 v1, s13
	v_add_co_u32_e32 v3, vcc, s12, v3
	v_addc_co_u32_e32 v4, vcc, v1, v4, vcc
	global_load_dwordx2 v[3:4], v[3:4], off
.LBB240_7:                              ;   in Loop: Header=BB240_5 Depth=1
	s_or_b64 exec, exec, s[2:3]
	v_mov_b32_e32 v11, 0
	v_mov_b32_e32 v9, 0
	;; [unrolled: 1-line block ×3, first 2 shown]
	s_and_saveexec_b64 s[2:3], s[0:1]
	s_cbranch_execz .LBB240_9
; %bb.8:                                ;   in Loop: Header=BB240_5 Depth=1
	v_add_u32_e32 v9, v19, v20
	v_ashrrev_i32_e32 v10, 31, v9
	v_lshlrev_b64 v[9:10], 3, v[9:10]
	v_mov_b32_e32 v1, s15
	v_add_co_u32_e32 v9, vcc, s14, v9
	v_addc_co_u32_e32 v10, vcc, v1, v10, vcc
	global_load_dwordx2 v[9:10], v[9:10], off
.LBB240_9:                              ;   in Loop: Header=BB240_5 Depth=1
	s_or_b64 exec, exec, s[2:3]
	v_mov_b32_e32 v12, 0
	s_and_saveexec_b64 s[2:3], s[0:1]
	s_cbranch_execz .LBB240_11
; %bb.10:                               ;   in Loop: Header=BB240_5 Depth=1
	v_add_u32_e32 v11, v19, v20
	v_ashrrev_i32_e32 v12, 31, v11
	v_lshlrev_b64 v[11:12], 3, v[11:12]
	v_mov_b32_e32 v1, s7
	v_add_co_u32_e32 v11, vcc, s6, v11
	v_addc_co_u32_e32 v12, vcc, v1, v12, vcc
	global_load_dwordx2 v[11:12], v[11:12], off
.LBB240_11:                             ;   in Loop: Header=BB240_5 Depth=1
	s_or_b64 exec, exec, s[2:3]
	v_cmp_gt_u32_e64 s[2:3], s26, v20
	v_mov_b32_e32 v13, 0
	v_mov_b32_e32 v14, 0
	s_and_saveexec_b64 s[4:5], s[2:3]
	s_cbranch_execz .LBB240_13
; %bb.12:                               ;   in Loop: Header=BB240_5 Depth=1
	v_add_u32_e32 v13, v21, v20
	v_ashrrev_i32_e32 v14, 31, v13
	v_lshlrev_b64 v[13:14], 3, v[13:14]
	v_mov_b32_e32 v1, s13
	v_add_co_u32_e32 v13, vcc, s12, v13
	v_addc_co_u32_e32 v14, vcc, v1, v14, vcc
	global_load_dwordx2 v[13:14], v[13:14], off
.LBB240_13:                             ;   in Loop: Header=BB240_5 Depth=1
	s_or_b64 exec, exec, s[4:5]
	v_lshlrev_b64 v[16:17], 2, v[15:16]
	v_mov_b32_e32 v1, s17
	v_add_co_u32_e32 v16, vcc, s16, v16
	v_addc_co_u32_e32 v17, vcc, v1, v17, vcc
	global_load_dword v18, v[16:17], off
	v_cmp_ne_u32_e32 vcc, s25, v20
	s_waitcnt vmcnt(1)
	v_mul_f32_e64 v24, v8, -v4
	v_mul_f32_e32 v23, v3, v8
	v_add_u32_e32 v1, s28, v15
	v_add_u32_e32 v17, s29, v15
	v_add_u32_e32 v16, s30, v15
	v_add_u32_e32 v15, s31, v15
	s_waitcnt vmcnt(0)
	v_cmp_ne_u32_e64 s[4:5], 1, v18
	s_and_b64 s[4:5], vcc, s[4:5]
	s_and_saveexec_b64 s[20:21], s[4:5]
	s_xor_b64 s[20:21], exec, s[20:21]
	s_cbranch_execz .LBB240_17
; %bb.14:                               ;   in Loop: Header=BB240_5 Depth=1
	v_lshlrev_b64 v[25:26], 3, v[1:2]
	v_mov_b32_e32 v18, v2
	v_mov_b32_e32 v1, s9
	v_add_co_u32_e32 v25, vcc, s8, v25
	v_lshlrev_b64 v[17:18], 3, v[17:18]
	v_addc_co_u32_e32 v26, vcc, v1, v26, vcc
	v_add_co_u32_e32 v36, vcc, s8, v17
	v_mov_b32_e32 v17, v2
	v_lshlrev_b64 v[16:17], 3, v[16:17]
	v_addc_co_u32_e32 v37, vcc, v1, v18, vcc
	v_add_co_u32_e32 v38, vcc, s8, v16
	v_add_u32_e32 v33, v19, v20
	v_addc_co_u32_e32 v39, vcc, v1, v17, vcc
	v_add_u32_e32 v1, s28, v33
	v_lshlrev_b64 v[16:17], 3, v[1:2]
	v_mov_b32_e32 v1, s9
	v_add_co_u32_e32 v40, vcc, s8, v16
	v_addc_co_u32_e32 v41, vcc, v1, v17, vcc
	v_add_u32_e32 v1, s29, v33
	v_lshlrev_b64 v[29:30], 3, v[1:2]
	v_mul_f32_e32 v35, v5, v10
	v_mul_f32_e64 v31, v10, -v6
	v_fmac_f32_e32 v35, v6, v9
	v_fmac_f32_e32 v23, v4, v7
	v_mov_b32_e32 v1, s9
	v_fmac_f32_e32 v31, v5, v9
	v_fmac_f32_e32 v24, v3, v7
	v_add_co_u32_e32 v42, vcc, s8, v29
	v_sub_f32_e32 v29, v35, v23
	v_sub_f32_e32 v60, v31, v24
	v_addc_co_u32_e32 v43, vcc, v1, v30, vcc
	v_mul_f32_e32 v30, v29, v29
	v_fmac_f32_e32 v30, v60, v60
	v_div_scale_f32 v35, s[4:5], v30, v30, 1.0
	v_div_scale_f32 v54, vcc, 1.0, v30, 1.0
	global_load_dwordx2 v[27:28], v[25:26], off
	global_load_dwordx2 v[17:18], v[40:41], off
	global_load_dwordx2 v[44:45], v[42:43], off
	global_load_dwordx2 v[31:32], v[36:37], off
	v_add_u32_e32 v1, s30, v33
	v_lshlrev_b64 v[23:24], 3, v[1:2]
	v_mov_b32_e32 v1, s9
	v_add_co_u32_e64 v46, s[4:5], s8, v23
	v_mov_b32_e32 v16, v2
	v_addc_co_u32_e64 v47, s[4:5], v1, v24, s[4:5]
	v_rcp_f32_e32 v23, v35
	v_lshlrev_b64 v[15:16], 3, v[15:16]
	global_load_dwordx2 v[48:49], v[38:39], off
	global_load_dwordx2 v[50:51], v[46:47], off
	v_mov_b32_e32 v34, s9
	v_fma_f32 v24, -v35, v23, 1.0
	v_fmac_f32_e32 v23, v24, v23
	v_mul_f32_e32 v24, v54, v23
	v_add_co_u32_e64 v52, s[4:5], s8, v15
	v_add_u32_e32 v1, s31, v33
	v_fma_f32 v33, -v35, v24, v54
	v_addc_co_u32_e64 v53, s[4:5], v34, v16, s[4:5]
	v_lshlrev_b64 v[15:16], 3, v[1:2]
	v_fmac_f32_e32 v24, v33, v23
	v_fma_f32 v33, -v35, v24, v54
	v_mov_b32_e32 v1, s9
	v_div_fmas_f32 v23, v33, v23, v24
	global_load_dwordx2 v[54:55], v[52:53], off
	v_add_co_u32_e32 v56, vcc, s8, v15
	v_addc_co_u32_e32 v57, vcc, v1, v16, vcc
	global_load_dwordx2 v[58:59], v[56:57], off
	v_fma_f32 v16, v60, 0, -v29
	v_fma_f32 v15, 0, v29, v60
	v_div_fixup_f32 v1, v23, v30, 1.0
	v_mul_f32_e32 v16, v16, v1
	v_mul_f32_e32 v15, v15, v1
	s_waitcnt vmcnt(7)
	v_mul_f32_e64 v23, v16, -v28
	v_fmac_f32_e32 v23, v27, v15
	v_mul_f32_e32 v27, v16, v27
	v_fmac_f32_e32 v27, v28, v15
	s_waitcnt vmcnt(6)
	v_mul_f32_e32 v28, v16, v17
	v_mul_f32_e64 v24, v16, -v18
	v_fmac_f32_e32 v28, v18, v15
	v_fmac_f32_e32 v24, v17, v15
	v_mul_f32_e64 v1, v27, -v10
	v_mul_f32_e32 v18, v9, v27
	v_mul_f32_e64 v17, v28, -v8
	v_mul_f32_e32 v29, v28, v7
	v_fmac_f32_e32 v1, v9, v23
	v_fmac_f32_e32 v18, v10, v23
	;; [unrolled: 1-line block ×4, first 2 shown]
	s_waitcnt vmcnt(4)
	v_mul_f32_e32 v33, v16, v31
	v_mul_f32_e32 v35, v16, v44
	v_sub_f32_e32 v17, v1, v17
	v_sub_f32_e32 v18, v18, v29
	v_mul_f32_e64 v30, v16, -v32
	v_fmac_f32_e32 v33, v32, v15
	v_mul_f32_e64 v32, v16, -v45
	v_fmac_f32_e32 v35, v45, v15
	global_store_dwordx2 v[25:26], v[17:18], off
	v_fmac_f32_e32 v30, v31, v15
	v_fmac_f32_e32 v32, v44, v15
	v_mul_f32_e64 v1, v33, -v10
	v_mul_f32_e32 v18, v9, v33
	v_mul_f32_e64 v17, v35, -v8
	v_mul_f32_e32 v25, v35, v7
	v_fmac_f32_e32 v1, v9, v30
	v_fmac_f32_e32 v18, v10, v30
	;; [unrolled: 1-line block ×4, first 2 shown]
	v_sub_f32_e32 v17, v1, v17
	v_sub_f32_e32 v18, v18, v25
	s_waitcnt vmcnt(4)
	v_mul_f32_e32 v25, v16, v48
	s_waitcnt vmcnt(3)
	v_mul_f32_e32 v26, v16, v50
	global_store_dwordx2 v[36:37], v[17:18], off
	v_mul_f32_e64 v17, v16, -v49
	v_fmac_f32_e32 v25, v49, v15
	v_mul_f32_e64 v18, v16, -v51
	v_fmac_f32_e32 v26, v51, v15
	v_fmac_f32_e32 v17, v48, v15
	v_fmac_f32_e32 v18, v50, v15
	v_mul_f32_e32 v29, v9, v25
	v_mul_f32_e32 v34, v26, v7
	v_mul_f32_e64 v1, v25, -v10
	v_fmac_f32_e32 v29, v10, v17
	v_mul_f32_e64 v31, v26, -v8
	v_fmac_f32_e32 v34, v8, v18
	v_fmac_f32_e32 v1, v9, v17
	;; [unrolled: 1-line block ×3, first 2 shown]
	v_sub_f32_e32 v37, v29, v34
	s_waitcnt vmcnt(3)
	v_mul_f32_e32 v34, v16, v54
	v_sub_f32_e32 v36, v1, v31
	v_mul_f32_e64 v29, v16, -v55
	v_fmac_f32_e32 v34, v55, v15
	global_store_dwordx2 v[38:39], v[36:37], off
	v_fmac_f32_e32 v29, v54, v15
	s_waitcnt vmcnt(3)
	v_mul_f32_e32 v36, v16, v58
	v_mul_f32_e64 v1, v34, -v10
	v_mul_f32_e64 v31, v16, -v59
	v_fmac_f32_e32 v36, v59, v15
	v_fmac_f32_e32 v1, v9, v29
	v_mul_f32_e32 v9, v9, v34
	v_fmac_f32_e32 v31, v58, v15
	v_fmac_f32_e32 v9, v10, v29
	v_mul_f32_e64 v10, v36, -v8
	v_mul_f32_e32 v37, v36, v7
	v_fmac_f32_e32 v10, v7, v31
	v_fmac_f32_e32 v37, v8, v31
	v_sub_f32_e32 v7, v1, v10
	v_sub_f32_e32 v8, v9, v37
	global_store_dwordx2 v[52:53], v[7:8], off
	v_mul_f32_e64 v7, v27, -v3
	v_mul_f32_e32 v1, v4, v27
	v_fma_f32 v8, -v4, v23, v7
	v_mul_f32_e64 v7, v28, -v6
	v_mul_f32_e32 v9, v5, v28
	v_fma_f32 v1, -v3, v23, v1
	v_fmac_f32_e32 v7, v5, v24
	v_fmac_f32_e32 v9, v6, v24
	v_add_f32_e32 v7, v1, v7
	v_add_f32_e32 v8, v8, v9
	global_store_dwordx2 v[40:41], v[7:8], off
	v_mul_f32_e64 v7, v33, -v3
	v_mul_f32_e32 v1, v4, v33
	v_fma_f32 v8, -v4, v30, v7
	v_mul_f32_e64 v7, v35, -v6
	v_mul_f32_e32 v9, v5, v35
	v_fma_f32 v1, -v3, v30, v1
	v_fmac_f32_e32 v7, v5, v32
	v_fmac_f32_e32 v9, v6, v32
	v_add_f32_e32 v7, v1, v7
	v_add_f32_e32 v8, v8, v9
	;; [unrolled: 11-line block ×3, first 2 shown]
	global_store_dwordx2 v[46:47], v[7:8], off
	v_mul_f32_e32 v1, v4, v34
	v_mul_f32_e64 v7, v34, -v3
	v_mul_f32_e64 v8, v36, -v6
	v_mul_f32_e32 v9, v5, v36
	v_fma_f32 v1, -v3, v29, v1
	v_fma_f32 v7, -v4, v29, v7
	v_fmac_f32_e32 v8, v5, v31
	v_fmac_f32_e32 v9, v6, v31
	v_add_f32_e32 v8, v1, v8
	v_add_f32_e32 v9, v7, v9
	v_mov_b32_e32 v7, 0
	v_mov_b32_e32 v1, 0
	global_store_dwordx2 v[56:57], v[8:9], off
	s_and_saveexec_b64 s[4:5], s[2:3]
	s_cbranch_execz .LBB240_16
; %bb.15:                               ;   in Loop: Header=BB240_5 Depth=1
	v_add_u32_e32 v7, v21, v20
	v_add_u32_e32 v1, s28, v7
	v_lshlrev_b64 v[8:9], 3, v[1:2]
	v_mov_b32_e32 v1, s9
	v_add_co_u32_e32 v37, vcc, s8, v8
	v_addc_co_u32_e32 v38, vcc, v1, v9, vcc
	v_add_u32_e32 v1, s29, v7
	v_lshlrev_b64 v[39:40], 3, v[1:2]
	global_load_dwordx2 v[9:10], v[37:38], off
	v_mov_b32_e32 v1, s9
	v_add_co_u32_e32 v39, vcc, s8, v39
	v_addc_co_u32_e32 v40, vcc, v1, v40, vcc
	global_load_dwordx2 v[41:42], v[39:40], off
	v_mul_f32_e32 v1, v4, v14
	v_mul_f32_e64 v8, v14, -v3
	v_mul_f32_e64 v43, v14, -v6
	v_mul_f32_e32 v44, v5, v14
	v_fma_f32 v48, -v3, v13, v1
	v_fma_f32 v49, -v4, v13, v8
	v_fmac_f32_e32 v43, v5, v13
	v_fmac_f32_e32 v44, v6, v13
	v_ashrrev_i32_e32 v8, 31, v7
	v_mul_f32_e32 v1, v49, v27
	v_mul_f32_e64 v27, v27, -v48
	v_mul_f32_e64 v50, v28, -v44
	v_mul_f32_e32 v28, v43, v28
	v_mul_f32_e32 v51, v49, v33
	v_mul_f32_e64 v52, v35, -v44
	v_lshlrev_b64 v[3:4], 3, v[7:8]
	v_mul_f32_e32 v35, v43, v35
	v_fma_f32 v8, -v48, v23, v1
	v_fma_f32 v23, -v49, v23, v27
	v_fmac_f32_e32 v50, v43, v24
	v_fmac_f32_e32 v28, v44, v24
	v_fma_f32 v24, -v48, v30, v51
	v_fmac_f32_e32 v52, v43, v32
	v_add_u32_e32 v1, s30, v7
	v_mov_b32_e32 v47, s15
	v_mul_f32_e64 v33, v33, -v48
	v_fmac_f32_e32 v35, v44, v32
	v_sub_f32_e32 v28, v23, v28
	v_sub_f32_e32 v32, v24, v52
	v_lshlrev_b64 v[23:24], 3, v[1:2]
	v_add_co_u32_e32 v3, vcc, s14, v3
	v_fma_f32 v27, -v49, v30, v33
	v_sub_f32_e32 v30, v8, v50
	v_add_u32_e32 v1, s31, v7
	v_addc_co_u32_e32 v4, vcc, v47, v4, vcc
	v_mov_b32_e32 v45, s9
	v_lshlrev_b64 v[7:8], 3, v[1:2]
	v_add_co_u32_e32 v23, vcc, s8, v23
	v_sub_f32_e32 v33, v27, v35
	v_addc_co_u32_e32 v24, vcc, v45, v24, vcc
	v_mov_b32_e32 v46, s9
	v_add_co_u32_e32 v7, vcc, s8, v7
	v_addc_co_u32_e32 v8, vcc, v46, v8, vcc
	global_load_dwordx2 v[3:4], v[3:4], off
	v_mul_f32_e64 v1, v6, -v14
	v_mul_f32_e32 v6, v6, v13
	v_fmac_f32_e32 v1, v13, v5
	v_fmac_f32_e32 v6, v14, v5
	v_mul_f32_e32 v5, v49, v25
	v_mul_f32_e64 v13, v25, -v48
	v_mul_f32_e64 v14, v26, -v44
	v_mul_f32_e32 v25, v43, v26
	v_mul_f32_e32 v26, v49, v34
	v_fma_f32 v5, -v48, v17, v5
	v_fma_f32 v13, -v49, v17, v13
	v_fmac_f32_e32 v14, v43, v18
	v_fmac_f32_e32 v25, v44, v18
	v_fma_f32 v17, -v48, v29, v26
	v_sub_f32_e32 v5, v5, v14
	s_waitcnt vmcnt(2)
	v_add_f32_e32 v9, v30, v9
	v_add_f32_e32 v10, v28, v10
	global_store_dwordx2 v[37:38], v[9:10], off
	global_load_dwordx2 v[27:28], v[23:24], off
	v_mul_f32_e64 v30, v34, -v48
	v_mul_f32_e64 v34, v12, -v6
	s_waitcnt vmcnt(3)
	v_add_f32_e32 v9, v32, v41
	v_add_f32_e32 v10, v33, v42
	global_store_dwordx2 v[39:40], v[9:10], off
	global_load_dwordx2 v[9:10], v[7:8], off
	v_mul_f32_e64 v32, v36, -v44
	v_mul_f32_e32 v33, v43, v36
	v_mul_f32_e32 v12, v12, v1
	v_fma_f32 v18, -v49, v29, v30
	v_fmac_f32_e32 v32, v43, v31
	v_fmac_f32_e32 v33, v44, v31
	;; [unrolled: 1-line block ×4, first 2 shown]
	v_sub_f32_e32 v6, v13, v25
	v_sub_f32_e32 v11, v17, v32
	;; [unrolled: 1-line block ×3, first 2 shown]
	v_mul_f32_e64 v1, v16, -v12
	v_mul_f32_e32 v14, v16, v34
	v_fmac_f32_e32 v1, v34, v15
	v_fmac_f32_e32 v14, v12, v15
	s_waitcnt vmcnt(4)
	v_sub_f32_e32 v1, v3, v1
	s_waitcnt vmcnt(2)
	v_add_f32_e32 v5, v5, v27
	v_add_f32_e32 v6, v6, v28
	global_store_dwordx2 v[23:24], v[5:6], off
	s_waitcnt vmcnt(1)
	v_add_f32_e32 v5, v11, v9
	v_add_f32_e32 v6, v13, v10
	global_store_dwordx2 v[7:8], v[5:6], off
	v_sub_f32_e32 v7, v4, v14
.LBB240_16:                             ;   in Loop: Header=BB240_5 Depth=1
	s_or_b64 exec, exec, s[4:5]
	v_mov_b32_e32 v6, v7
	v_mov_b32_e32 v5, v1
                                        ; implicit-def: $vgpr7_vgpr8
                                        ; implicit-def: $vgpr3
                                        ; implicit-def: $vgpr9
                                        ; implicit-def: $vgpr24
                                        ; implicit-def: $vgpr23
                                        ; implicit-def: $vgpr17
                                        ; implicit-def: $vgpr16
                                        ; implicit-def: $vgpr15
.LBB240_17:                             ;   in Loop: Header=BB240_5 Depth=1
	s_or_saveexec_b64 s[2:3], s[20:21]
	v_mov_b32_e32 v8, s27
	s_xor_b64 exec, exec, s[2:3]
	s_cbranch_execz .LBB240_4
; %bb.18:                               ;   in Loop: Header=BB240_5 Depth=1
	v_lshlrev_b64 v[11:12], 3, v[1:2]
	v_mov_b32_e32 v18, v2
	v_mov_b32_e32 v1, s9
	v_lshlrev_b64 v[13:14], 3, v[17:18]
	v_add_co_u32_e32 v25, vcc, s8, v11
	v_addc_co_u32_e32 v26, vcc, v1, v12, vcc
	v_mov_b32_e32 v8, s9
	v_add_co_u32_e32 v27, vcc, s8, v13
	v_mov_b32_e32 v17, v2
	v_addc_co_u32_e32 v28, vcc, v8, v14, vcc
	v_lshlrev_b64 v[13:14], 3, v[16:17]
	v_mov_b32_e32 v16, v2
	v_add_co_u32_e32 v29, vcc, s8, v13
	v_addc_co_u32_e32 v30, vcc, v1, v14, vcc
	v_lshlrev_b64 v[13:14], 3, v[15:16]
	global_load_dwordx2 v[11:12], v[25:26], off
	v_add_co_u32_e32 v35, vcc, s8, v13
	v_addc_co_u32_e32 v36, vcc, v1, v14, vcc
	global_load_dwordx2 v[31:32], v[27:28], off
	global_load_dwordx2 v[33:34], v[29:30], off
	;; [unrolled: 1-line block ×3, first 2 shown]
	v_mul_f32_e32 v1, v6, v6
	v_fmac_f32_e32 v1, v5, v5
	v_div_scale_f32 v8, s[4:5], v1, v1, 1.0
	v_div_scale_f32 v13, vcc, 1.0, v1, 1.0
	v_rcp_f32_e32 v14, v8
	v_fma_f32 v15, -v8, v14, 1.0
	v_fmac_f32_e32 v14, v15, v14
	v_mul_f32_e32 v15, v13, v14
	v_fma_f32 v16, -v8, v15, v13
	v_fmac_f32_e32 v15, v16, v14
	v_fma_f32 v8, -v8, v15, v13
	v_div_fmas_f32 v8, v8, v14, v15
	v_fma_f32 v13, 0, v6, v5
	v_fma_f32 v5, v5, 0, -v6
	v_div_fixup_f32 v1, v8, v1, 1.0
	v_mul_f32_e32 v17, v5, v1
	v_mul_f32_e32 v8, v13, v1
	s_waitcnt vmcnt(3)
	v_mul_f32_e64 v15, v17, -v12
	v_mul_f32_e32 v16, v17, v11
	v_fmac_f32_e32 v15, v11, v8
	v_fmac_f32_e32 v16, v12, v8
	s_waitcnt vmcnt(2)
	v_mul_f32_e64 v13, v17, -v32
	v_mul_f32_e32 v14, v17, v31
	s_waitcnt vmcnt(1)
	v_mul_f32_e64 v11, v17, -v34
	v_mul_f32_e32 v12, v17, v33
	;; [unrolled: 3-line block ×3, first 2 shown]
	v_fmac_f32_e32 v13, v31, v8
	v_fmac_f32_e32 v14, v32, v8
	;; [unrolled: 1-line block ×6, first 2 shown]
	global_store_dwordx2 v[25:26], v[15:16], off
	global_store_dwordx2 v[27:28], v[13:14], off
	;; [unrolled: 1-line block ×4, first 2 shown]
	s_and_saveexec_b64 s[4:5], s[0:1]
	s_cbranch_execz .LBB240_3
; %bb.19:                               ;   in Loop: Header=BB240_5 Depth=1
	v_add_u32_e32 v18, v19, v20
	v_add_u32_e32 v1, s28, v18
	v_lshlrev_b64 v[25:26], 3, v[1:2]
	v_mov_b32_e32 v1, s9
	v_add_co_u32_e32 v25, vcc, s8, v25
	v_addc_co_u32_e32 v26, vcc, v1, v26, vcc
	global_load_dwordx2 v[27:28], v[25:26], off
	s_waitcnt vmcnt(0)
	v_fma_f32 v1, -v4, v15, v28
	v_fma_f32 v27, -v3, v15, v27
	v_fma_f32 v28, -v3, v16, v1
	v_add_u32_e32 v1, s29, v18
	v_fmac_f32_e32 v27, v4, v16
	v_lshlrev_b64 v[15:16], 3, v[1:2]
	v_mov_b32_e32 v1, s9
	v_add_co_u32_e32 v15, vcc, s8, v15
	v_addc_co_u32_e32 v16, vcc, v1, v16, vcc
	global_store_dwordx2 v[25:26], v[27:28], off
	global_load_dwordx2 v[25:26], v[15:16], off
	s_waitcnt vmcnt(0)
	v_fma_f32 v1, -v4, v13, v26
	v_fma_f32 v25, -v3, v13, v25
	v_fma_f32 v26, -v3, v14, v1
	v_add_u32_e32 v1, s30, v18
	v_fmac_f32_e32 v25, v4, v14
	v_lshlrev_b64 v[13:14], 3, v[1:2]
	v_mov_b32_e32 v1, s9
	v_add_co_u32_e32 v13, vcc, s8, v13
	v_addc_co_u32_e32 v14, vcc, v1, v14, vcc
	global_store_dwordx2 v[15:16], v[25:26], off
	global_load_dwordx2 v[15:16], v[13:14], off
	s_waitcnt vmcnt(0)
	v_fma_f32 v1, -v4, v11, v16
	v_fma_f32 v15, -v3, v11, v15
	v_fma_f32 v16, -v3, v12, v1
	v_add_u32_e32 v1, s31, v18
	v_fmac_f32_e32 v15, v4, v12
	v_lshlrev_b64 v[11:12], 3, v[1:2]
	v_mov_b32_e32 v1, s9
	v_add_co_u32_e32 v11, vcc, s8, v11
	v_addc_co_u32_e32 v12, vcc, v1, v12, vcc
	global_store_dwordx2 v[13:14], v[15:16], off
	global_load_dwordx2 v[13:14], v[11:12], off
	s_waitcnt vmcnt(0)
	v_fma_f32 v13, -v3, v5, v13
	v_fma_f32 v1, -v4, v5, v14
	v_fmac_f32_e32 v13, v4, v6
	v_fma_f32 v14, -v3, v6, v1
	global_store_dwordx2 v[11:12], v[13:14], off
	s_branch .LBB240_3
.LBB240_20:
	s_or_b64 exec, exec, s[18:19]
	s_branch .LBB240_22
.LBB240_21:
	v_mov_b32_e32 v20, 0
.LBB240_22:
	v_subrev_u32_e32 v3, s22, v20
	v_add_u32_e32 v1, v3, v0
	v_ashrrev_i32_e32 v2, 31, v1
	v_lshlrev_b64 v[1:2], 2, v[1:2]
	s_waitcnt lgkmcnt(0)
	v_mov_b32_e32 v4, s17
	v_add_co_u32_e32 v1, vcc, s16, v1
	v_addc_co_u32_e32 v2, vcc, v4, v2, vcc
	s_waitcnt vmcnt(0)
	buffer_wbinvl1_vol
	global_load_dword v1, v[1:2], off
	s_waitcnt vmcnt(0)
	v_mul_lo_u32 v1, v1, s22
	v_sub_u32_e32 v7, v3, v1
	v_cmp_lt_i32_e32 vcc, -1, v7
	s_and_b64 exec, exec, vcc
	s_cbranch_execz .LBB240_29
; %bb.23:
	s_lshl_b32 s4, s24, 2
	s_add_i32 s5, s4, s23
	s_add_i32 s6, s5, s23
	;; [unrolled: 1-line block ×3, first 2 shown]
	s_lshl_b32 s12, s22, 1
	s_mov_b64 s[0:1], 0
	v_mov_b32_e32 v8, s17
	v_mov_b32_e32 v9, s11
	;; [unrolled: 1-line block ×3, first 2 shown]
	s_branch .LBB240_25
.LBB240_24:                             ;   in Loop: Header=BB240_25 Depth=1
	s_or_b64 exec, exec, s[2:3]
	v_sub_u32_e32 v7, v7, v1
	v_cmp_gt_i32_e32 vcc, 0, v7
	s_or_b64 s[0:1], vcc, s[0:1]
	s_andn2_b64 exec, exec, s[0:1]
	s_cbranch_execz .LBB240_29
.LBB240_25:                             ; =>This Inner Loop Header: Depth=1
	v_add_u32_e32 v5, v7, v0
	v_ashrrev_i32_e32 v6, 31, v5
	s_waitcnt vmcnt(0)
	v_lshlrev_b64 v[3:4], 2, v[5:6]
	v_add_co_u32_e32 v3, vcc, s16, v3
	v_addc_co_u32_e32 v4, vcc, v8, v4, vcc
	global_load_dword v1, v[3:4], off
	v_lshlrev_b64 v[3:4], 3, v[5:6]
	v_add_co_u32_e32 v3, vcc, s10, v3
	v_addc_co_u32_e32 v4, vcc, v9, v4, vcc
	global_load_dwordx2 v[3:4], v[3:4], off
	s_waitcnt vmcnt(1)
	v_cmp_ne_u32_e32 vcc, 1, v1
	s_and_saveexec_b64 s[2:3], vcc
	s_xor_b64 s[2:3], exec, s[2:3]
	s_cbranch_execz .LBB240_27
; %bb.26:                               ;   in Loop: Header=BB240_25 Depth=1
	v_add_u32_e32 v6, v19, v7
	v_add_u32_e32 v1, s4, v6
	v_lshlrev_b64 v[10:11], 3, v[1:2]
	v_mov_b32_e32 v1, s9
	v_add_co_u32_e32 v10, vcc, s8, v10
	v_addc_co_u32_e32 v11, vcc, v1, v11, vcc
	v_add_u32_e32 v1, s5, v6
	v_lshlrev_b64 v[12:13], 3, v[1:2]
	v_add_u32_e32 v1, s6, v6
	v_lshlrev_b64 v[14:15], 3, v[1:2]
	v_add_u32_e32 v1, s7, v6
	v_lshlrev_b64 v[16:17], 3, v[1:2]
	v_add_u32_e32 v1, s4, v5
	v_lshlrev_b64 v[20:21], 3, v[1:2]
	v_mov_b32_e32 v1, s9
	v_add_co_u32_e32 v20, vcc, s8, v20
	v_addc_co_u32_e32 v21, vcc, v1, v21, vcc
	global_load_dwordx2 v[10:11], v[10:11], off
	v_add_co_u32_e32 v12, vcc, s8, v12
	global_load_dwordx2 v[22:23], v[20:21], off
	v_addc_co_u32_e32 v13, vcc, v1, v13, vcc
	v_mov_b32_e32 v6, s9
	v_add_co_u32_e32 v14, vcc, s8, v14
	v_addc_co_u32_e32 v15, vcc, v6, v15, vcc
	v_add_u32_e32 v1, s5, v5
	v_mov_b32_e32 v18, s9
	v_add_co_u32_e32 v16, vcc, s8, v16
	v_lshlrev_b64 v[24:25], 3, v[1:2]
	v_addc_co_u32_e32 v17, vcc, v18, v17, vcc
	global_load_dwordx2 v[26:27], v[12:13], off
	global_load_dwordx2 v[28:29], v[14:15], off
	;; [unrolled: 1-line block ×3, first 2 shown]
	v_mov_b32_e32 v32, s9
	v_add_co_u32_e32 v12, vcc, s8, v24
	v_addc_co_u32_e32 v13, vcc, v32, v25, vcc
	s_waitcnt vmcnt(3)
	v_fma_f32 v14, -v3, v10, v22
	v_fma_f32 v1, -v4, v10, v23
	v_fmac_f32_e32 v14, v4, v11
	v_fma_f32 v15, -v3, v11, v1
	global_store_dwordx2 v[20:21], v[14:15], off
	global_load_dwordx2 v[14:15], v[12:13], off
	v_add_u32_e32 v1, s6, v5
	v_lshlrev_b64 v[16:17], 3, v[1:2]
	v_mov_b32_e32 v20, s9
	v_add_co_u32_e32 v16, vcc, s8, v16
	v_addc_co_u32_e32 v17, vcc, v6, v17, vcc
	s_waitcnt vmcnt(0)
	v_fma_f32 v14, -v3, v26, v14
	v_fma_f32 v1, -v4, v26, v15
	v_fmac_f32_e32 v14, v4, v27
	v_fma_f32 v15, -v3, v27, v1
	global_store_dwordx2 v[12:13], v[14:15], off
	global_load_dwordx2 v[12:13], v[16:17], off
	v_add_u32_e32 v1, s7, v5
	v_lshlrev_b64 v[5:6], 3, v[1:2]
	v_mov_b32_e32 v14, s9
	v_add_co_u32_e32 v5, vcc, s8, v5
	v_addc_co_u32_e32 v6, vcc, v14, v6, vcc
	s_waitcnt vmcnt(0)
	v_fma_f32 v12, -v3, v28, v12
	v_fma_f32 v1, -v4, v28, v13
	v_fmac_f32_e32 v12, v4, v29
	v_fma_f32 v13, -v3, v29, v1
	global_store_dwordx2 v[16:17], v[12:13], off
	global_load_dwordx2 v[12:13], v[5:6], off
	v_subrev_u32_e32 v1, s22, v7
	v_add_u32_e32 v14, v1, v0
	v_ashrrev_i32_e32 v15, 31, v14
	v_lshlrev_b64 v[15:16], 3, v[14:15]
	v_mov_b32_e32 v17, s11
	v_add_co_u32_e32 v15, vcc, s10, v15
	v_add_u32_e32 v1, s4, v14
	v_addc_co_u32_e32 v16, vcc, v17, v16, vcc
	v_lshlrev_b64 v[17:18], 3, v[1:2]
	global_load_dwordx2 v[15:16], v[15:16], off
	v_add_co_u32_e32 v17, vcc, s8, v17
	v_addc_co_u32_e32 v18, vcc, v20, v18, vcc
	s_waitcnt vmcnt(1)
	v_fma_f32 v12, -v3, v30, v12
	v_fma_f32 v1, -v4, v30, v13
	v_fmac_f32_e32 v12, v4, v31
	v_fma_f32 v13, -v3, v31, v1
	global_store_dwordx2 v[5:6], v[12:13], off
	global_load_dwordx2 v[3:4], v[17:18], off
	v_add_u32_e32 v1, s5, v14
	v_lshlrev_b64 v[5:6], 3, v[1:2]
	v_mov_b32_e32 v12, s9
	v_add_co_u32_e32 v5, vcc, s8, v5
	v_addc_co_u32_e32 v6, vcc, v12, v6, vcc
	s_waitcnt vmcnt(0)
	v_fma_f32 v3, -v15, v10, v3
	v_fma_f32 v1, -v16, v10, v4
	v_fmac_f32_e32 v3, v16, v11
	v_fma_f32 v4, -v15, v11, v1
	global_store_dwordx2 v[17:18], v[3:4], off
	global_load_dwordx2 v[3:4], v[5:6], off
	v_add_u32_e32 v1, s6, v14
	v_lshlrev_b64 v[10:11], 3, v[1:2]
	v_add_co_u32_e32 v10, vcc, s8, v10
	v_addc_co_u32_e32 v11, vcc, v12, v11, vcc
	s_waitcnt vmcnt(0)
	v_fma_f32 v3, -v15, v26, v3
	v_fma_f32 v1, -v16, v26, v4
	v_fmac_f32_e32 v3, v16, v27
	v_fma_f32 v4, -v15, v27, v1
	global_store_dwordx2 v[5:6], v[3:4], off
	global_load_dwordx2 v[3:4], v[10:11], off
	v_add_u32_e32 v1, s7, v14
	v_lshlrev_b64 v[5:6], 3, v[1:2]
	v_add_co_u32_e32 v5, vcc, s8, v5
	v_addc_co_u32_e32 v6, vcc, v12, v6, vcc
	s_waitcnt vmcnt(0)
	v_fma_f32 v3, -v15, v28, v3
	v_fma_f32 v1, -v16, v28, v4
	v_fmac_f32_e32 v3, v16, v29
	v_fma_f32 v4, -v15, v29, v1
	global_store_dwordx2 v[10:11], v[3:4], off
	global_load_dwordx2 v[3:4], v[5:6], off
	s_waitcnt vmcnt(0)
	v_fma_f32 v3, -v15, v30, v3
	v_fma_f32 v1, -v16, v30, v4
	v_fmac_f32_e32 v3, v16, v31
	v_fma_f32 v4, -v15, v31, v1
	global_store_dwordx2 v[5:6], v[3:4], off
                                        ; implicit-def: $vgpr5
                                        ; implicit-def: $vgpr3_vgpr4
.LBB240_27:                             ;   in Loop: Header=BB240_25 Depth=1
	s_or_saveexec_b64 s[2:3], s[2:3]
	v_mov_b32_e32 v1, s12
	s_xor_b64 exec, exec, s[2:3]
	s_cbranch_execz .LBB240_24
; %bb.28:                               ;   in Loop: Header=BB240_25 Depth=1
	v_add_u32_e32 v6, v19, v7
	v_add_u32_e32 v1, s4, v6
	v_lshlrev_b64 v[10:11], 3, v[1:2]
	v_mov_b32_e32 v1, s9
	v_add_co_u32_e32 v10, vcc, s8, v10
	v_addc_co_u32_e32 v11, vcc, v1, v11, vcc
	v_add_u32_e32 v1, s4, v5
	v_lshlrev_b64 v[12:13], 3, v[1:2]
	v_mov_b32_e32 v1, s9
	v_add_co_u32_e32 v12, vcc, s8, v12
	v_addc_co_u32_e32 v13, vcc, v1, v13, vcc
	global_load_dwordx2 v[14:15], v[10:11], off
	global_load_dwordx2 v[16:17], v[12:13], off
	v_add_u32_e32 v1, s5, v6
	v_lshlrev_b64 v[10:11], 3, v[1:2]
	v_add_u32_e32 v1, s5, v5
	v_mov_b32_e32 v18, s9
	v_lshlrev_b64 v[20:21], 3, v[1:2]
	v_add_co_u32_e32 v10, vcc, s8, v10
	v_addc_co_u32_e32 v11, vcc, v18, v11, vcc
	v_mov_b32_e32 v22, s9
	v_add_co_u32_e32 v20, vcc, s8, v20
	v_addc_co_u32_e32 v21, vcc, v22, v21, vcc
	s_waitcnt vmcnt(0)
	v_fma_f32 v16, -v3, v14, v16
	v_fma_f32 v1, -v4, v14, v17
	v_fmac_f32_e32 v16, v4, v15
	v_fma_f32 v17, -v3, v15, v1
	global_store_dwordx2 v[12:13], v[16:17], off
	global_load_dwordx2 v[12:13], v[10:11], off
	s_nop 0
	global_load_dwordx2 v[14:15], v[20:21], off
	v_add_u32_e32 v1, s6, v6
	v_lshlrev_b64 v[10:11], 3, v[1:2]
	v_add_u32_e32 v1, s6, v5
	v_lshlrev_b64 v[16:17], 3, v[1:2]
	v_add_co_u32_e32 v10, vcc, s8, v10
	v_addc_co_u32_e32 v11, vcc, v18, v11, vcc
	v_add_co_u32_e32 v16, vcc, s8, v16
	v_addc_co_u32_e32 v17, vcc, v22, v17, vcc
	s_waitcnt vmcnt(0)
	v_fma_f32 v14, -v3, v12, v14
	v_fma_f32 v1, -v4, v12, v15
	v_fmac_f32_e32 v14, v4, v13
	v_fma_f32 v15, -v3, v13, v1
	global_store_dwordx2 v[20:21], v[14:15], off
	global_load_dwordx2 v[12:13], v[10:11], off
	s_nop 0
	global_load_dwordx2 v[14:15], v[16:17], off
	v_add_u32_e32 v1, s7, v6
	v_lshlrev_b64 v[10:11], 3, v[1:2]
	v_add_u32_e32 v1, s7, v5
	v_lshlrev_b64 v[5:6], 3, v[1:2]
	v_add_co_u32_e32 v10, vcc, s8, v10
	v_addc_co_u32_e32 v11, vcc, v18, v11, vcc
	v_mov_b32_e32 v20, s9
	v_add_co_u32_e32 v5, vcc, s8, v5
	v_addc_co_u32_e32 v6, vcc, v20, v6, vcc
	s_waitcnt vmcnt(0)
	v_fma_f32 v14, -v3, v12, v14
	v_fma_f32 v1, -v4, v12, v15
	v_fmac_f32_e32 v14, v4, v13
	v_fma_f32 v15, -v3, v13, v1
	global_store_dwordx2 v[16:17], v[14:15], off
	global_load_dwordx2 v[12:13], v[10:11], off
	s_nop 0
	global_load_dwordx2 v[14:15], v[5:6], off
	s_waitcnt vmcnt(0)
	v_fma_f32 v10, -v3, v12, v14
	v_fma_f32 v1, -v4, v12, v15
	v_fmac_f32_e32 v10, v4, v13
	v_fma_f32 v11, -v3, v13, v1
	v_mov_b32_e32 v1, s22
	global_store_dwordx2 v[5:6], v[10:11], off
	s_branch .LBB240_24
.LBB240_29:
	s_endpgm
	.section	.rodata,"a",@progbits
	.p2align	6, 0x0
	.amdhsa_kernel _ZN9rocsparseL19gtsv_LBM_rhs_kernelILj256ELj64ELj4E21rocsparse_complex_numIfEEEviiiPKT2_S5_S5_PS3_S5_PKi
		.amdhsa_group_segment_fixed_size 0
		.amdhsa_private_segment_fixed_size 0
		.amdhsa_kernarg_size 64
		.amdhsa_user_sgpr_count 6
		.amdhsa_user_sgpr_private_segment_buffer 1
		.amdhsa_user_sgpr_dispatch_ptr 0
		.amdhsa_user_sgpr_queue_ptr 0
		.amdhsa_user_sgpr_kernarg_segment_ptr 1
		.amdhsa_user_sgpr_dispatch_id 0
		.amdhsa_user_sgpr_flat_scratch_init 0
		.amdhsa_user_sgpr_private_segment_size 0
		.amdhsa_uses_dynamic_stack 0
		.amdhsa_system_sgpr_private_segment_wavefront_offset 0
		.amdhsa_system_sgpr_workgroup_id_x 1
		.amdhsa_system_sgpr_workgroup_id_y 1
		.amdhsa_system_sgpr_workgroup_id_z 0
		.amdhsa_system_sgpr_workgroup_info 0
		.amdhsa_system_vgpr_workitem_id 0
		.amdhsa_next_free_vgpr 61
		.amdhsa_next_free_sgpr 32
		.amdhsa_reserve_vcc 1
		.amdhsa_reserve_flat_scratch 0
		.amdhsa_float_round_mode_32 0
		.amdhsa_float_round_mode_16_64 0
		.amdhsa_float_denorm_mode_32 3
		.amdhsa_float_denorm_mode_16_64 3
		.amdhsa_dx10_clamp 1
		.amdhsa_ieee_mode 1
		.amdhsa_fp16_overflow 0
		.amdhsa_exception_fp_ieee_invalid_op 0
		.amdhsa_exception_fp_denorm_src 0
		.amdhsa_exception_fp_ieee_div_zero 0
		.amdhsa_exception_fp_ieee_overflow 0
		.amdhsa_exception_fp_ieee_underflow 0
		.amdhsa_exception_fp_ieee_inexact 0
		.amdhsa_exception_int_div_zero 0
	.end_amdhsa_kernel
	.section	.text._ZN9rocsparseL19gtsv_LBM_rhs_kernelILj256ELj64ELj4E21rocsparse_complex_numIfEEEviiiPKT2_S5_S5_PS3_S5_PKi,"axG",@progbits,_ZN9rocsparseL19gtsv_LBM_rhs_kernelILj256ELj64ELj4E21rocsparse_complex_numIfEEEviiiPKT2_S5_S5_PS3_S5_PKi,comdat
.Lfunc_end240:
	.size	_ZN9rocsparseL19gtsv_LBM_rhs_kernelILj256ELj64ELj4E21rocsparse_complex_numIfEEEviiiPKT2_S5_S5_PS3_S5_PKi, .Lfunc_end240-_ZN9rocsparseL19gtsv_LBM_rhs_kernelILj256ELj64ELj4E21rocsparse_complex_numIfEEEviiiPKT2_S5_S5_PS3_S5_PKi
                                        ; -- End function
	.set _ZN9rocsparseL19gtsv_LBM_rhs_kernelILj256ELj64ELj4E21rocsparse_complex_numIfEEEviiiPKT2_S5_S5_PS3_S5_PKi.num_vgpr, 61
	.set _ZN9rocsparseL19gtsv_LBM_rhs_kernelILj256ELj64ELj4E21rocsparse_complex_numIfEEEviiiPKT2_S5_S5_PS3_S5_PKi.num_agpr, 0
	.set _ZN9rocsparseL19gtsv_LBM_rhs_kernelILj256ELj64ELj4E21rocsparse_complex_numIfEEEviiiPKT2_S5_S5_PS3_S5_PKi.numbered_sgpr, 32
	.set _ZN9rocsparseL19gtsv_LBM_rhs_kernelILj256ELj64ELj4E21rocsparse_complex_numIfEEEviiiPKT2_S5_S5_PS3_S5_PKi.num_named_barrier, 0
	.set _ZN9rocsparseL19gtsv_LBM_rhs_kernelILj256ELj64ELj4E21rocsparse_complex_numIfEEEviiiPKT2_S5_S5_PS3_S5_PKi.private_seg_size, 0
	.set _ZN9rocsparseL19gtsv_LBM_rhs_kernelILj256ELj64ELj4E21rocsparse_complex_numIfEEEviiiPKT2_S5_S5_PS3_S5_PKi.uses_vcc, 1
	.set _ZN9rocsparseL19gtsv_LBM_rhs_kernelILj256ELj64ELj4E21rocsparse_complex_numIfEEEviiiPKT2_S5_S5_PS3_S5_PKi.uses_flat_scratch, 0
	.set _ZN9rocsparseL19gtsv_LBM_rhs_kernelILj256ELj64ELj4E21rocsparse_complex_numIfEEEviiiPKT2_S5_S5_PS3_S5_PKi.has_dyn_sized_stack, 0
	.set _ZN9rocsparseL19gtsv_LBM_rhs_kernelILj256ELj64ELj4E21rocsparse_complex_numIfEEEviiiPKT2_S5_S5_PS3_S5_PKi.has_recursion, 0
	.set _ZN9rocsparseL19gtsv_LBM_rhs_kernelILj256ELj64ELj4E21rocsparse_complex_numIfEEEviiiPKT2_S5_S5_PS3_S5_PKi.has_indirect_call, 0
	.section	.AMDGPU.csdata,"",@progbits
; Kernel info:
; codeLenInByte = 4380
; TotalNumSgprs: 36
; NumVgprs: 61
; ScratchSize: 0
; MemoryBound: 0
; FloatMode: 240
; IeeeMode: 1
; LDSByteSize: 0 bytes/workgroup (compile time only)
; SGPRBlocks: 4
; VGPRBlocks: 15
; NumSGPRsForWavesPerEU: 36
; NumVGPRsForWavesPerEU: 61
; Occupancy: 4
; WaveLimiterHint : 0
; COMPUTE_PGM_RSRC2:SCRATCH_EN: 0
; COMPUTE_PGM_RSRC2:USER_SGPR: 6
; COMPUTE_PGM_RSRC2:TRAP_HANDLER: 0
; COMPUTE_PGM_RSRC2:TGID_X_EN: 1
; COMPUTE_PGM_RSRC2:TGID_Y_EN: 1
; COMPUTE_PGM_RSRC2:TGID_Z_EN: 0
; COMPUTE_PGM_RSRC2:TIDIG_COMP_CNT: 0
	.section	.text._ZN9rocsparseL19gtsv_LBM_rhs_kernelILj256ELj64ELj2E21rocsparse_complex_numIfEEEviiiPKT2_S5_S5_PS3_S5_PKi,"axG",@progbits,_ZN9rocsparseL19gtsv_LBM_rhs_kernelILj256ELj64ELj2E21rocsparse_complex_numIfEEEviiiPKT2_S5_S5_PS3_S5_PKi,comdat
	.globl	_ZN9rocsparseL19gtsv_LBM_rhs_kernelILj256ELj64ELj2E21rocsparse_complex_numIfEEEviiiPKT2_S5_S5_PS3_S5_PKi ; -- Begin function _ZN9rocsparseL19gtsv_LBM_rhs_kernelILj256ELj64ELj2E21rocsparse_complex_numIfEEEviiiPKT2_S5_S5_PS3_S5_PKi
	.p2align	8
	.type	_ZN9rocsparseL19gtsv_LBM_rhs_kernelILj256ELj64ELj2E21rocsparse_complex_numIfEEEviiiPKT2_S5_S5_PS3_S5_PKi,@function
_ZN9rocsparseL19gtsv_LBM_rhs_kernelILj256ELj64ELj2E21rocsparse_complex_numIfEEEviiiPKT2_S5_S5_PS3_S5_PKi: ; @_ZN9rocsparseL19gtsv_LBM_rhs_kernelILj256ELj64ELj2E21rocsparse_complex_numIfEEEviiiPKT2_S5_S5_PS3_S5_PKi
; %bb.0:
	s_load_dword s23, s[4:5], 0x0
	v_lshl_or_b32 v0, s6, 8, v0
	s_waitcnt lgkmcnt(0)
	s_lshr_b32 s22, s23, 6
	v_cmp_gt_i32_e32 vcc, s22, v0
	s_and_saveexec_b64 s[0:1], vcc
	s_cbranch_execz .LBB241_29
; %bb.1:
	s_load_dwordx4 s[8:11], s[4:5], 0x28
	s_load_dwordx2 s[16:17], s[4:5], 0x38
	s_cmp_lt_i32 s23, 1
	v_add_u32_e32 v17, s22, v0
	s_mul_i32 s24, s7, s23
	s_cbranch_scc1 .LBB241_21
; %bb.2:
	s_load_dwordx4 s[12:15], s[4:5], 0x10
	s_load_dwordx2 s[6:7], s[4:5], 0x20
	v_ashrrev_i32_e32 v1, 31, v0
	v_lshlrev_b64 v[1:2], 3, v[0:1]
	s_lshl_b32 s28, s24, 1
	s_waitcnt lgkmcnt(0)
	v_mov_b32_e32 v3, s15
	v_add_co_u32_e32 v1, vcc, s14, v1
	v_addc_co_u32_e32 v2, vcc, v3, v2, vcc
	global_load_dwordx2 v[5:6], v[1:2], off
	s_mul_i32 s25, s22, 63
	s_mul_i32 s26, s22, 62
	s_lshl_b32 s27, s22, 1
	v_add_u32_e32 v19, s22, v17
	s_add_i32 s29, s28, s23
	v_mov_b32_e32 v2, 0
	s_mov_b64 s[18:19], 0
	v_mov_b32_e32 v20, s7
	v_mov_b32_e32 v18, 0
	s_branch .LBB241_5
.LBB241_3:                              ;   in Loop: Header=BB241_5 Depth=1
	s_or_b64 exec, exec, s[4:5]
	v_fmac_f32_e32 v22, v3, v7
	v_fmac_f32_e32 v21, v4, v7
	v_mul_f32_e64 v1, v13, -v21
	v_mul_f32_e32 v3, v13, v22
	v_fmac_f32_e32 v1, v22, v10
	v_fmac_f32_e32 v3, v21, v10
	v_sub_f32_e32 v5, v11, v1
	v_sub_f32_e32 v6, v12, v3
	v_mov_b32_e32 v8, s22
.LBB241_4:                              ;   in Loop: Header=BB241_5 Depth=1
	s_or_b64 exec, exec, s[2:3]
	v_add_u32_e32 v18, v8, v18
	v_cmp_le_i32_e32 vcc, s23, v18
	s_or_b64 s[18:19], vcc, s[18:19]
	s_andn2_b64 exec, exec, s[18:19]
	s_cbranch_execz .LBB241_20
.LBB241_5:                              ; =>This Inner Loop Header: Depth=1
	v_add_u32_e32 v15, v18, v0
	v_ashrrev_i32_e32 v16, 31, v15
	v_lshlrev_b64 v[3:4], 3, v[15:16]
	v_cmp_gt_u32_e64 s[0:1], s25, v18
	v_add_co_u32_e32 v3, vcc, s6, v3
	v_addc_co_u32_e32 v4, vcc, v20, v4, vcc
	global_load_dwordx2 v[7:8], v[3:4], off
	v_mov_b32_e32 v3, 0
	v_mov_b32_e32 v4, 0
	s_and_saveexec_b64 s[2:3], s[0:1]
	s_cbranch_execz .LBB241_7
; %bb.6:                                ;   in Loop: Header=BB241_5 Depth=1
	v_add_u32_e32 v3, v17, v18
	v_ashrrev_i32_e32 v4, 31, v3
	v_lshlrev_b64 v[3:4], 3, v[3:4]
	v_mov_b32_e32 v1, s13
	v_add_co_u32_e32 v3, vcc, s12, v3
	v_addc_co_u32_e32 v4, vcc, v1, v4, vcc
	global_load_dwordx2 v[3:4], v[3:4], off
.LBB241_7:                              ;   in Loop: Header=BB241_5 Depth=1
	s_or_b64 exec, exec, s[2:3]
	v_mov_b32_e32 v9, 0
	v_mov_b32_e32 v11, 0
	;; [unrolled: 1-line block ×3, first 2 shown]
	s_and_saveexec_b64 s[2:3], s[0:1]
	s_cbranch_execz .LBB241_9
; %bb.8:                                ;   in Loop: Header=BB241_5 Depth=1
	v_add_u32_e32 v10, v17, v18
	v_ashrrev_i32_e32 v11, 31, v10
	v_lshlrev_b64 v[10:11], 3, v[10:11]
	v_mov_b32_e32 v1, s15
	v_add_co_u32_e32 v10, vcc, s14, v10
	v_addc_co_u32_e32 v11, vcc, v1, v11, vcc
	global_load_dwordx2 v[11:12], v[10:11], off
.LBB241_9:                              ;   in Loop: Header=BB241_5 Depth=1
	s_or_b64 exec, exec, s[2:3]
	v_mov_b32_e32 v10, 0
	s_and_saveexec_b64 s[2:3], s[0:1]
	s_cbranch_execz .LBB241_11
; %bb.10:                               ;   in Loop: Header=BB241_5 Depth=1
	v_add_u32_e32 v9, v17, v18
	v_ashrrev_i32_e32 v10, 31, v9
	v_lshlrev_b64 v[9:10], 3, v[9:10]
	v_mov_b32_e32 v1, s7
	v_add_co_u32_e32 v9, vcc, s6, v9
	v_addc_co_u32_e32 v10, vcc, v1, v10, vcc
	global_load_dwordx2 v[9:10], v[9:10], off
.LBB241_11:                             ;   in Loop: Header=BB241_5 Depth=1
	s_or_b64 exec, exec, s[2:3]
	v_cmp_gt_u32_e64 s[2:3], s26, v18
	v_mov_b32_e32 v13, 0
	v_mov_b32_e32 v14, 0
	s_and_saveexec_b64 s[4:5], s[2:3]
	s_cbranch_execz .LBB241_13
; %bb.12:                               ;   in Loop: Header=BB241_5 Depth=1
	v_add_u32_e32 v13, v19, v18
	v_ashrrev_i32_e32 v14, 31, v13
	v_lshlrev_b64 v[13:14], 3, v[13:14]
	v_mov_b32_e32 v1, s13
	v_add_co_u32_e32 v13, vcc, s12, v13
	v_addc_co_u32_e32 v14, vcc, v1, v14, vcc
	global_load_dwordx2 v[13:14], v[13:14], off
.LBB241_13:                             ;   in Loop: Header=BB241_5 Depth=1
	s_or_b64 exec, exec, s[4:5]
	v_lshlrev_b64 v[21:22], 2, v[15:16]
	v_mov_b32_e32 v1, s17
	v_add_co_u32_e32 v21, vcc, s16, v21
	v_addc_co_u32_e32 v22, vcc, v1, v22, vcc
	global_load_dword v16, v[21:22], off
	v_cmp_ne_u32_e32 vcc, s25, v18
	s_waitcnt vmcnt(1)
	v_mul_f32_e64 v22, v8, -v4
	v_mul_f32_e32 v21, v3, v8
	v_add_u32_e32 v1, s28, v15
	v_add_u32_e32 v15, s29, v15
	s_waitcnt vmcnt(0)
	v_cmp_ne_u32_e64 s[4:5], 1, v16
	s_and_b64 s[4:5], vcc, s[4:5]
	s_and_saveexec_b64 s[20:21], s[4:5]
	s_xor_b64 s[20:21], exec, s[20:21]
	s_cbranch_execz .LBB241_17
; %bb.14:                               ;   in Loop: Header=BB241_5 Depth=1
	v_lshlrev_b64 v[23:24], 3, v[1:2]
	v_mov_b32_e32 v16, v2
	v_mov_b32_e32 v1, s9
	v_add_co_u32_e32 v25, vcc, s8, v23
	v_lshlrev_b64 v[15:16], 3, v[15:16]
	v_addc_co_u32_e32 v26, vcc, v1, v24, vcc
	v_mul_f32_e32 v23, v5, v12
	v_add_co_u32_e32 v29, vcc, s8, v15
	v_mul_f32_e64 v15, v12, -v6
	v_fmac_f32_e32 v23, v6, v11
	v_fmac_f32_e32 v21, v4, v7
	;; [unrolled: 1-line block ×4, first 2 shown]
	v_sub_f32_e32 v21, v23, v21
	v_sub_f32_e32 v22, v15, v22
	v_mul_f32_e32 v23, v21, v21
	v_fmac_f32_e32 v23, v22, v22
	v_div_scale_f32 v24, s[4:5], v23, v23, 1.0
	v_addc_co_u32_e32 v30, vcc, v1, v16, vcc
	v_div_scale_f32 v35, vcc, 1.0, v23, 1.0
	v_add_u32_e32 v27, v17, v18
	v_add_u32_e32 v1, s28, v27
	v_lshlrev_b64 v[15:16], 3, v[1:2]
	v_mov_b32_e32 v1, s9
	v_add_co_u32_e64 v31, s[4:5], s8, v15
	v_addc_co_u32_e64 v32, s[4:5], v1, v16, s[4:5]
	v_add_u32_e32 v1, s29, v27
	v_lshlrev_b64 v[15:16], 3, v[1:2]
	v_rcp_f32_e32 v36, v24
	v_mov_b32_e32 v1, s9
	v_add_co_u32_e64 v33, s[4:5], s8, v15
	v_addc_co_u32_e64 v34, s[4:5], v1, v16, s[4:5]
	v_fma_f32 v1, -v24, v36, 1.0
	v_fmac_f32_e32 v36, v1, v36
	v_mul_f32_e32 v1, v35, v36
	v_fma_f32 v15, -v24, v1, v35
	v_fmac_f32_e32 v1, v15, v36
	v_fma_f32 v15, -v24, v1, v35
	global_load_dwordx2 v[27:28], v[25:26], off
	v_div_fmas_f32 v1, v15, v36, v1
	global_load_dwordx2 v[35:36], v[31:32], off
	v_fma_f32 v16, v22, 0, -v21
	v_fma_f32 v15, 0, v21, v22
	v_div_fixup_f32 v1, v1, v23, 1.0
	v_mul_f32_e32 v16, v16, v1
	v_mul_f32_e32 v15, v15, v1
	s_waitcnt vmcnt(1)
	v_mul_f32_e32 v23, v16, v27
	v_mul_f32_e64 v22, v16, -v28
	s_waitcnt vmcnt(0)
	v_mul_f32_e32 v24, v16, v35
	v_fmac_f32_e32 v23, v28, v15
	v_mul_f32_e64 v21, v16, -v36
	v_fmac_f32_e32 v24, v36, v15
	v_fmac_f32_e32 v22, v27, v15
	;; [unrolled: 1-line block ×3, first 2 shown]
	v_mul_f32_e32 v28, v11, v23
	v_mul_f32_e32 v35, v24, v7
	v_fmac_f32_e32 v28, v12, v22
	v_fmac_f32_e32 v35, v8, v21
	v_sub_f32_e32 v28, v28, v35
	global_load_dwordx2 v[35:36], v[29:30], off
	global_load_dwordx2 v[37:38], v[33:34], off
	v_mul_f32_e64 v1, v23, -v12
	v_mul_f32_e64 v27, v24, -v8
	v_fmac_f32_e32 v1, v11, v22
	v_fmac_f32_e32 v27, v7, v21
	v_sub_f32_e32 v27, v1, v27
	global_store_dwordx2 v[25:26], v[27:28], off
	s_waitcnt vmcnt(2)
	v_mul_f32_e32 v27, v16, v35
	v_mul_f32_e64 v25, v16, -v36
	v_fmac_f32_e32 v27, v36, v15
	v_fmac_f32_e32 v25, v35, v15
	s_waitcnt vmcnt(1)
	v_mul_f32_e32 v28, v16, v37
	v_mul_f32_e64 v1, v27, -v12
	v_mul_f32_e64 v26, v16, -v38
	v_fmac_f32_e32 v28, v38, v15
	v_fmac_f32_e32 v1, v11, v25
	v_mul_f32_e32 v11, v11, v27
	v_fmac_f32_e32 v26, v37, v15
	v_fmac_f32_e32 v11, v12, v25
	v_mul_f32_e64 v12, v28, -v8
	v_mul_f32_e32 v35, v28, v7
	v_fmac_f32_e32 v12, v7, v26
	v_fmac_f32_e32 v35, v8, v26
	v_sub_f32_e32 v7, v1, v12
	v_sub_f32_e32 v8, v11, v35
	global_store_dwordx2 v[29:30], v[7:8], off
	v_mul_f32_e64 v7, v23, -v3
	v_mul_f32_e32 v1, v4, v23
	v_fma_f32 v8, -v4, v22, v7
	v_mul_f32_e64 v7, v24, -v6
	v_mul_f32_e32 v11, v5, v24
	v_fma_f32 v1, -v3, v22, v1
	v_fmac_f32_e32 v7, v5, v21
	v_fmac_f32_e32 v11, v6, v21
	v_add_f32_e32 v7, v1, v7
	v_add_f32_e32 v8, v8, v11
	global_store_dwordx2 v[31:32], v[7:8], off
	v_mul_f32_e32 v1, v4, v27
	v_mul_f32_e64 v7, v27, -v3
	v_mul_f32_e64 v8, v28, -v6
	v_mul_f32_e32 v12, v5, v28
	v_fma_f32 v1, -v3, v25, v1
	v_fma_f32 v7, -v4, v25, v7
	v_fmac_f32_e32 v8, v5, v26
	v_fmac_f32_e32 v12, v6, v26
	v_add_f32_e32 v11, v1, v8
	v_add_f32_e32 v12, v7, v12
	v_mov_b32_e32 v7, 0
	v_mov_b32_e32 v1, 0
	global_store_dwordx2 v[33:34], v[11:12], off
	s_and_saveexec_b64 s[4:5], s[2:3]
	s_cbranch_execz .LBB241_16
; %bb.15:                               ;   in Loop: Header=BB241_5 Depth=1
	v_add_u32_e32 v7, v19, v18
	v_add_u32_e32 v1, s28, v7
	v_lshlrev_b64 v[11:12], 3, v[1:2]
	v_mov_b32_e32 v1, s9
	v_add_co_u32_e32 v11, vcc, s8, v11
	v_ashrrev_i32_e32 v8, 31, v7
	v_addc_co_u32_e32 v12, vcc, v1, v12, vcc
	v_add_u32_e32 v1, s29, v7
	v_lshlrev_b64 v[7:8], 3, v[7:8]
	v_mov_b32_e32 v29, s15
	v_add_co_u32_e32 v7, vcc, s14, v7
	v_addc_co_u32_e32 v8, vcc, v29, v8, vcc
	v_lshlrev_b64 v[29:30], 3, v[1:2]
	v_mov_b32_e32 v1, s9
	global_load_dwordx2 v[31:32], v[11:12], off
	global_load_dwordx2 v[33:34], v[7:8], off
	v_add_co_u32_e32 v7, vcc, s8, v29
	v_addc_co_u32_e32 v8, vcc, v1, v30, vcc
	global_load_dwordx2 v[29:30], v[7:8], off
	v_mul_f32_e32 v1, v4, v14
	v_mul_f32_e64 v35, v14, -v3
	v_mul_f32_e64 v36, v14, -v6
	v_mul_f32_e32 v37, v5, v14
	v_fma_f32 v1, -v3, v13, v1
	v_fma_f32 v3, -v4, v13, v35
	v_mul_f32_e64 v4, v6, -v14
	v_mul_f32_e32 v35, v6, v13
	v_fmac_f32_e32 v36, v5, v13
	v_fmac_f32_e32 v37, v6, v13
	;; [unrolled: 1-line block ×4, first 2 shown]
	v_mul_f32_e32 v5, v3, v23
	v_mul_f32_e64 v6, v23, -v1
	v_mul_f32_e64 v23, v24, -v37
	v_mul_f32_e32 v24, v36, v24
	v_mul_f32_e32 v13, v3, v27
	v_mul_f32_e64 v14, v27, -v1
	v_mul_f32_e64 v27, v28, -v37
	v_mul_f32_e32 v28, v36, v28
	v_fma_f32 v5, -v1, v22, v5
	v_fma_f32 v6, -v3, v22, v6
	v_mul_f32_e64 v22, v10, -v35
	v_mul_f32_e32 v10, v10, v4
	v_fmac_f32_e32 v23, v36, v21
	v_fmac_f32_e32 v24, v37, v21
	v_fma_f32 v1, -v1, v25, v13
	v_fma_f32 v3, -v3, v25, v14
	v_fmac_f32_e32 v27, v36, v26
	v_fmac_f32_e32 v28, v37, v26
	;; [unrolled: 1-line block ×4, first 2 shown]
	v_sub_f32_e32 v4, v5, v23
	v_sub_f32_e32 v5, v6, v24
	;; [unrolled: 1-line block ×4, first 2 shown]
	v_mul_f32_e64 v1, v16, -v10
	v_mul_f32_e32 v13, v16, v22
	v_fmac_f32_e32 v1, v22, v15
	v_fmac_f32_e32 v13, v10, v15
	s_waitcnt vmcnt(2)
	v_add_f32_e32 v3, v4, v31
	v_add_f32_e32 v4, v5, v32
	global_store_dwordx2 v[11:12], v[3:4], off
	s_waitcnt vmcnt(2)
	v_sub_f32_e32 v1, v33, v1
	s_waitcnt vmcnt(1)
	v_add_f32_e32 v3, v6, v29
	v_add_f32_e32 v4, v9, v30
	global_store_dwordx2 v[7:8], v[3:4], off
	v_sub_f32_e32 v7, v34, v13
.LBB241_16:                             ;   in Loop: Header=BB241_5 Depth=1
	s_or_b64 exec, exec, s[4:5]
	v_mov_b32_e32 v6, v7
	v_mov_b32_e32 v5, v1
                                        ; implicit-def: $vgpr7_vgpr8
                                        ; implicit-def: $vgpr3
                                        ; implicit-def: $vgpr11
                                        ; implicit-def: $vgpr22
                                        ; implicit-def: $vgpr21
                                        ; implicit-def: $vgpr15
.LBB241_17:                             ;   in Loop: Header=BB241_5 Depth=1
	s_or_saveexec_b64 s[2:3], s[20:21]
	v_mov_b32_e32 v8, s27
	s_xor_b64 exec, exec, s[2:3]
	s_cbranch_execz .LBB241_4
; %bb.18:                               ;   in Loop: Header=BB241_5 Depth=1
	v_mul_f32_e32 v8, v6, v6
	v_fmac_f32_e32 v8, v5, v5
	v_div_scale_f32 v9, s[4:5], v8, v8, 1.0
	v_rcp_f32_e32 v10, v9
	v_fma_f32 v13, -v9, v10, 1.0
	v_fmac_f32_e32 v10, v13, v10
	v_div_scale_f32 v13, vcc, 1.0, v8, 1.0
	v_mul_f32_e32 v14, v13, v10
	v_fma_f32 v16, -v9, v14, v13
	v_fmac_f32_e32 v14, v16, v10
	v_fma_f32 v9, -v9, v14, v13
	v_div_fmas_f32 v9, v9, v10, v14
	v_mov_b32_e32 v16, v2
	v_div_fixup_f32 v8, v9, v8, 1.0
	v_fma_f32 v9, 0, v6, v5
	v_fma_f32 v5, v5, 0, -v6
	v_mul_f32_e32 v13, v5, v8
	v_lshlrev_b64 v[5:6], 3, v[1:2]
	v_mov_b32_e32 v1, s9
	v_add_co_u32_e32 v23, vcc, s8, v5
	v_addc_co_u32_e32 v24, vcc, v1, v6, vcc
	v_mul_f32_e32 v10, v9, v8
	global_load_dwordx2 v[8:9], v[23:24], off
	s_waitcnt vmcnt(0)
	v_mul_f32_e64 v5, v13, -v9
	v_mul_f32_e32 v6, v13, v8
	v_fmac_f32_e32 v5, v8, v10
	v_fmac_f32_e32 v6, v9, v10
	v_lshlrev_b64 v[8:9], 3, v[15:16]
	v_add_co_u32_e32 v14, vcc, s8, v8
	v_addc_co_u32_e32 v15, vcc, v1, v9, vcc
	global_load_dwordx2 v[25:26], v[14:15], off
	s_waitcnt vmcnt(0)
	v_mul_f32_e64 v8, v13, -v26
	v_mul_f32_e32 v9, v13, v25
	v_fmac_f32_e32 v8, v25, v10
	v_fmac_f32_e32 v9, v26, v10
	global_store_dwordx2 v[23:24], v[5:6], off
	global_store_dwordx2 v[14:15], v[8:9], off
	s_and_saveexec_b64 s[4:5], s[0:1]
	s_cbranch_execz .LBB241_3
; %bb.19:                               ;   in Loop: Header=BB241_5 Depth=1
	v_add_u32_e32 v16, v17, v18
	v_add_u32_e32 v1, s28, v16
	v_lshlrev_b64 v[14:15], 3, v[1:2]
	v_mov_b32_e32 v1, s9
	v_add_co_u32_e32 v14, vcc, s8, v14
	v_addc_co_u32_e32 v15, vcc, v1, v15, vcc
	v_add_u32_e32 v1, s29, v16
	v_lshlrev_b64 v[25:26], 3, v[1:2]
	v_mov_b32_e32 v1, s9
	v_add_co_u32_e32 v25, vcc, s8, v25
	global_load_dwordx2 v[23:24], v[14:15], off
	v_addc_co_u32_e32 v26, vcc, v1, v26, vcc
	global_load_dwordx2 v[27:28], v[25:26], off
	s_waitcnt vmcnt(1)
	v_fma_f32 v1, -v4, v5, v24
	v_fma_f32 v23, -v3, v5, v23
	v_fma_f32 v24, -v3, v6, v1
	s_waitcnt vmcnt(0)
	v_fma_f32 v5, -v3, v8, v27
	v_fma_f32 v1, -v4, v8, v28
	v_fmac_f32_e32 v23, v4, v6
	v_fmac_f32_e32 v5, v4, v9
	v_fma_f32 v6, -v3, v9, v1
	global_store_dwordx2 v[14:15], v[23:24], off
	global_store_dwordx2 v[25:26], v[5:6], off
	s_branch .LBB241_3
.LBB241_20:
	s_or_b64 exec, exec, s[18:19]
	s_branch .LBB241_22
.LBB241_21:
	v_mov_b32_e32 v18, 0
.LBB241_22:
	v_subrev_u32_e32 v3, s22, v18
	v_add_u32_e32 v1, v3, v0
	v_ashrrev_i32_e32 v2, 31, v1
	v_lshlrev_b64 v[1:2], 2, v[1:2]
	s_waitcnt lgkmcnt(0)
	v_mov_b32_e32 v4, s17
	v_add_co_u32_e32 v1, vcc, s16, v1
	v_addc_co_u32_e32 v2, vcc, v4, v2, vcc
	s_waitcnt vmcnt(0)
	buffer_wbinvl1_vol
	global_load_dword v1, v[1:2], off
	s_waitcnt vmcnt(0)
	v_mul_lo_u32 v1, v1, s22
	v_sub_u32_e32 v7, v3, v1
	v_cmp_lt_i32_e32 vcc, -1, v7
	s_and_b64 exec, exec, vcc
	s_cbranch_execz .LBB241_29
; %bb.23:
	s_lshl_b32 s4, s24, 1
	s_add_i32 s5, s4, s23
	s_lshl_b32 s6, s22, 1
	s_mov_b64 s[0:1], 0
	v_mov_b32_e32 v8, s17
	v_mov_b32_e32 v9, s11
	;; [unrolled: 1-line block ×3, first 2 shown]
	s_branch .LBB241_25
.LBB241_24:                             ;   in Loop: Header=BB241_25 Depth=1
	s_or_b64 exec, exec, s[2:3]
	v_sub_u32_e32 v7, v7, v1
	v_cmp_gt_i32_e32 vcc, 0, v7
	s_or_b64 s[0:1], vcc, s[0:1]
	s_andn2_b64 exec, exec, s[0:1]
	s_cbranch_execz .LBB241_29
.LBB241_25:                             ; =>This Inner Loop Header: Depth=1
	v_add_u32_e32 v5, v7, v0
	v_ashrrev_i32_e32 v6, 31, v5
	s_waitcnt vmcnt(0)
	v_lshlrev_b64 v[3:4], 2, v[5:6]
	v_add_co_u32_e32 v3, vcc, s16, v3
	v_addc_co_u32_e32 v4, vcc, v8, v4, vcc
	global_load_dword v1, v[3:4], off
	v_lshlrev_b64 v[3:4], 3, v[5:6]
	v_add_co_u32_e32 v3, vcc, s10, v3
	v_addc_co_u32_e32 v4, vcc, v9, v4, vcc
	global_load_dwordx2 v[3:4], v[3:4], off
	s_waitcnt vmcnt(1)
	v_cmp_ne_u32_e32 vcc, 1, v1
	s_and_saveexec_b64 s[2:3], vcc
	s_xor_b64 s[2:3], exec, s[2:3]
	s_cbranch_execz .LBB241_27
; %bb.26:                               ;   in Loop: Header=BB241_25 Depth=1
	v_add_u32_e32 v6, v17, v7
	v_add_u32_e32 v1, s4, v6
	v_lshlrev_b64 v[10:11], 3, v[1:2]
	v_mov_b32_e32 v1, s9
	v_add_co_u32_e32 v10, vcc, s8, v10
	v_addc_co_u32_e32 v11, vcc, v1, v11, vcc
	v_add_u32_e32 v1, s5, v6
	v_lshlrev_b64 v[12:13], 3, v[1:2]
	v_add_u32_e32 v1, s4, v5
	v_lshlrev_b64 v[14:15], 3, v[1:2]
	v_mov_b32_e32 v1, s9
	v_add_co_u32_e32 v14, vcc, s8, v14
	v_addc_co_u32_e32 v15, vcc, v1, v15, vcc
	global_load_dwordx2 v[18:19], v[10:11], off
	global_load_dwordx2 v[20:21], v[14:15], off
	v_add_co_u32_e32 v10, vcc, s8, v12
	v_addc_co_u32_e32 v11, vcc, v1, v13, vcc
	v_add_u32_e32 v1, s5, v5
	v_lshlrev_b64 v[5:6], 3, v[1:2]
	v_mov_b32_e32 v12, s9
	v_add_co_u32_e32 v5, vcc, s8, v5
	v_addc_co_u32_e32 v6, vcc, v12, v6, vcc
	global_load_dwordx2 v[10:11], v[10:11], off
	v_mov_b32_e32 v22, s9
	s_waitcnt vmcnt(1)
	v_fma_f32 v12, -v3, v18, v20
	v_fma_f32 v1, -v4, v18, v21
	v_fmac_f32_e32 v12, v4, v19
	v_fma_f32 v13, -v3, v19, v1
	global_store_dwordx2 v[14:15], v[12:13], off
	global_load_dwordx2 v[12:13], v[5:6], off
	v_subrev_u32_e32 v1, s22, v7
	v_add_u32_e32 v14, v1, v0
	v_ashrrev_i32_e32 v15, 31, v14
	v_lshlrev_b64 v[15:16], 3, v[14:15]
	v_mov_b32_e32 v20, s11
	v_add_co_u32_e32 v15, vcc, s10, v15
	v_add_u32_e32 v1, s4, v14
	v_addc_co_u32_e32 v16, vcc, v20, v16, vcc
	v_lshlrev_b64 v[20:21], 3, v[1:2]
	global_load_dwordx2 v[15:16], v[15:16], off
	v_add_co_u32_e32 v20, vcc, s8, v20
	v_addc_co_u32_e32 v21, vcc, v22, v21, vcc
	s_waitcnt vmcnt(1)
	v_fma_f32 v12, -v3, v10, v12
	v_fma_f32 v1, -v4, v10, v13
	v_fmac_f32_e32 v12, v4, v11
	v_fma_f32 v13, -v3, v11, v1
	global_store_dwordx2 v[5:6], v[12:13], off
	global_load_dwordx2 v[3:4], v[20:21], off
	v_add_u32_e32 v1, s5, v14
	v_lshlrev_b64 v[5:6], 3, v[1:2]
	v_mov_b32_e32 v12, s9
	v_add_co_u32_e32 v5, vcc, s8, v5
	v_addc_co_u32_e32 v6, vcc, v12, v6, vcc
	s_waitcnt vmcnt(0)
	v_fma_f32 v3, -v15, v18, v3
	v_fma_f32 v1, -v16, v18, v4
	v_fmac_f32_e32 v3, v16, v19
	v_fma_f32 v4, -v15, v19, v1
	global_store_dwordx2 v[20:21], v[3:4], off
	global_load_dwordx2 v[3:4], v[5:6], off
	s_waitcnt vmcnt(0)
	v_fma_f32 v3, -v15, v10, v3
	v_fma_f32 v1, -v16, v10, v4
	v_fmac_f32_e32 v3, v16, v11
	v_fma_f32 v4, -v15, v11, v1
	global_store_dwordx2 v[5:6], v[3:4], off
                                        ; implicit-def: $vgpr5
                                        ; implicit-def: $vgpr3_vgpr4
.LBB241_27:                             ;   in Loop: Header=BB241_25 Depth=1
	s_or_saveexec_b64 s[2:3], s[2:3]
	v_mov_b32_e32 v1, s6
	s_xor_b64 exec, exec, s[2:3]
	s_cbranch_execz .LBB241_24
; %bb.28:                               ;   in Loop: Header=BB241_25 Depth=1
	v_add_u32_e32 v6, v17, v7
	v_add_u32_e32 v1, s4, v6
	v_lshlrev_b64 v[10:11], 3, v[1:2]
	v_mov_b32_e32 v1, s9
	v_add_co_u32_e32 v10, vcc, s8, v10
	v_addc_co_u32_e32 v11, vcc, v1, v11, vcc
	v_add_u32_e32 v1, s4, v5
	v_lshlrev_b64 v[12:13], 3, v[1:2]
	v_mov_b32_e32 v1, s9
	v_add_co_u32_e32 v12, vcc, s8, v12
	v_addc_co_u32_e32 v13, vcc, v1, v13, vcc
	global_load_dwordx2 v[14:15], v[10:11], off
	global_load_dwordx2 v[18:19], v[12:13], off
	v_add_u32_e32 v1, s5, v6
	v_lshlrev_b64 v[10:11], 3, v[1:2]
	v_add_u32_e32 v1, s5, v5
	v_mov_b32_e32 v16, s9
	v_lshlrev_b64 v[5:6], 3, v[1:2]
	v_add_co_u32_e32 v10, vcc, s8, v10
	v_addc_co_u32_e32 v11, vcc, v16, v11, vcc
	v_mov_b32_e32 v20, s9
	v_add_co_u32_e32 v5, vcc, s8, v5
	v_addc_co_u32_e32 v6, vcc, v20, v6, vcc
	s_waitcnt vmcnt(0)
	v_fma_f32 v18, -v3, v14, v18
	v_fma_f32 v1, -v4, v14, v19
	v_fmac_f32_e32 v18, v4, v15
	v_fma_f32 v19, -v3, v15, v1
	global_store_dwordx2 v[12:13], v[18:19], off
	global_load_dwordx2 v[12:13], v[10:11], off
	s_nop 0
	global_load_dwordx2 v[14:15], v[5:6], off
	s_waitcnt vmcnt(0)
	v_fma_f32 v10, -v3, v12, v14
	v_fma_f32 v1, -v4, v12, v15
	v_fmac_f32_e32 v10, v4, v13
	v_fma_f32 v11, -v3, v13, v1
	v_mov_b32_e32 v1, s22
	global_store_dwordx2 v[5:6], v[10:11], off
	s_branch .LBB241_24
.LBB241_29:
	s_endpgm
	.section	.rodata,"a",@progbits
	.p2align	6, 0x0
	.amdhsa_kernel _ZN9rocsparseL19gtsv_LBM_rhs_kernelILj256ELj64ELj2E21rocsparse_complex_numIfEEEviiiPKT2_S5_S5_PS3_S5_PKi
		.amdhsa_group_segment_fixed_size 0
		.amdhsa_private_segment_fixed_size 0
		.amdhsa_kernarg_size 64
		.amdhsa_user_sgpr_count 6
		.amdhsa_user_sgpr_private_segment_buffer 1
		.amdhsa_user_sgpr_dispatch_ptr 0
		.amdhsa_user_sgpr_queue_ptr 0
		.amdhsa_user_sgpr_kernarg_segment_ptr 1
		.amdhsa_user_sgpr_dispatch_id 0
		.amdhsa_user_sgpr_flat_scratch_init 0
		.amdhsa_user_sgpr_private_segment_size 0
		.amdhsa_uses_dynamic_stack 0
		.amdhsa_system_sgpr_private_segment_wavefront_offset 0
		.amdhsa_system_sgpr_workgroup_id_x 1
		.amdhsa_system_sgpr_workgroup_id_y 1
		.amdhsa_system_sgpr_workgroup_id_z 0
		.amdhsa_system_sgpr_workgroup_info 0
		.amdhsa_system_vgpr_workitem_id 0
		.amdhsa_next_free_vgpr 39
		.amdhsa_next_free_sgpr 30
		.amdhsa_reserve_vcc 1
		.amdhsa_reserve_flat_scratch 0
		.amdhsa_float_round_mode_32 0
		.amdhsa_float_round_mode_16_64 0
		.amdhsa_float_denorm_mode_32 3
		.amdhsa_float_denorm_mode_16_64 3
		.amdhsa_dx10_clamp 1
		.amdhsa_ieee_mode 1
		.amdhsa_fp16_overflow 0
		.amdhsa_exception_fp_ieee_invalid_op 0
		.amdhsa_exception_fp_denorm_src 0
		.amdhsa_exception_fp_ieee_div_zero 0
		.amdhsa_exception_fp_ieee_overflow 0
		.amdhsa_exception_fp_ieee_underflow 0
		.amdhsa_exception_fp_ieee_inexact 0
		.amdhsa_exception_int_div_zero 0
	.end_amdhsa_kernel
	.section	.text._ZN9rocsparseL19gtsv_LBM_rhs_kernelILj256ELj64ELj2E21rocsparse_complex_numIfEEEviiiPKT2_S5_S5_PS3_S5_PKi,"axG",@progbits,_ZN9rocsparseL19gtsv_LBM_rhs_kernelILj256ELj64ELj2E21rocsparse_complex_numIfEEEviiiPKT2_S5_S5_PS3_S5_PKi,comdat
.Lfunc_end241:
	.size	_ZN9rocsparseL19gtsv_LBM_rhs_kernelILj256ELj64ELj2E21rocsparse_complex_numIfEEEviiiPKT2_S5_S5_PS3_S5_PKi, .Lfunc_end241-_ZN9rocsparseL19gtsv_LBM_rhs_kernelILj256ELj64ELj2E21rocsparse_complex_numIfEEEviiiPKT2_S5_S5_PS3_S5_PKi
                                        ; -- End function
	.set _ZN9rocsparseL19gtsv_LBM_rhs_kernelILj256ELj64ELj2E21rocsparse_complex_numIfEEEviiiPKT2_S5_S5_PS3_S5_PKi.num_vgpr, 39
	.set _ZN9rocsparseL19gtsv_LBM_rhs_kernelILj256ELj64ELj2E21rocsparse_complex_numIfEEEviiiPKT2_S5_S5_PS3_S5_PKi.num_agpr, 0
	.set _ZN9rocsparseL19gtsv_LBM_rhs_kernelILj256ELj64ELj2E21rocsparse_complex_numIfEEEviiiPKT2_S5_S5_PS3_S5_PKi.numbered_sgpr, 30
	.set _ZN9rocsparseL19gtsv_LBM_rhs_kernelILj256ELj64ELj2E21rocsparse_complex_numIfEEEviiiPKT2_S5_S5_PS3_S5_PKi.num_named_barrier, 0
	.set _ZN9rocsparseL19gtsv_LBM_rhs_kernelILj256ELj64ELj2E21rocsparse_complex_numIfEEEviiiPKT2_S5_S5_PS3_S5_PKi.private_seg_size, 0
	.set _ZN9rocsparseL19gtsv_LBM_rhs_kernelILj256ELj64ELj2E21rocsparse_complex_numIfEEEviiiPKT2_S5_S5_PS3_S5_PKi.uses_vcc, 1
	.set _ZN9rocsparseL19gtsv_LBM_rhs_kernelILj256ELj64ELj2E21rocsparse_complex_numIfEEEviiiPKT2_S5_S5_PS3_S5_PKi.uses_flat_scratch, 0
	.set _ZN9rocsparseL19gtsv_LBM_rhs_kernelILj256ELj64ELj2E21rocsparse_complex_numIfEEEviiiPKT2_S5_S5_PS3_S5_PKi.has_dyn_sized_stack, 0
	.set _ZN9rocsparseL19gtsv_LBM_rhs_kernelILj256ELj64ELj2E21rocsparse_complex_numIfEEEviiiPKT2_S5_S5_PS3_S5_PKi.has_recursion, 0
	.set _ZN9rocsparseL19gtsv_LBM_rhs_kernelILj256ELj64ELj2E21rocsparse_complex_numIfEEEviiiPKT2_S5_S5_PS3_S5_PKi.has_indirect_call, 0
	.section	.AMDGPU.csdata,"",@progbits
; Kernel info:
; codeLenInByte = 2872
; TotalNumSgprs: 34
; NumVgprs: 39
; ScratchSize: 0
; MemoryBound: 0
; FloatMode: 240
; IeeeMode: 1
; LDSByteSize: 0 bytes/workgroup (compile time only)
; SGPRBlocks: 4
; VGPRBlocks: 9
; NumSGPRsForWavesPerEU: 34
; NumVGPRsForWavesPerEU: 39
; Occupancy: 6
; WaveLimiterHint : 0
; COMPUTE_PGM_RSRC2:SCRATCH_EN: 0
; COMPUTE_PGM_RSRC2:USER_SGPR: 6
; COMPUTE_PGM_RSRC2:TRAP_HANDLER: 0
; COMPUTE_PGM_RSRC2:TGID_X_EN: 1
; COMPUTE_PGM_RSRC2:TGID_Y_EN: 1
; COMPUTE_PGM_RSRC2:TGID_Z_EN: 0
; COMPUTE_PGM_RSRC2:TIDIG_COMP_CNT: 0
	.section	.text._ZN9rocsparseL19gtsv_LBM_rhs_kernelILj256ELj64ELj1E21rocsparse_complex_numIfEEEviiiPKT2_S5_S5_PS3_S5_PKi,"axG",@progbits,_ZN9rocsparseL19gtsv_LBM_rhs_kernelILj256ELj64ELj1E21rocsparse_complex_numIfEEEviiiPKT2_S5_S5_PS3_S5_PKi,comdat
	.globl	_ZN9rocsparseL19gtsv_LBM_rhs_kernelILj256ELj64ELj1E21rocsparse_complex_numIfEEEviiiPKT2_S5_S5_PS3_S5_PKi ; -- Begin function _ZN9rocsparseL19gtsv_LBM_rhs_kernelILj256ELj64ELj1E21rocsparse_complex_numIfEEEviiiPKT2_S5_S5_PS3_S5_PKi
	.p2align	8
	.type	_ZN9rocsparseL19gtsv_LBM_rhs_kernelILj256ELj64ELj1E21rocsparse_complex_numIfEEEviiiPKT2_S5_S5_PS3_S5_PKi,@function
_ZN9rocsparseL19gtsv_LBM_rhs_kernelILj256ELj64ELj1E21rocsparse_complex_numIfEEEviiiPKT2_S5_S5_PS3_S5_PKi: ; @_ZN9rocsparseL19gtsv_LBM_rhs_kernelILj256ELj64ELj1E21rocsparse_complex_numIfEEEviiiPKT2_S5_S5_PS3_S5_PKi
; %bb.0:
	s_load_dword s24, s[4:5], 0x0
	v_lshl_or_b32 v0, s6, 8, v0
	s_waitcnt lgkmcnt(0)
	s_lshr_b32 s22, s24, 6
	v_cmp_gt_i32_e32 vcc, s22, v0
	s_and_saveexec_b64 s[0:1], vcc
	s_cbranch_execz .LBB242_29
; %bb.1:
	s_load_dwordx4 s[8:11], s[4:5], 0x28
	s_load_dwordx2 s[16:17], s[4:5], 0x38
	s_cmp_lt_i32 s24, 1
	s_mul_i32 s23, s24, s7
	s_cbranch_scc1 .LBB242_21
; %bb.2:
	s_load_dwordx4 s[12:15], s[4:5], 0x10
	s_load_dwordx2 s[6:7], s[4:5], 0x20
	v_ashrrev_i32_e32 v1, 31, v0
	v_lshlrev_b64 v[1:2], 3, v[0:1]
	v_add_u32_e32 v18, s22, v0
	s_waitcnt lgkmcnt(0)
	v_mov_b32_e32 v3, s15
	v_add_co_u32_e32 v1, vcc, s14, v1
	v_addc_co_u32_e32 v2, vcc, v3, v2, vcc
	global_load_dwordx2 v[5:6], v[1:2], off
	s_mul_i32 s25, s22, 63
	s_mul_i32 s26, s22, 62
	s_lshl_b32 s27, s22, 1
	v_add_u32_e32 v19, s22, v18
	v_add_u32_e32 v20, s23, v18
	v_mov_b32_e32 v2, 0
	s_mov_b64 s[18:19], 0
	v_mov_b32_e32 v21, s7
	v_mov_b32_e32 v17, 0
	s_branch .LBB242_5
.LBB242_3:                              ;   in Loop: Header=BB242_5 Depth=1
	s_or_b64 exec, exec, s[4:5]
	v_fmac_f32_e32 v22, v3, v9
	v_fmac_f32_e32 v16, v4, v9
	v_mul_f32_e64 v1, v8, -v16
	v_mul_f32_e32 v3, v8, v22
	v_fmac_f32_e32 v1, v22, v7
	v_fmac_f32_e32 v3, v16, v7
	v_sub_f32_e32 v5, v11, v1
	v_sub_f32_e32 v6, v12, v3
	v_mov_b32_e32 v7, s22
.LBB242_4:                              ;   in Loop: Header=BB242_5 Depth=1
	s_or_b64 exec, exec, s[2:3]
	v_add_u32_e32 v17, v7, v17
	v_cmp_le_i32_e32 vcc, s24, v17
	s_or_b64 s[18:19], vcc, s[18:19]
	s_andn2_b64 exec, exec, s[18:19]
	s_cbranch_execz .LBB242_20
.LBB242_5:                              ; =>This Inner Loop Header: Depth=1
	v_add_u32_e32 v15, v17, v0
	v_ashrrev_i32_e32 v16, 31, v15
	v_lshlrev_b64 v[3:4], 3, v[15:16]
	v_cmp_gt_u32_e64 s[0:1], s25, v17
	v_add_co_u32_e32 v3, vcc, s6, v3
	v_addc_co_u32_e32 v4, vcc, v21, v4, vcc
	global_load_dwordx2 v[9:10], v[3:4], off
	v_add_u32_e32 v13, v18, v17
	v_mov_b32_e32 v3, 0
	v_mov_b32_e32 v4, 0
	s_and_saveexec_b64 s[2:3], s[0:1]
	s_cbranch_execz .LBB242_7
; %bb.6:                                ;   in Loop: Header=BB242_5 Depth=1
	v_ashrrev_i32_e32 v14, 31, v13
	v_lshlrev_b64 v[3:4], 3, v[13:14]
	v_mov_b32_e32 v1, s13
	v_add_co_u32_e32 v3, vcc, s12, v3
	v_addc_co_u32_e32 v4, vcc, v1, v4, vcc
	global_load_dwordx2 v[3:4], v[3:4], off
.LBB242_7:                              ;   in Loop: Header=BB242_5 Depth=1
	s_or_b64 exec, exec, s[2:3]
	v_mov_b32_e32 v7, 0
	v_mov_b32_e32 v11, 0
	;; [unrolled: 1-line block ×3, first 2 shown]
	s_and_saveexec_b64 s[2:3], s[0:1]
	s_cbranch_execz .LBB242_9
; %bb.8:                                ;   in Loop: Header=BB242_5 Depth=1
	v_ashrrev_i32_e32 v14, 31, v13
	v_lshlrev_b64 v[11:12], 3, v[13:14]
	v_mov_b32_e32 v1, s15
	v_add_co_u32_e32 v11, vcc, s14, v11
	v_addc_co_u32_e32 v12, vcc, v1, v12, vcc
	global_load_dwordx2 v[11:12], v[11:12], off
.LBB242_9:                              ;   in Loop: Header=BB242_5 Depth=1
	s_or_b64 exec, exec, s[2:3]
	v_mov_b32_e32 v8, 0
	s_and_saveexec_b64 s[2:3], s[0:1]
	s_cbranch_execz .LBB242_11
; %bb.10:                               ;   in Loop: Header=BB242_5 Depth=1
	v_ashrrev_i32_e32 v14, 31, v13
	v_lshlrev_b64 v[7:8], 3, v[13:14]
	v_mov_b32_e32 v1, s7
	v_add_co_u32_e32 v7, vcc, s6, v7
	v_addc_co_u32_e32 v8, vcc, v1, v8, vcc
	global_load_dwordx2 v[7:8], v[7:8], off
.LBB242_11:                             ;   in Loop: Header=BB242_5 Depth=1
	s_or_b64 exec, exec, s[2:3]
	v_cmp_gt_u32_e64 s[2:3], s26, v17
	v_mov_b32_e32 v13, 0
	v_mov_b32_e32 v14, 0
	s_and_saveexec_b64 s[4:5], s[2:3]
	s_cbranch_execz .LBB242_13
; %bb.12:                               ;   in Loop: Header=BB242_5 Depth=1
	v_add_u32_e32 v13, v19, v17
	v_ashrrev_i32_e32 v14, 31, v13
	v_lshlrev_b64 v[13:14], 3, v[13:14]
	v_mov_b32_e32 v1, s13
	v_add_co_u32_e32 v13, vcc, s12, v13
	v_addc_co_u32_e32 v14, vcc, v1, v14, vcc
	global_load_dwordx2 v[13:14], v[13:14], off
.LBB242_13:                             ;   in Loop: Header=BB242_5 Depth=1
	s_or_b64 exec, exec, s[4:5]
	v_lshlrev_b64 v[22:23], 2, v[15:16]
	v_mov_b32_e32 v1, s17
	v_add_co_u32_e32 v22, vcc, s16, v22
	v_addc_co_u32_e32 v23, vcc, v1, v23, vcc
	global_load_dword v1, v[22:23], off
	v_cmp_ne_u32_e32 vcc, s25, v17
	s_waitcnt vmcnt(1)
	v_mul_f32_e64 v22, v10, -v4
	v_mul_f32_e32 v16, v3, v10
	s_waitcnt vmcnt(0)
	v_cmp_ne_u32_e64 s[4:5], 1, v1
	s_and_b64 s[4:5], vcc, s[4:5]
	v_add_u32_e32 v1, s23, v15
	s_and_saveexec_b64 s[20:21], s[4:5]
	s_xor_b64 s[4:5], exec, s[20:21]
	s_cbranch_execz .LBB242_17
; %bb.14:                               ;   in Loop: Header=BB242_5 Depth=1
	v_lshlrev_b64 v[23:24], 3, v[1:2]
	v_mov_b32_e32 v1, s9
	v_add_co_u32_e32 v26, vcc, s8, v23
	v_addc_co_u32_e32 v27, vcc, v1, v24, vcc
	v_add_u32_e32 v1, v20, v17
	v_lshlrev_b64 v[23:24], 3, v[1:2]
	v_mov_b32_e32 v15, s9
	v_add_co_u32_e32 v28, vcc, s8, v23
	v_addc_co_u32_e32 v29, vcc, v15, v24, vcc
	v_mul_f32_e32 v15, v5, v12
	v_mul_f32_e64 v1, v12, -v6
	v_fmac_f32_e32 v15, v6, v11
	v_fmac_f32_e32 v16, v4, v9
	;; [unrolled: 1-line block ×4, first 2 shown]
	v_sub_f32_e32 v15, v15, v16
	v_sub_f32_e32 v1, v1, v22
	v_mul_f32_e32 v16, v15, v15
	v_fmac_f32_e32 v16, v1, v1
	v_div_scale_f32 v22, s[20:21], v16, v16, 1.0
	v_rcp_f32_e32 v23, v22
	v_fma_f32 v24, -v22, v23, 1.0
	v_fmac_f32_e32 v23, v24, v23
	v_div_scale_f32 v24, vcc, 1.0, v16, 1.0
	v_mul_f32_e32 v25, v24, v23
	v_fma_f32 v30, -v22, v25, v24
	v_fmac_f32_e32 v25, v30, v23
	v_fma_f32 v22, -v22, v25, v24
	v_div_fmas_f32 v22, v22, v23, v25
	v_fma_f32 v23, 0, v15, v1
	v_fma_f32 v1, v1, 0, -v15
	global_load_dwordx2 v[30:31], v[28:29], off
	v_div_fixup_f32 v16, v22, v16, 1.0
	v_mul_f32_e32 v15, v23, v16
	global_load_dwordx2 v[23:24], v[26:27], off
	v_mul_f32_e32 v16, v1, v16
	s_waitcnt vmcnt(1)
	v_mul_f32_e32 v25, v16, v30
	v_fmac_f32_e32 v25, v31, v15
	s_waitcnt vmcnt(0)
	v_mul_f32_e64 v22, v16, -v24
	v_fmac_f32_e32 v22, v23, v15
	v_mul_f32_e32 v23, v16, v23
	v_fmac_f32_e32 v23, v24, v15
	v_mul_f32_e64 v1, v23, -v12
	v_mul_f32_e64 v24, v16, -v31
	v_fmac_f32_e32 v1, v11, v22
	v_mul_f32_e32 v11, v11, v23
	v_fmac_f32_e32 v24, v30, v15
	v_fmac_f32_e32 v11, v12, v22
	v_mul_f32_e64 v12, v25, -v10
	v_mul_f32_e32 v30, v25, v9
	v_fmac_f32_e32 v12, v9, v24
	v_fmac_f32_e32 v30, v10, v24
	v_sub_f32_e32 v9, v1, v12
	v_sub_f32_e32 v10, v11, v30
	global_store_dwordx2 v[26:27], v[9:10], off
	v_mul_f32_e64 v9, v23, -v3
	v_mul_f32_e32 v1, v4, v23
	v_fma_f32 v10, -v4, v22, v9
	v_mul_f32_e64 v9, v25, -v6
	v_mul_f32_e32 v11, v5, v25
	v_fma_f32 v1, -v3, v22, v1
	v_fmac_f32_e32 v9, v5, v24
	v_fmac_f32_e32 v11, v6, v24
	v_add_f32_e32 v9, v1, v9
	v_add_f32_e32 v10, v10, v11
	global_store_dwordx2 v[28:29], v[9:10], off
	v_mov_b32_e32 v1, 0
	v_mov_b32_e32 v9, 0
	s_and_saveexec_b64 s[20:21], s[2:3]
	s_cbranch_execz .LBB242_16
; %bb.15:                               ;   in Loop: Header=BB242_5 Depth=1
	v_add_u32_e32 v9, v19, v17
	v_add_u32_e32 v1, s23, v9
	v_lshlrev_b64 v[10:11], 3, v[1:2]
	v_mov_b32_e32 v1, s9
	v_add_co_u32_e32 v26, vcc, s8, v10
	v_ashrrev_i32_e32 v10, 31, v9
	v_lshlrev_b64 v[9:10], 3, v[9:10]
	v_addc_co_u32_e32 v27, vcc, v1, v11, vcc
	v_mov_b32_e32 v1, s15
	v_add_co_u32_e32 v9, vcc, s14, v9
	v_addc_co_u32_e32 v10, vcc, v1, v10, vcc
	global_load_dwordx2 v[11:12], v[26:27], off
	v_mul_f32_e32 v1, v4, v14
	global_load_dwordx2 v[9:10], v[9:10], off
	v_mul_f32_e64 v28, v14, -v3
	v_fma_f32 v1, -v3, v13, v1
	v_fma_f32 v3, -v4, v13, v28
	v_mul_f32_e64 v4, v6, -v14
	v_mul_f32_e32 v28, v6, v13
	v_mul_f32_e64 v29, v14, -v6
	v_mul_f32_e32 v30, v5, v14
	v_fmac_f32_e32 v4, v13, v5
	v_fmac_f32_e32 v28, v14, v5
	;; [unrolled: 1-line block ×4, first 2 shown]
	v_mul_f32_e32 v5, v3, v23
	v_mul_f32_e64 v6, v23, -v1
	v_mul_f32_e64 v23, v8, -v28
	v_mul_f32_e32 v8, v8, v4
	v_mul_f32_e64 v13, v25, -v30
	v_mul_f32_e32 v14, v29, v25
	v_fmac_f32_e32 v23, v4, v7
	v_fmac_f32_e32 v8, v28, v7
	v_fma_f32 v1, -v1, v22, v5
	v_fma_f32 v3, -v3, v22, v6
	v_fmac_f32_e32 v13, v29, v24
	v_fmac_f32_e32 v14, v30, v24
	v_mul_f32_e64 v5, v16, -v8
	v_mul_f32_e32 v6, v16, v23
	v_sub_f32_e32 v1, v1, v13
	v_sub_f32_e32 v4, v3, v14
	v_fmac_f32_e32 v5, v23, v15
	v_fmac_f32_e32 v6, v8, v15
	s_waitcnt vmcnt(1)
	v_add_f32_e32 v3, v1, v11
	v_add_f32_e32 v4, v4, v12
	s_waitcnt vmcnt(0)
	v_sub_f32_e32 v9, v9, v5
	v_sub_f32_e32 v1, v10, v6
	global_store_dwordx2 v[26:27], v[3:4], off
.LBB242_16:                             ;   in Loop: Header=BB242_5 Depth=1
	s_or_b64 exec, exec, s[20:21]
	v_mov_b32_e32 v6, v1
	v_mov_b32_e32 v5, v9
                                        ; implicit-def: $vgpr9_vgpr10
                                        ; implicit-def: $vgpr3
                                        ; implicit-def: $vgpr11
                                        ; implicit-def: $vgpr22
                                        ; implicit-def: $vgpr16
.LBB242_17:                             ;   in Loop: Header=BB242_5 Depth=1
	s_or_saveexec_b64 s[2:3], s[4:5]
	v_mov_b32_e32 v7, s27
	s_xor_b64 exec, exec, s[2:3]
	s_cbranch_execz .LBB242_4
; %bb.18:                               ;   in Loop: Header=BB242_5 Depth=1
	v_mul_f32_e32 v7, v6, v6
	v_fmac_f32_e32 v7, v5, v5
	v_div_scale_f32 v8, s[4:5], v7, v7, 1.0
	v_rcp_f32_e32 v10, v8
	v_fma_f32 v13, -v8, v10, 1.0
	v_fmac_f32_e32 v10, v13, v10
	v_div_scale_f32 v13, vcc, 1.0, v7, 1.0
	v_mul_f32_e32 v14, v13, v10
	v_fma_f32 v15, -v8, v14, v13
	v_fmac_f32_e32 v14, v15, v10
	v_fma_f32 v8, -v8, v14, v13
	v_div_fmas_f32 v8, v8, v10, v14
	v_div_fixup_f32 v8, v8, v7, 1.0
	v_fma_f32 v7, 0, v6, v5
	v_fma_f32 v5, v5, 0, -v6
	v_mul_f32_e32 v7, v7, v8
	v_mul_f32_e32 v8, v5, v8
	v_lshlrev_b64 v[5:6], 3, v[1:2]
	v_mov_b32_e32 v1, s9
	v_add_co_u32_e32 v13, vcc, s8, v5
	v_addc_co_u32_e32 v14, vcc, v1, v6, vcc
	global_load_dwordx2 v[23:24], v[13:14], off
	s_waitcnt vmcnt(0)
	v_mul_f32_e64 v5, v8, -v24
	v_mul_f32_e32 v6, v8, v23
	v_fmac_f32_e32 v5, v23, v7
	v_fmac_f32_e32 v6, v24, v7
	global_store_dwordx2 v[13:14], v[5:6], off
	s_and_saveexec_b64 s[4:5], s[0:1]
	s_cbranch_execz .LBB242_3
; %bb.19:                               ;   in Loop: Header=BB242_5 Depth=1
	v_add_u32_e32 v1, v20, v17
	v_lshlrev_b64 v[13:14], 3, v[1:2]
	v_mov_b32_e32 v1, s9
	v_add_co_u32_e32 v13, vcc, s8, v13
	v_addc_co_u32_e32 v14, vcc, v1, v14, vcc
	global_load_dwordx2 v[23:24], v[13:14], off
	s_waitcnt vmcnt(0)
	v_fma_f32 v23, -v3, v5, v23
	v_fma_f32 v1, -v4, v5, v24
	v_fmac_f32_e32 v23, v4, v6
	v_fma_f32 v24, -v3, v6, v1
	global_store_dwordx2 v[13:14], v[23:24], off
	s_branch .LBB242_3
.LBB242_20:
	s_or_b64 exec, exec, s[18:19]
	s_branch .LBB242_22
.LBB242_21:
	v_mov_b32_e32 v17, 0
.LBB242_22:
	v_subrev_u32_e32 v3, s22, v17
	v_add_u32_e32 v1, v3, v0
	v_ashrrev_i32_e32 v2, 31, v1
	v_lshlrev_b64 v[1:2], 2, v[1:2]
	s_waitcnt lgkmcnt(0)
	v_mov_b32_e32 v4, s17
	v_add_co_u32_e32 v1, vcc, s16, v1
	v_addc_co_u32_e32 v2, vcc, v4, v2, vcc
	s_waitcnt vmcnt(0)
	buffer_wbinvl1_vol
	global_load_dword v1, v[1:2], off
	s_waitcnt vmcnt(0)
	v_mul_lo_u32 v1, v1, s22
	v_sub_u32_e32 v7, v3, v1
	v_cmp_lt_i32_e32 vcc, -1, v7
	s_and_b64 exec, exec, vcc
	s_cbranch_execz .LBB242_29
; %bb.23:
	s_add_i32 s0, s23, s22
	v_add_u32_e32 v8, s0, v0
	s_lshl_b32 s4, s22, 1
	s_mov_b64 s[0:1], 0
	v_mov_b32_e32 v9, s17
	v_mov_b32_e32 v10, s11
	;; [unrolled: 1-line block ×3, first 2 shown]
	s_branch .LBB242_25
.LBB242_24:                             ;   in Loop: Header=BB242_25 Depth=1
	s_or_b64 exec, exec, s[2:3]
	v_sub_u32_e32 v7, v7, v1
	v_cmp_gt_i32_e32 vcc, 0, v7
	s_or_b64 s[0:1], vcc, s[0:1]
	s_andn2_b64 exec, exec, s[0:1]
	s_cbranch_execz .LBB242_29
.LBB242_25:                             ; =>This Inner Loop Header: Depth=1
	v_add_u32_e32 v5, v7, v0
	v_ashrrev_i32_e32 v6, 31, v5
	s_waitcnt vmcnt(0)
	v_lshlrev_b64 v[3:4], 2, v[5:6]
	v_add_co_u32_e32 v3, vcc, s16, v3
	v_addc_co_u32_e32 v4, vcc, v9, v4, vcc
	global_load_dword v1, v[3:4], off
	v_lshlrev_b64 v[3:4], 3, v[5:6]
	v_add_co_u32_e32 v3, vcc, s10, v3
	v_addc_co_u32_e32 v4, vcc, v10, v4, vcc
	global_load_dwordx2 v[3:4], v[3:4], off
	s_waitcnt vmcnt(1)
	v_cmp_ne_u32_e32 vcc, 1, v1
	s_and_saveexec_b64 s[2:3], vcc
	s_xor_b64 s[2:3], exec, s[2:3]
	s_cbranch_execz .LBB242_27
; %bb.26:                               ;   in Loop: Header=BB242_25 Depth=1
	v_add_u32_e32 v1, v8, v7
	v_lshlrev_b64 v[11:12], 3, v[1:2]
	v_mov_b32_e32 v1, s9
	v_add_co_u32_e32 v11, vcc, s8, v11
	v_addc_co_u32_e32 v12, vcc, v1, v12, vcc
	v_add_u32_e32 v1, s23, v5
	v_lshlrev_b64 v[5:6], 3, v[1:2]
	v_mov_b32_e32 v1, s9
	v_add_co_u32_e32 v5, vcc, s8, v5
	v_addc_co_u32_e32 v6, vcc, v1, v6, vcc
	global_load_dwordx2 v[13:14], v[11:12], off
	global_load_dwordx2 v[15:16], v[5:6], off
	v_subrev_u32_e32 v1, s22, v7
	v_add_u32_e32 v11, v1, v0
	v_ashrrev_i32_e32 v12, 31, v11
	v_add_u32_e32 v1, s23, v11
	v_lshlrev_b64 v[11:12], 3, v[11:12]
	v_mov_b32_e32 v19, s11
	v_lshlrev_b64 v[17:18], 3, v[1:2]
	v_add_co_u32_e32 v11, vcc, s10, v11
	v_addc_co_u32_e32 v12, vcc, v19, v12, vcc
	v_mov_b32_e32 v20, s9
	v_add_co_u32_e32 v17, vcc, s8, v17
	v_addc_co_u32_e32 v18, vcc, v20, v18, vcc
	global_load_dwordx2 v[11:12], v[11:12], off
	s_waitcnt vmcnt(1)
	v_fma_f32 v15, -v3, v13, v15
	v_fma_f32 v1, -v4, v13, v16
	v_fmac_f32_e32 v15, v4, v14
	v_fma_f32 v16, -v3, v14, v1
	global_store_dwordx2 v[5:6], v[15:16], off
	global_load_dwordx2 v[3:4], v[17:18], off
                                        ; implicit-def: $vgpr5
	s_waitcnt vmcnt(0)
	v_fma_f32 v3, -v11, v13, v3
	v_fma_f32 v1, -v12, v13, v4
	v_fmac_f32_e32 v3, v12, v14
	v_fma_f32 v4, -v11, v14, v1
	global_store_dwordx2 v[17:18], v[3:4], off
                                        ; implicit-def: $vgpr3_vgpr4
.LBB242_27:                             ;   in Loop: Header=BB242_25 Depth=1
	s_or_saveexec_b64 s[2:3], s[2:3]
	v_mov_b32_e32 v1, s4
	s_xor_b64 exec, exec, s[2:3]
	s_cbranch_execz .LBB242_24
; %bb.28:                               ;   in Loop: Header=BB242_25 Depth=1
	v_add_u32_e32 v1, v8, v7
	v_lshlrev_b64 v[11:12], 3, v[1:2]
	v_mov_b32_e32 v1, s9
	v_add_co_u32_e32 v11, vcc, s8, v11
	v_addc_co_u32_e32 v12, vcc, v1, v12, vcc
	v_add_u32_e32 v1, s23, v5
	v_lshlrev_b64 v[5:6], 3, v[1:2]
	v_mov_b32_e32 v1, s9
	v_add_co_u32_e32 v5, vcc, s8, v5
	v_addc_co_u32_e32 v6, vcc, v1, v6, vcc
	global_load_dwordx2 v[13:14], v[11:12], off
	global_load_dwordx2 v[15:16], v[5:6], off
	s_waitcnt vmcnt(0)
	v_fma_f32 v11, -v3, v13, v15
	v_fma_f32 v1, -v4, v13, v16
	v_fmac_f32_e32 v11, v4, v14
	v_fma_f32 v12, -v3, v14, v1
	v_mov_b32_e32 v1, s22
	global_store_dwordx2 v[5:6], v[11:12], off
	s_branch .LBB242_24
.LBB242_29:
	s_endpgm
	.section	.rodata,"a",@progbits
	.p2align	6, 0x0
	.amdhsa_kernel _ZN9rocsparseL19gtsv_LBM_rhs_kernelILj256ELj64ELj1E21rocsparse_complex_numIfEEEviiiPKT2_S5_S5_PS3_S5_PKi
		.amdhsa_group_segment_fixed_size 0
		.amdhsa_private_segment_fixed_size 0
		.amdhsa_kernarg_size 64
		.amdhsa_user_sgpr_count 6
		.amdhsa_user_sgpr_private_segment_buffer 1
		.amdhsa_user_sgpr_dispatch_ptr 0
		.amdhsa_user_sgpr_queue_ptr 0
		.amdhsa_user_sgpr_kernarg_segment_ptr 1
		.amdhsa_user_sgpr_dispatch_id 0
		.amdhsa_user_sgpr_flat_scratch_init 0
		.amdhsa_user_sgpr_private_segment_size 0
		.amdhsa_uses_dynamic_stack 0
		.amdhsa_system_sgpr_private_segment_wavefront_offset 0
		.amdhsa_system_sgpr_workgroup_id_x 1
		.amdhsa_system_sgpr_workgroup_id_y 1
		.amdhsa_system_sgpr_workgroup_id_z 0
		.amdhsa_system_sgpr_workgroup_info 0
		.amdhsa_system_vgpr_workitem_id 0
		.amdhsa_next_free_vgpr 32
		.amdhsa_next_free_sgpr 28
		.amdhsa_reserve_vcc 1
		.amdhsa_reserve_flat_scratch 0
		.amdhsa_float_round_mode_32 0
		.amdhsa_float_round_mode_16_64 0
		.amdhsa_float_denorm_mode_32 3
		.amdhsa_float_denorm_mode_16_64 3
		.amdhsa_dx10_clamp 1
		.amdhsa_ieee_mode 1
		.amdhsa_fp16_overflow 0
		.amdhsa_exception_fp_ieee_invalid_op 0
		.amdhsa_exception_fp_denorm_src 0
		.amdhsa_exception_fp_ieee_div_zero 0
		.amdhsa_exception_fp_ieee_overflow 0
		.amdhsa_exception_fp_ieee_underflow 0
		.amdhsa_exception_fp_ieee_inexact 0
		.amdhsa_exception_int_div_zero 0
	.end_amdhsa_kernel
	.section	.text._ZN9rocsparseL19gtsv_LBM_rhs_kernelILj256ELj64ELj1E21rocsparse_complex_numIfEEEviiiPKT2_S5_S5_PS3_S5_PKi,"axG",@progbits,_ZN9rocsparseL19gtsv_LBM_rhs_kernelILj256ELj64ELj1E21rocsparse_complex_numIfEEEviiiPKT2_S5_S5_PS3_S5_PKi,comdat
.Lfunc_end242:
	.size	_ZN9rocsparseL19gtsv_LBM_rhs_kernelILj256ELj64ELj1E21rocsparse_complex_numIfEEEviiiPKT2_S5_S5_PS3_S5_PKi, .Lfunc_end242-_ZN9rocsparseL19gtsv_LBM_rhs_kernelILj256ELj64ELj1E21rocsparse_complex_numIfEEEviiiPKT2_S5_S5_PS3_S5_PKi
                                        ; -- End function
	.set _ZN9rocsparseL19gtsv_LBM_rhs_kernelILj256ELj64ELj1E21rocsparse_complex_numIfEEEviiiPKT2_S5_S5_PS3_S5_PKi.num_vgpr, 32
	.set _ZN9rocsparseL19gtsv_LBM_rhs_kernelILj256ELj64ELj1E21rocsparse_complex_numIfEEEviiiPKT2_S5_S5_PS3_S5_PKi.num_agpr, 0
	.set _ZN9rocsparseL19gtsv_LBM_rhs_kernelILj256ELj64ELj1E21rocsparse_complex_numIfEEEviiiPKT2_S5_S5_PS3_S5_PKi.numbered_sgpr, 28
	.set _ZN9rocsparseL19gtsv_LBM_rhs_kernelILj256ELj64ELj1E21rocsparse_complex_numIfEEEviiiPKT2_S5_S5_PS3_S5_PKi.num_named_barrier, 0
	.set _ZN9rocsparseL19gtsv_LBM_rhs_kernelILj256ELj64ELj1E21rocsparse_complex_numIfEEEviiiPKT2_S5_S5_PS3_S5_PKi.private_seg_size, 0
	.set _ZN9rocsparseL19gtsv_LBM_rhs_kernelILj256ELj64ELj1E21rocsparse_complex_numIfEEEviiiPKT2_S5_S5_PS3_S5_PKi.uses_vcc, 1
	.set _ZN9rocsparseL19gtsv_LBM_rhs_kernelILj256ELj64ELj1E21rocsparse_complex_numIfEEEviiiPKT2_S5_S5_PS3_S5_PKi.uses_flat_scratch, 0
	.set _ZN9rocsparseL19gtsv_LBM_rhs_kernelILj256ELj64ELj1E21rocsparse_complex_numIfEEEviiiPKT2_S5_S5_PS3_S5_PKi.has_dyn_sized_stack, 0
	.set _ZN9rocsparseL19gtsv_LBM_rhs_kernelILj256ELj64ELj1E21rocsparse_complex_numIfEEEviiiPKT2_S5_S5_PS3_S5_PKi.has_recursion, 0
	.set _ZN9rocsparseL19gtsv_LBM_rhs_kernelILj256ELj64ELj1E21rocsparse_complex_numIfEEEviiiPKT2_S5_S5_PS3_S5_PKi.has_indirect_call, 0
	.section	.AMDGPU.csdata,"",@progbits
; Kernel info:
; codeLenInByte = 2076
; TotalNumSgprs: 32
; NumVgprs: 32
; ScratchSize: 0
; MemoryBound: 0
; FloatMode: 240
; IeeeMode: 1
; LDSByteSize: 0 bytes/workgroup (compile time only)
; SGPRBlocks: 3
; VGPRBlocks: 7
; NumSGPRsForWavesPerEU: 32
; NumVGPRsForWavesPerEU: 32
; Occupancy: 8
; WaveLimiterHint : 0
; COMPUTE_PGM_RSRC2:SCRATCH_EN: 0
; COMPUTE_PGM_RSRC2:USER_SGPR: 6
; COMPUTE_PGM_RSRC2:TRAP_HANDLER: 0
; COMPUTE_PGM_RSRC2:TGID_X_EN: 1
; COMPUTE_PGM_RSRC2:TGID_Y_EN: 1
; COMPUTE_PGM_RSRC2:TGID_Z_EN: 0
; COMPUTE_PGM_RSRC2:TIDIG_COMP_CNT: 0
	.section	.text._ZN9rocsparseL29gtsv_spike_block_level_kernelILj256ELj64E21rocsparse_complex_numIfEEEviiiPT1_PKS3_S6_S4_S4_S4_S4_S4_,"axG",@progbits,_ZN9rocsparseL29gtsv_spike_block_level_kernelILj256ELj64E21rocsparse_complex_numIfEEEviiiPT1_PKS3_S6_S4_S4_S4_S4_S4_,comdat
	.globl	_ZN9rocsparseL29gtsv_spike_block_level_kernelILj256ELj64E21rocsparse_complex_numIfEEEviiiPT1_PKS3_S6_S4_S4_S4_S4_S4_ ; -- Begin function _ZN9rocsparseL29gtsv_spike_block_level_kernelILj256ELj64E21rocsparse_complex_numIfEEEviiiPT1_PKS3_S6_S4_S4_S4_S4_S4_
	.p2align	8
	.type	_ZN9rocsparseL29gtsv_spike_block_level_kernelILj256ELj64E21rocsparse_complex_numIfEEEviiiPT1_PKS3_S6_S4_S4_S4_S4_S4_,@function
_ZN9rocsparseL29gtsv_spike_block_level_kernelILj256ELj64E21rocsparse_complex_numIfEEEviiiPT1_PKS3_S6_S4_S4_S4_S4_S4_: ; @_ZN9rocsparseL29gtsv_spike_block_level_kernelILj256ELj64E21rocsparse_complex_numIfEEEviiiPT1_PKS3_S6_S4_S4_S4_S4_S4_
; %bb.0:
	s_load_dword s12, s[4:5], 0x0
	s_load_dwordx2 s[8:9], s[4:5], 0x18
	v_lshl_or_b32 v1, s6, 8, v0
	v_mov_b32_e32 v3, 0
	v_mov_b32_e32 v4, 0
	s_waitcnt lgkmcnt(0)
	s_lshr_b32 s20, s12, 6
	v_cmp_gt_i32_e64 s[0:1], s20, v1
	v_mov_b32_e32 v5, 0
	s_and_saveexec_b64 s[2:3], s[0:1]
	s_cbranch_execz .LBB243_2
; %bb.1:
	v_ashrrev_i32_e32 v2, 31, v1
	v_lshlrev_b64 v[4:5], 3, v[1:2]
	v_mov_b32_e32 v2, s9
	v_add_co_u32_e32 v4, vcc, s8, v4
	v_addc_co_u32_e32 v5, vcc, v2, v5, vcc
	global_load_dwordx2 v[4:5], v[4:5], off
.LBB243_2:
	s_or_b64 exec, exec, s[2:3]
	s_load_dwordx2 s[2:3], s[4:5], 0x20
	v_lshlrev_b32_e32 v8, 3, v0
	v_or_b32_e32 v9, 0x1000, v8
	s_waitcnt vmcnt(0)
	ds_write_b64 v8, v[4:5] offset:4096
	v_mov_b32_e32 v4, 0
	s_and_saveexec_b64 s[10:11], s[0:1]
	s_cbranch_execz .LBB243_4
; %bb.3:
	v_mad_u64_u32 v[2:3], s[14:15], s20, 63, v[1:2]
	v_mov_b32_e32 v3, 0
	v_mov_b32_e32 v4, s9
	v_lshlrev_b64 v[2:3], 3, v[2:3]
	v_add_co_u32_e32 v2, vcc, s8, v2
	v_addc_co_u32_e32 v3, vcc, v4, v3, vcc
	global_load_dwordx2 v[3:4], v[2:3], off
.LBB243_4:
	s_or_b64 exec, exec, s[10:11]
	s_waitcnt vmcnt(0)
	ds_write_b64 v9, v[3:4] offset:2048
	v_mov_b32_e32 v3, 0
	v_mov_b32_e32 v4, 0
	;; [unrolled: 1-line block ×3, first 2 shown]
	s_and_saveexec_b64 s[8:9], s[0:1]
	s_cbranch_execz .LBB243_6
; %bb.5:
	v_ashrrev_i32_e32 v2, 31, v1
	v_lshlrev_b64 v[4:5], 3, v[1:2]
	s_waitcnt lgkmcnt(0)
	v_mov_b32_e32 v2, s3
	v_add_co_u32_e32 v4, vcc, s2, v4
	v_addc_co_u32_e32 v5, vcc, v2, v5, vcc
	global_load_dwordx2 v[4:5], v[4:5], off
.LBB243_6:
	s_or_b64 exec, exec, s[8:9]
	s_load_dwordx2 s[16:17], s[4:5], 0x10
	s_waitcnt vmcnt(0)
	ds_write_b64 v8, v[4:5]
	v_mov_b32_e32 v4, 0
	s_and_saveexec_b64 s[8:9], s[0:1]
	s_cbranch_execz .LBB243_8
; %bb.7:
	v_mad_u64_u32 v[2:3], s[10:11], s20, 63, v[1:2]
	v_mov_b32_e32 v3, 0
	s_waitcnt lgkmcnt(0)
	v_mov_b32_e32 v4, s3
	v_lshlrev_b64 v[2:3], 3, v[2:3]
	v_add_co_u32_e32 v2, vcc, s2, v2
	v_addc_co_u32_e32 v3, vcc, v4, v3, vcc
	global_load_dwordx2 v[3:4], v[2:3], off
.LBB243_8:
	s_or_b64 exec, exec, s[8:9]
	s_mul_i32 s22, s12, s7
	s_waitcnt vmcnt(0)
	ds_write_b64 v8, v[3:4] offset:2048
	v_mov_b32_e32 v5, 0
	v_add_u32_e32 v3, s22, v1
	v_mov_b32_e32 v6, 0
	v_mov_b32_e32 v7, 0
	s_waitcnt lgkmcnt(0)
	s_and_saveexec_b64 s[2:3], s[0:1]
	s_cbranch_execz .LBB243_10
; %bb.9:
	v_ashrrev_i32_e32 v4, 31, v3
	v_lshlrev_b64 v[6:7], 3, v[3:4]
	v_mov_b32_e32 v2, s17
	v_add_co_u32_e32 v6, vcc, s16, v6
	v_addc_co_u32_e32 v7, vcc, v2, v7, vcc
	global_load_dwordx2 v[6:7], v[6:7], off
.LBB243_10:
	s_or_b64 exec, exec, s[2:3]
	s_load_dwordx2 s[2:3], s[4:5], 0x48
	s_load_dwordx8 s[8:15], s[4:5], 0x28
	v_or_b32_e32 v10, 0x2000, v8
	s_waitcnt vmcnt(0)
	ds_write_b64 v8, v[6:7] offset:8192
	s_mul_i32 s21, s20, 63
	v_mov_b32_e32 v6, 0
	s_and_saveexec_b64 s[18:19], s[0:1]
	s_cbranch_execz .LBB243_12
; %bb.11:
	s_mul_i32 s23, s20, 63
	s_add_i32 s23, s23, s22
	v_add_u32_e32 v4, s23, v1
	v_mov_b32_e32 v5, 0
	v_lshlrev_b64 v[4:5], 3, v[4:5]
	v_mov_b32_e32 v2, s17
	v_add_co_u32_e32 v4, vcc, s16, v4
	v_addc_co_u32_e32 v5, vcc, v2, v5, vcc
	global_load_dwordx2 v[5:6], v[4:5], off
.LBB243_12:
	s_or_b64 exec, exec, s[18:19]
	s_mov_b32 s22, 2
	s_waitcnt vmcnt(0)
	ds_write_b64 v10, v[5:6] offset:2048
	s_waitcnt lgkmcnt(0)
	s_barrier
	s_branch .LBB243_14
.LBB243_13:                             ;   in Loop: Header=BB243_14 Depth=1
	s_or_b64 exec, exec, s[18:19]
	s_lshl_b32 s18, s22, 1
	s_cmpk_lt_u32 s22, 0x81
	s_mov_b32 s22, s18
	s_waitcnt lgkmcnt(0)
	s_barrier
	s_cbranch_scc0 .LBB243_16
.LBB243_14:                             ; =>This Inner Loop Header: Depth=1
	s_ff1_i32_b32 s18, s22
	s_lshr_b32 s18, 0x100, s18
	v_cmp_gt_u32_e32 vcc, s18, v0
	s_and_saveexec_b64 s[18:19], vcc
	s_cbranch_execz .LBB243_13
; %bb.15:                               ;   in Loop: Header=BB243_14 Depth=1
	v_mul_lo_u32 v2, s22, v0
	s_lshr_b32 s23, s22, 1
	v_add_u32_e32 v15, s23, v2
	v_lshlrev_b32_e32 v23, 3, v15
	v_add_u32_e32 v24, 0x1000, v23
	ds_read2_b64 v[4:7], v23 offset1:255
	ds_read2_b64 v[11:14], v24 offset1:255
	v_add_u32_e32 v30, 0x2000, v23
	v_add_lshl_u32 v29, v15, s23, 3
	v_lshlrev_b32_e32 v2, 3, v2
	ds_read_b64 v[19:20], v2
	s_waitcnt lgkmcnt(1)
	v_mul_f32_e64 v16, v7, -v12
	v_mul_f32_e32 v21, v7, v11
	v_fmac_f32_e32 v16, v11, v6
	v_fmac_f32_e32 v21, v12, v6
	v_sub_f32_e32 v22, 1.0, v16
	v_mul_f32_e64 v25, -v21, -v21
	v_fmac_f32_e32 v25, v22, v22
	v_div_scale_f32 v26, s[24:25], v25, v25, 1.0
	v_div_scale_f32 v27, vcc, 1.0, v25, 1.0
	ds_read2_b64 v[15:18], v30 offset1:255
	v_sub_f32_e32 v21, 0, v21
	v_rcp_f32_e32 v28, v26
	v_fma_f32 v31, -v26, v28, 1.0
	v_fmac_f32_e32 v28, v31, v28
	v_mul_f32_e32 v31, v27, v28
	v_fma_f32 v32, -v26, v31, v27
	v_fmac_f32_e32 v31, v32, v28
	v_fma_f32 v26, -v26, v31, v27
	v_div_fmas_f32 v26, v26, v28, v31
	s_waitcnt lgkmcnt(0)
	v_mul_f32_e64 v27, v16, -v7
	v_mul_f32_e32 v32, v12, v17
	v_mul_f32_e32 v28, v16, v6
	v_mul_f32_e64 v31, v12, -v18
	v_fmac_f32_e32 v27, v6, v15
	v_fmac_f32_e32 v32, v18, v11
	;; [unrolled: 1-line block ×4, first 2 shown]
	v_sub_f32_e32 v27, v17, v27
	v_sub_f32_e32 v32, v16, v32
	v_fma_f32 v16, v22, 0, -v21
	v_sub_f32_e32 v28, v18, v28
	v_sub_f32_e32 v31, v15, v31
	v_fma_f32 v15, 0, v21, v22
	v_div_fixup_f32 v17, v26, v25, 1.0
	v_mul_f32_e32 v26, v16, v17
	v_mul_f32_e32 v25, v15, v17
	v_mul_f32_e64 v15, v26, -v28
	v_mul_f32_e32 v16, v26, v27
	v_mul_f32_e64 v17, v26, -v32
	v_mul_f32_e32 v18, v26, v31
	v_fmac_f32_e32 v15, v27, v25
	v_fmac_f32_e32 v16, v28, v25
	;; [unrolled: 1-line block ×4, first 2 shown]
	ds_write2_b64 v30, v[17:18], v[15:16] offset1:255
	v_mul_f32_e64 v27, v18, -v20
	v_mul_f32_e32 v28, v18, v19
	v_mul_f32_e32 v18, v5, v6
	v_fmac_f32_e32 v27, v19, v17
	v_fmac_f32_e32 v28, v20, v17
	v_mul_f32_e64 v17, v5, -v7
	v_fmac_f32_e32 v18, v7, v4
	v_fmac_f32_e32 v17, v6, v4
	v_mul_f32_e32 v6, v26, v18
	v_mul_f32_e64 v7, v18, -v25
	v_fma_f32 v6, -v25, v17, v6
	v_fma_f32 v7, -v26, v17, v7
	v_mul_f32_e64 v17, v5, -v26
	v_mul_f32_e32 v18, v25, v5
	v_mul_f32_e32 v5, v12, v13
	v_fmac_f32_e32 v17, v25, v4
	v_fmac_f32_e32 v18, v26, v4
	v_mul_f32_e64 v4, v12, -v14
	v_fmac_f32_e32 v5, v14, v11
	ds_read_b64 v[15:16], v2 offset:8192
	ds_read_b64 v[21:22], v29 offset:6136
	ds_write2_b64 v23, v[17:18], v[6:7] offset1:255
	v_fmac_f32_e32 v4, v13, v11
	v_mul_f32_e32 v6, v26, v5
	v_mul_f32_e64 v5, v5, -v25
	v_fma_f32 v11, -v25, v4, v6
	v_fma_f32 v12, -v26, v4, v5
	v_mul_f32_e64 v4, v14, -v26
	v_mul_f32_e32 v5, v25, v14
	v_fmac_f32_e32 v4, v25, v13
	v_fmac_f32_e32 v5, v26, v13
	ds_write2_b64 v24, v[11:12], v[4:5] offset1:255
	ds_read2st64_b64 v[4:7], v2 offset1:8
	s_waitcnt lgkmcnt(4)
	v_sub_f32_e32 v13, v15, v27
	v_sub_f32_e32 v14, v16, v28
	ds_write_b64 v2, v[13:14] offset:8192
	ds_read_b64 v[13:14], v23 offset:10232
	s_waitcnt lgkmcnt(2)
	v_mul_f32_e64 v15, v12, -v5
	v_mul_f32_e32 v12, v12, v4
	v_fmac_f32_e32 v15, v4, v11
	v_fmac_f32_e32 v12, v5, v11
	v_mul_f32_e32 v11, v18, v5
	v_fma_f32 v11, -v4, v17, v11
	v_mul_f32_e64 v4, v18, -v4
	v_sub_f32_e32 v6, v6, v15
	v_sub_f32_e32 v7, v7, v12
	v_fma_f32 v12, -v5, v17, v4
	ds_write2st64_b64 v2, v[11:12], v[6:7] offset1:8
	ds_read_b64 v[4:5], v23 offset:2040
	ds_read_b64 v[6:7], v29 offset:2040
	;; [unrolled: 1-line block ×5, first 2 shown]
	s_waitcnt lgkmcnt(6)
	v_mul_f32_e64 v2, v14, -v22
	v_fmac_f32_e32 v2, v21, v13
	v_mul_f32_e32 v14, v14, v21
	v_fmac_f32_e32 v14, v22, v13
	s_waitcnt lgkmcnt(1)
	v_sub_f32_e32 v13, v15, v2
	s_waitcnt lgkmcnt(0)
	v_mul_f32_e64 v2, v18, -v5
	v_sub_f32_e32 v14, v16, v14
	v_fmac_f32_e32 v2, v4, v17
	ds_write_b64 v29, v[13:14] offset:10232
	v_mul_f32_e32 v13, v18, v4
	v_sub_f32_e32 v4, v6, v2
	v_mul_f32_e32 v2, v18, v12
	v_fmac_f32_e32 v13, v5, v17
	v_fma_f32 v6, -v17, v11, v2
	v_mul_f32_e64 v2, v12, -v17
	v_sub_f32_e32 v5, v7, v13
	v_fma_f32 v7, -v18, v11, v2
	v_add_u32_e32 v2, 0x1f8, v29
	ds_write2st64_b64 v2, v[4:5], v[6:7] offset0:3 offset1:11
	s_branch .LBB243_13
.LBB243_16:
	s_and_saveexec_b64 s[18:19], s[0:1]
	s_cbranch_execnz .LBB243_19
; %bb.17:
	s_or_b64 exec, exec, s[18:19]
	v_cmp_eq_u32_e32 vcc, 0, v0
	s_and_saveexec_b64 s[0:1], vcc
	s_cbranch_execnz .LBB243_23
.LBB243_18:
	s_endpgm
.LBB243_19:
	s_cmp_eq_u32 s7, 0
	s_cbranch_scc1 .LBB243_27
; %bb.20:
	s_mul_i32 s20, s20, 63
	s_cbranch_execnz .LBB243_22
.LBB243_21:
	v_ashrrev_i32_e32 v2, 31, v1
	v_lshlrev_b64 v[11:12], 3, v[1:2]
	ds_read2st64_b64 v[4:7], v9 offset1:4
	v_mov_b32_e32 v2, s9
	v_add_co_u32_e32 v13, vcc, s8, v11
	v_addc_co_u32_e32 v14, vcc, v2, v12, vcc
	v_add_u32_e32 v1, s21, v1
	v_mov_b32_e32 v2, 0
	v_lshlrev_b64 v[1:2], 3, v[1:2]
	s_waitcnt lgkmcnt(0)
	global_store_dwordx2 v[13:14], v[4:5], off
	v_mov_b32_e32 v5, s9
	v_add_co_u32_e32 v4, vcc, s8, v1
	v_addc_co_u32_e32 v5, vcc, v5, v2, vcc
	global_store_dwordx2 v[4:5], v[6:7], off
	ds_read2st64_b64 v[4:7], v8 offset1:4
	v_mov_b32_e32 v9, s11
	v_add_co_u32_e32 v8, vcc, s10, v11
	v_addc_co_u32_e32 v9, vcc, v9, v12, vcc
	s_waitcnt lgkmcnt(0)
	global_store_dwordx2 v[8:9], v[4:5], off
	v_mov_b32_e32 v4, s11
	v_add_co_u32_e32 v1, vcc, s10, v1
	v_addc_co_u32_e32 v2, vcc, v4, v2, vcc
	s_mov_b32 s20, s21
	global_store_dwordx2 v[1:2], v[6:7], off
.LBB243_22:
	v_ashrrev_i32_e32 v4, 31, v3
	v_lshlrev_b64 v[1:2], 3, v[3:4]
	ds_read2st64_b64 v[4:7], v10 offset1:4
	v_mov_b32_e32 v8, s17
	v_add_co_u32_e32 v1, vcc, s16, v1
	v_addc_co_u32_e32 v2, vcc, v8, v2, vcc
	s_waitcnt lgkmcnt(0)
	global_store_dwordx2 v[1:2], v[4:5], off
	v_add_u32_e32 v1, s20, v3
	v_mov_b32_e32 v2, 0
	v_lshlrev_b64 v[1:2], 3, v[1:2]
	v_mov_b32_e32 v3, s17
	v_add_co_u32_e32 v1, vcc, s16, v1
	v_addc_co_u32_e32 v2, vcc, v3, v2, vcc
	global_store_dwordx2 v[1:2], v[6:7], off
	s_or_b64 exec, exec, s[18:19]
	v_cmp_eq_u32_e32 vcc, 0, v0
	s_and_saveexec_b64 s[0:1], vcc
	s_cbranch_execz .LBB243_18
.LBB243_23:
	s_cmp_eq_u32 s7, 0
	s_cbranch_scc1 .LBB243_28
; %bb.24:
	s_load_dword s8, s[4:5], 0x50
	s_cbranch_execnz .LBB243_26
.LBB243_25:
	v_mov_b32_e32 v0, 0xff8
	ds_read2_b64 v[0:3], v0 offset1:1
	s_mov_b32 s0, s7
	s_ashr_i32 s7, s6, 31
	s_waitcnt lgkmcnt(0)
	s_load_dword s8, s[4:5], 0x50
	s_lshl_b64 s[10:11], s[6:7], 3
	s_mov_b32 s7, s0
	s_add_u32 s0, s14, s10
	s_addc_u32 s1, s15, s11
	v_mov_b32_e32 v6, 0
	ds_read_b64 v[4:5], v6
	global_store_dwordx2 v6, v[2:3], s[0:1]
	ds_read_b64 v[2:3], v6 offset:8184
	s_waitcnt lgkmcnt(0)
	s_add_i32 s0, s8, s6
	s_mov_b32 s1, 0
	s_lshl_b64 s[0:1], s[0:1], 3
	s_add_u32 s4, s14, s0
	s_addc_u32 s5, s15, s1
	global_store_dwordx2 v6, v[2:3], s[4:5]
	s_add_u32 s4, s2, s10
	s_addc_u32 s5, s3, s11
	s_add_u32 s0, s2, s0
	s_addc_u32 s1, s3, s1
	global_store_dwordx2 v6, v[4:5], s[4:5]
	global_store_dwordx2 v6, v[0:1], s[0:1]
.LBB243_26:
	s_waitcnt lgkmcnt(0)
	s_mul_i32 s0, s8, s7
	s_lshl_b32 s0, s0, 1
	s_add_i32 s0, s0, s6
	s_mov_b32 s1, 0
	v_mov_b32_e32 v4, 0
	s_lshl_b64 s[2:3], s[0:1], 3
	ds_read_b64 v[0:1], v4 offset:8192
	ds_read_b64 v[2:3], v4 offset:12280
	s_add_u32 s2, s12, s2
	s_addc_u32 s3, s13, s3
	s_add_i32 s0, s0, s8
	s_lshl_b64 s[0:1], s[0:1], 3
	s_add_u32 s0, s12, s0
	s_addc_u32 s1, s13, s1
	s_waitcnt lgkmcnt(1)
	global_store_dwordx2 v4, v[0:1], s[2:3]
	s_waitcnt lgkmcnt(0)
	global_store_dwordx2 v4, v[2:3], s[0:1]
	s_endpgm
.LBB243_27:
                                        ; implicit-def: $sgpr20
	s_branch .LBB243_21
.LBB243_28:
                                        ; implicit-def: $sgpr8
	s_branch .LBB243_25
	.section	.rodata,"a",@progbits
	.p2align	6, 0x0
	.amdhsa_kernel _ZN9rocsparseL29gtsv_spike_block_level_kernelILj256ELj64E21rocsparse_complex_numIfEEEviiiPT1_PKS3_S6_S4_S4_S4_S4_S4_
		.amdhsa_group_segment_fixed_size 12288
		.amdhsa_private_segment_fixed_size 0
		.amdhsa_kernarg_size 336
		.amdhsa_user_sgpr_count 6
		.amdhsa_user_sgpr_private_segment_buffer 1
		.amdhsa_user_sgpr_dispatch_ptr 0
		.amdhsa_user_sgpr_queue_ptr 0
		.amdhsa_user_sgpr_kernarg_segment_ptr 1
		.amdhsa_user_sgpr_dispatch_id 0
		.amdhsa_user_sgpr_flat_scratch_init 0
		.amdhsa_user_sgpr_private_segment_size 0
		.amdhsa_uses_dynamic_stack 0
		.amdhsa_system_sgpr_private_segment_wavefront_offset 0
		.amdhsa_system_sgpr_workgroup_id_x 1
		.amdhsa_system_sgpr_workgroup_id_y 1
		.amdhsa_system_sgpr_workgroup_id_z 0
		.amdhsa_system_sgpr_workgroup_info 0
		.amdhsa_system_vgpr_workitem_id 0
		.amdhsa_next_free_vgpr 41
		.amdhsa_next_free_sgpr 98
		.amdhsa_reserve_vcc 1
		.amdhsa_reserve_flat_scratch 0
		.amdhsa_float_round_mode_32 0
		.amdhsa_float_round_mode_16_64 0
		.amdhsa_float_denorm_mode_32 3
		.amdhsa_float_denorm_mode_16_64 3
		.amdhsa_dx10_clamp 1
		.amdhsa_ieee_mode 1
		.amdhsa_fp16_overflow 0
		.amdhsa_exception_fp_ieee_invalid_op 0
		.amdhsa_exception_fp_denorm_src 0
		.amdhsa_exception_fp_ieee_div_zero 0
		.amdhsa_exception_fp_ieee_overflow 0
		.amdhsa_exception_fp_ieee_underflow 0
		.amdhsa_exception_fp_ieee_inexact 0
		.amdhsa_exception_int_div_zero 0
	.end_amdhsa_kernel
	.section	.text._ZN9rocsparseL29gtsv_spike_block_level_kernelILj256ELj64E21rocsparse_complex_numIfEEEviiiPT1_PKS3_S6_S4_S4_S4_S4_S4_,"axG",@progbits,_ZN9rocsparseL29gtsv_spike_block_level_kernelILj256ELj64E21rocsparse_complex_numIfEEEviiiPT1_PKS3_S6_S4_S4_S4_S4_S4_,comdat
.Lfunc_end243:
	.size	_ZN9rocsparseL29gtsv_spike_block_level_kernelILj256ELj64E21rocsparse_complex_numIfEEEviiiPT1_PKS3_S6_S4_S4_S4_S4_S4_, .Lfunc_end243-_ZN9rocsparseL29gtsv_spike_block_level_kernelILj256ELj64E21rocsparse_complex_numIfEEEviiiPT1_PKS3_S6_S4_S4_S4_S4_S4_
                                        ; -- End function
	.set _ZN9rocsparseL29gtsv_spike_block_level_kernelILj256ELj64E21rocsparse_complex_numIfEEEviiiPT1_PKS3_S6_S4_S4_S4_S4_S4_.num_vgpr, 33
	.set _ZN9rocsparseL29gtsv_spike_block_level_kernelILj256ELj64E21rocsparse_complex_numIfEEEviiiPT1_PKS3_S6_S4_S4_S4_S4_S4_.num_agpr, 0
	.set _ZN9rocsparseL29gtsv_spike_block_level_kernelILj256ELj64E21rocsparse_complex_numIfEEEviiiPT1_PKS3_S6_S4_S4_S4_S4_S4_.numbered_sgpr, 26
	.set _ZN9rocsparseL29gtsv_spike_block_level_kernelILj256ELj64E21rocsparse_complex_numIfEEEviiiPT1_PKS3_S6_S4_S4_S4_S4_S4_.num_named_barrier, 0
	.set _ZN9rocsparseL29gtsv_spike_block_level_kernelILj256ELj64E21rocsparse_complex_numIfEEEviiiPT1_PKS3_S6_S4_S4_S4_S4_S4_.private_seg_size, 0
	.set _ZN9rocsparseL29gtsv_spike_block_level_kernelILj256ELj64E21rocsparse_complex_numIfEEEviiiPT1_PKS3_S6_S4_S4_S4_S4_S4_.uses_vcc, 1
	.set _ZN9rocsparseL29gtsv_spike_block_level_kernelILj256ELj64E21rocsparse_complex_numIfEEEviiiPT1_PKS3_S6_S4_S4_S4_S4_S4_.uses_flat_scratch, 0
	.set _ZN9rocsparseL29gtsv_spike_block_level_kernelILj256ELj64E21rocsparse_complex_numIfEEEviiiPT1_PKS3_S6_S4_S4_S4_S4_S4_.has_dyn_sized_stack, 0
	.set _ZN9rocsparseL29gtsv_spike_block_level_kernelILj256ELj64E21rocsparse_complex_numIfEEEviiiPT1_PKS3_S6_S4_S4_S4_S4_S4_.has_recursion, 0
	.set _ZN9rocsparseL29gtsv_spike_block_level_kernelILj256ELj64E21rocsparse_complex_numIfEEEviiiPT1_PKS3_S6_S4_S4_S4_S4_S4_.has_indirect_call, 0
	.section	.AMDGPU.csdata,"",@progbits
; Kernel info:
; codeLenInByte = 1924
; TotalNumSgprs: 30
; NumVgprs: 33
; ScratchSize: 0
; MemoryBound: 0
; FloatMode: 240
; IeeeMode: 1
; LDSByteSize: 12288 bytes/workgroup (compile time only)
; SGPRBlocks: 12
; VGPRBlocks: 10
; NumSGPRsForWavesPerEU: 102
; NumVGPRsForWavesPerEU: 41
; Occupancy: 5
; WaveLimiterHint : 0
; COMPUTE_PGM_RSRC2:SCRATCH_EN: 0
; COMPUTE_PGM_RSRC2:USER_SGPR: 6
; COMPUTE_PGM_RSRC2:TRAP_HANDLER: 0
; COMPUTE_PGM_RSRC2:TGID_X_EN: 1
; COMPUTE_PGM_RSRC2:TGID_Y_EN: 1
; COMPUTE_PGM_RSRC2:TGID_Z_EN: 0
; COMPUTE_PGM_RSRC2:TIDIG_COMP_CNT: 0
	.section	.text._ZN9rocsparseL33gtsv_solve_spike_propagate_kernelILj256ELj64E21rocsparse_complex_numIfEEEviiiPT1_PKS3_S6_S6_,"axG",@progbits,_ZN9rocsparseL33gtsv_solve_spike_propagate_kernelILj256ELj64E21rocsparse_complex_numIfEEEviiiPT1_PKS3_S6_S6_,comdat
	.globl	_ZN9rocsparseL33gtsv_solve_spike_propagate_kernelILj256ELj64E21rocsparse_complex_numIfEEEviiiPT1_PKS3_S6_S6_ ; -- Begin function _ZN9rocsparseL33gtsv_solve_spike_propagate_kernelILj256ELj64E21rocsparse_complex_numIfEEEviiiPT1_PKS3_S6_S6_
	.p2align	8
	.type	_ZN9rocsparseL33gtsv_solve_spike_propagate_kernelILj256ELj64E21rocsparse_complex_numIfEEEviiiPT1_PKS3_S6_S6_,@function
_ZN9rocsparseL33gtsv_solve_spike_propagate_kernelILj256ELj64E21rocsparse_complex_numIfEEEviiiPT1_PKS3_S6_S6_: ; @_ZN9rocsparseL33gtsv_solve_spike_propagate_kernelILj256ELj64E21rocsparse_complex_numIfEEEviiiPT1_PKS3_S6_S6_
; %bb.0:
	s_load_dword s10, s[4:5], 0x0
	v_lshl_or_b32 v1, s6, 8, v0
	v_lshlrev_b32_e32 v6, 3, v0
	s_waitcnt lgkmcnt(0)
	s_lshr_b32 s14, s10, 6
	v_cmp_gt_i32_e32 vcc, s14, v1
	v_cmp_le_i32_e64 s[0:1], s14, v1
	s_and_saveexec_b64 s[2:3], s[0:1]
	s_xor_b64 s[2:3], exec, s[2:3]
; %bb.1:
	v_mov_b32_e32 v2, 0
	v_mov_b32_e32 v3, v2
	ds_write_b64 v6, v[2:3] offset:8208
; %bb.2:
	s_or_saveexec_b64 s[8:9], s[2:3]
	v_mov_b32_e32 v3, 0
	v_ashrrev_i32_e32 v2, 31, v1
	v_mov_b32_e32 v4, 0
	s_xor_b64 exec, exec, s[8:9]
	s_cbranch_execz .LBB244_4
; %bb.3:
	s_load_dwordx2 s[12:13], s[4:5], 0x18
	v_mad_u64_u32 v[7:8], s[2:3], s14, 63, v[1:2]
	v_lshlrev_b64 v[3:4], 3, v[1:2]
	v_mov_b32_e32 v8, 0
	s_waitcnt lgkmcnt(0)
	v_mov_b32_e32 v5, s13
	v_add_co_u32_e64 v9, s[2:3], s12, v3
	v_addc_co_u32_e64 v10, s[2:3], v5, v4, s[2:3]
	v_lshlrev_b64 v[3:4], 3, v[7:8]
	v_add_co_u32_e64 v7, s[2:3], s12, v3
	v_addc_co_u32_e64 v8, s[2:3], v5, v4, s[2:3]
	global_load_dwordx2 v[11:12], v[9:10], off
	global_load_dwordx2 v[3:4], v[7:8], off
	s_waitcnt vmcnt(1)
	ds_write_b64 v6, v[11:12] offset:8208
.LBB244_4:
	s_or_b64 exec, exec, s[8:9]
	s_load_dwordx2 s[2:3], s[4:5], 0x10
	s_waitcnt vmcnt(0)
	ds_write_b64 v6, v[3:4] offset:10256
	s_and_saveexec_b64 s[8:9], s[0:1]
	s_xor_b64 s[0:1], exec, s[8:9]
	s_cbranch_execz .LBB244_6
; %bb.5:
	s_mov_b32 s8, 0
	s_mov_b32 s9, s8
	v_mov_b32_e32 v2, s8
	v_mov_b32_e32 v3, s9
	v_add_u32_e32 v4, 16, v6
	ds_write2st64_b64 v4, v[2:3], v[2:3] offset0:8 offset1:12
.LBB244_6:
	s_or_saveexec_b64 s[8:9], s[0:1]
	v_mov_b32_e32 v3, 0
	s_mul_i32 s10, s10, s7
	v_mov_b32_e32 v5, 0
	v_mov_b32_e32 v4, 0
	s_xor_b64 exec, exec, s[8:9]
	s_cbranch_execz .LBB244_8
; %bb.7:
	s_load_dwordx2 s[12:13], s[4:5], 0x20
	v_mad_u64_u32 v[7:8], s[0:1], s14, 63, v[1:2]
	v_lshlrev_b64 v[4:5], 3, v[1:2]
	v_mov_b32_e32 v8, 0
	s_waitcnt lgkmcnt(0)
	v_mov_b32_e32 v2, s13
	v_add_co_u32_e64 v4, s[0:1], s12, v4
	v_lshlrev_b64 v[9:10], 3, v[7:8]
	v_addc_co_u32_e64 v5, s[0:1], v2, v5, s[0:1]
	v_add_co_u32_e64 v9, s[0:1], s12, v9
	v_add_u32_e32 v7, s10, v7
	v_addc_co_u32_e64 v10, s[0:1], v2, v10, s[0:1]
	global_load_dwordx2 v[11:12], v[4:5], off
	global_load_dwordx2 v[13:14], v[9:10], off
	v_lshlrev_b64 v[4:5], 3, v[7:8]
	v_mov_b32_e32 v2, s3
	v_add_co_u32_e64 v4, s[0:1], s2, v4
	v_addc_co_u32_e64 v5, s[0:1], v2, v5, s[0:1]
	global_load_dwordx2 v[4:5], v[4:5], off
	v_add_u32_e32 v2, 16, v6
	s_waitcnt vmcnt(1)
	ds_write2st64_b64 v2, v[11:12], v[13:14] offset0:8 offset1:12
.LBB244_8:
	s_or_b64 exec, exec, s[8:9]
	v_add_u32_e32 v1, s10, v1
	v_mov_b32_e32 v2, 0
	s_waitcnt vmcnt(0)
	ds_write_b64 v6, v[4:5] offset:8
	s_and_saveexec_b64 s[8:9], vcc
	s_cbranch_execz .LBB244_10
; %bb.9:
	v_ashrrev_i32_e32 v2, 31, v1
	v_lshlrev_b64 v[2:3], 3, v[1:2]
	s_waitcnt lgkmcnt(0)
	v_mov_b32_e32 v4, s3
	v_add_co_u32_e64 v2, s[0:1], s2, v2
	v_addc_co_u32_e64 v3, s[0:1], v4, v3, s[0:1]
	global_load_dwordx2 v[2:3], v[2:3], off
.LBB244_10:
	s_or_b64 exec, exec, s[8:9]
	s_mov_b32 s13, 0
	v_cmp_eq_u32_e64 s[0:1], 0, v0
	s_waitcnt vmcnt(0)
	ds_write_b64 v6, v[2:3] offset:2056
	s_waitcnt lgkmcnt(0)
	s_barrier
	s_and_saveexec_b64 s[8:9], s[0:1]
	s_cbranch_execz .LBB244_16
; %bb.11:
	s_load_dword s15, s[4:5], 0x30
	s_load_dwordx2 s[10:11], s[4:5], 0x28
	s_cmp_lt_i32 s6, 1
	s_mov_b32 s12, 0
	s_waitcnt lgkmcnt(0)
	s_mul_i32 s7, s7, s15
	s_cbranch_scc1 .LBB244_13
; %bb.12:
	s_lshl_b32 s4, s7, 1
	s_add_i32 s5, s6, s15
	s_add_i32 s4, s5, s4
	s_add_i32 s4, s4, -1
	s_mov_b32 s5, 0
	s_lshl_b64 s[4:5], s[4:5], 3
	s_add_u32 s4, s10, s4
	s_addc_u32 s5, s11, s5
	s_load_dwordx2 s[12:13], s[4:5], 0x0
.LBB244_13:
	s_add_i32 s4, s15, -1
	s_waitcnt lgkmcnt(0)
	v_mov_b32_e32 v3, s12
	v_mov_b32_e32 v4, s13
	;; [unrolled: 1-line block ×3, first 2 shown]
	s_mov_b32 s5, 0
	s_cmp_ge_u32 s6, s4
	s_mov_b32 s13, 0
	s_mov_b32 s12, 0
	ds_write_b64 v2, v[3:4]
	s_cbranch_scc1 .LBB244_15
; %bb.14:
	s_lshl_b32 s4, s7, 1
	s_add_i32 s4, s6, s4
	s_add_i32 s12, s4, 1
	s_lshl_b64 s[12:13], s[12:13], 3
	s_add_u32 s16, s10, s12
	s_addc_u32 s17, s11, s13
	s_load_dwordx2 s[12:13], s[16:17], 0x0
.LBB244_15:
	s_lshl_b32 s4, s7, 1
	s_add_i32 s4, s4, s6
	s_lshl_b64 s[6:7], s[4:5], 3
	s_add_u32 s6, s10, s6
	s_addc_u32 s7, s11, s7
	s_add_i32 s4, s4, s15
	s_lshl_b64 s[4:5], s[4:5], 3
	s_add_u32 s4, s10, s4
	s_addc_u32 s5, s11, s5
	s_load_dwordx2 s[10:11], s[4:5], 0x0
	s_load_dwordx2 s[16:17], s[6:7], 0x0
	s_waitcnt lgkmcnt(0)
	v_mov_b32_e32 v3, s12
	v_mov_b32_e32 v4, s13
	ds_write_b64 v2, v[3:4] offset:4104
	v_mov_b32_e32 v7, s10
	v_mov_b32_e32 v8, s11
	;; [unrolled: 1-line block ×4, first 2 shown]
	ds_write_b128 v2, v[7:10] offset:2048
.LBB244_16:
	s_or_b64 exec, exec, s[8:9]
	s_waitcnt lgkmcnt(0)
	s_barrier
	s_and_saveexec_b64 s[4:5], s[0:1]
	s_cbranch_execz .LBB244_18
; %bb.17:
	s_movk_i32 s0, 0x1410
	v_add_u32_e64 v7, s0, 0
	v_add_u32_e64 v2, 8, 0
	ds_read2st64_b64 v[2:5], v2 offset0:6 offset1:8
	ds_read2_b64 v[7:10], v7 offset1:255
	s_movk_i32 s0, 0x2410
	v_mov_b32_e32 v19, 0
	v_add_u32_e64 v15, s0, 0
	ds_read2st64_b64 v[11:14], v19 offset1:2
	ds_read2_b64 v[15:18], v15 offset1:255
	s_waitcnt lgkmcnt(2)
	v_mul_f32_e64 v20, v5, -v10
	v_fmac_f32_e32 v20, v9, v4
	v_mul_f32_e32 v9, v5, v9
	v_fmac_f32_e32 v9, v10, v4
	s_waitcnt lgkmcnt(1)
	v_sub_f32_e32 v10, v13, v20
	v_sub_f32_e32 v13, v14, v9
	s_waitcnt lgkmcnt(0)
	v_mul_f32_e64 v9, v12, -v18
	v_mul_f32_e32 v14, v12, v17
	v_fmac_f32_e32 v9, v17, v11
	v_fmac_f32_e32 v14, v18, v11
	v_sub_f32_e32 v9, v10, v9
	v_sub_f32_e32 v10, v13, v14
	ds_write_b64 v19, v[9:10] offset:1024
	v_mul_f32_e64 v9, v5, -v8
	v_mul_f32_e32 v5, v5, v7
	v_fmac_f32_e32 v5, v8, v4
	v_fmac_f32_e32 v9, v7, v4
	v_sub_f32_e32 v3, v3, v5
	v_mul_f32_e64 v4, v12, -v16
	v_mul_f32_e32 v5, v12, v15
	v_sub_f32_e32 v2, v2, v9
	v_fmac_f32_e32 v4, v15, v11
	v_fmac_f32_e32 v5, v16, v11
	v_sub_f32_e32 v2, v2, v4
	v_sub_f32_e32 v3, v3, v5
	ds_write_b64 v19, v[2:3] offset:3080
.LBB244_18:
	s_or_b64 exec, exec, s[4:5]
	v_cmp_gt_u32_e64 s[0:1], 2, v0
	s_waitcnt lgkmcnt(0)
	s_barrier
	s_and_saveexec_b64 s[4:5], s[0:1]
	s_cbranch_execz .LBB244_20
; %bb.19:
	v_lshlrev_b32_e32 v19, 10, v0
	v_add_u32_e32 v2, 0x1210, v19
	ds_read2_b64 v[2:5], v2 offset1:255
	v_add_u32_e32 v7, 8, v19
	ds_read2st64_b64 v[7:10], v7 offset0:5 offset1:6
	ds_read2st64_b64 v[11:14], v19 offset1:1
	v_add_u32_e32 v15, 0x2210, v19
	ds_read2_b64 v[15:18], v15 offset1:255
	s_waitcnt lgkmcnt(2)
	v_mul_f32_e64 v20, v10, -v5
	v_fmac_f32_e32 v20, v4, v9
	v_mul_f32_e32 v4, v10, v4
	v_fmac_f32_e32 v4, v5, v9
	s_waitcnt lgkmcnt(1)
	v_sub_f32_e32 v5, v13, v20
	v_sub_f32_e32 v13, v14, v4
	s_waitcnt lgkmcnt(0)
	v_mul_f32_e64 v4, v12, -v18
	v_mul_f32_e32 v14, v12, v17
	v_fmac_f32_e32 v4, v17, v11
	v_fmac_f32_e32 v14, v18, v11
	v_sub_f32_e32 v4, v5, v4
	v_sub_f32_e32 v5, v13, v14
	ds_write_b64 v19, v[4:5] offset:512
	v_mul_f32_e64 v4, v10, -v3
	v_fmac_f32_e32 v4, v2, v9
	v_mul_f32_e32 v2, v10, v2
	v_fmac_f32_e32 v2, v3, v9
	v_sub_f32_e32 v3, v7, v4
	v_sub_f32_e32 v4, v8, v2
	v_mul_f32_e64 v2, v12, -v16
	v_mul_f32_e32 v5, v12, v15
	v_fmac_f32_e32 v2, v15, v11
	v_fmac_f32_e32 v5, v16, v11
	v_sub_f32_e32 v2, v3, v2
	v_sub_f32_e32 v3, v4, v5
	ds_write_b64 v19, v[2:3] offset:2568
.LBB244_20:
	s_or_b64 exec, exec, s[4:5]
	v_cmp_gt_u32_e64 s[0:1], 4, v0
	s_waitcnt lgkmcnt(0)
	s_barrier
	s_and_saveexec_b64 s[4:5], s[0:1]
	s_cbranch_execz .LBB244_22
; %bb.21:
	v_lshlrev_b32_e32 v19, 9, v0
	v_add_u32_e32 v2, 0x1110, v19
	ds_read2_b64 v[2:5], v2 offset1:255
	v_add_u32_e32 v7, 0x800, v19
	ds_read2_b64 v[7:10], v7 offset0:33 offset1:65
	ds_read2_b64 v[11:14], v19 offset1:32
	v_add_u32_e32 v15, 0x2110, v19
	ds_read2_b64 v[15:18], v15 offset1:255
	s_waitcnt lgkmcnt(2)
	v_mul_f32_e64 v20, v10, -v5
	v_fmac_f32_e32 v20, v4, v9
	v_mul_f32_e32 v4, v10, v4
	v_fmac_f32_e32 v4, v5, v9
	s_waitcnt lgkmcnt(1)
	v_sub_f32_e32 v5, v13, v20
	v_sub_f32_e32 v13, v14, v4
	s_waitcnt lgkmcnt(0)
	v_mul_f32_e64 v4, v12, -v18
	v_mul_f32_e32 v14, v12, v17
	v_fmac_f32_e32 v4, v17, v11
	v_fmac_f32_e32 v14, v18, v11
	v_sub_f32_e32 v4, v5, v4
	v_sub_f32_e32 v5, v13, v14
	ds_write_b64 v19, v[4:5] offset:256
	v_mul_f32_e64 v4, v10, -v3
	v_fmac_f32_e32 v4, v2, v9
	v_mul_f32_e32 v2, v10, v2
	v_fmac_f32_e32 v2, v3, v9
	v_sub_f32_e32 v3, v7, v4
	v_sub_f32_e32 v4, v8, v2
	v_mul_f32_e64 v2, v12, -v16
	v_mul_f32_e32 v5, v12, v15
	v_fmac_f32_e32 v2, v15, v11
	v_fmac_f32_e32 v5, v16, v11
	v_sub_f32_e32 v2, v3, v2
	v_sub_f32_e32 v3, v4, v5
	ds_write_b64 v19, v[2:3] offset:2312
.LBB244_22:
	s_or_b64 exec, exec, s[4:5]
	v_cmp_gt_u32_e64 s[0:1], 8, v0
	s_waitcnt lgkmcnt(0)
	s_barrier
	s_and_saveexec_b64 s[4:5], s[0:1]
	s_cbranch_execz .LBB244_24
; %bb.23:
	v_lshlrev_b32_e32 v19, 8, v0
	v_add_u32_e32 v2, 0x1090, v19
	ds_read2_b64 v[2:5], v2 offset1:255
	v_add_u32_e32 v7, 0x800, v19
	ds_read2_b64 v[7:10], v7 offset0:17 offset1:33
	ds_read2_b64 v[11:14], v19 offset1:16
	v_add_u32_e32 v15, 0x2090, v19
	ds_read2_b64 v[15:18], v15 offset1:255
	s_waitcnt lgkmcnt(2)
	v_mul_f32_e64 v20, v10, -v5
	v_fmac_f32_e32 v20, v4, v9
	v_mul_f32_e32 v4, v10, v4
	v_fmac_f32_e32 v4, v5, v9
	s_waitcnt lgkmcnt(1)
	v_sub_f32_e32 v5, v13, v20
	v_sub_f32_e32 v13, v14, v4
	s_waitcnt lgkmcnt(0)
	v_mul_f32_e64 v4, v12, -v18
	v_mul_f32_e32 v14, v12, v17
	v_fmac_f32_e32 v4, v17, v11
	v_fmac_f32_e32 v14, v18, v11
	v_sub_f32_e32 v4, v5, v4
	v_sub_f32_e32 v5, v13, v14
	ds_write_b64 v19, v[4:5] offset:128
	v_mul_f32_e64 v4, v10, -v3
	v_fmac_f32_e32 v4, v2, v9
	v_mul_f32_e32 v2, v10, v2
	v_fmac_f32_e32 v2, v3, v9
	v_sub_f32_e32 v3, v7, v4
	v_sub_f32_e32 v4, v8, v2
	v_mul_f32_e64 v2, v12, -v16
	v_mul_f32_e32 v5, v12, v15
	v_fmac_f32_e32 v2, v15, v11
	v_fmac_f32_e32 v5, v16, v11
	v_sub_f32_e32 v2, v3, v2
	v_sub_f32_e32 v3, v4, v5
	ds_write_b64 v19, v[2:3] offset:2184
.LBB244_24:
	;; [unrolled: 45-line block ×5, first 2 shown]
	s_or_b64 exec, exec, s[4:5]
	s_movk_i32 s0, 0x80
	v_cmp_gt_u32_e64 s[0:1], s0, v0
	s_waitcnt lgkmcnt(0)
	s_barrier
	s_and_saveexec_b64 s[4:5], s[0:1]
	s_cbranch_execz .LBB244_32
; %bb.31:
	v_lshlrev_b32_e32 v0, 4, v0
	v_add_u32_e32 v2, 0x1018, v0
	ds_read2_b64 v[2:5], v2 offset1:255
	v_add_u32_e32 v7, 0x800, v0
	ds_read2_b64 v[7:10], v7 offset0:2 offset1:3
	ds_read2_b64 v[11:14], v0 offset1:1
	v_add_u32_e32 v15, 0x2018, v0
	ds_read2_b64 v[15:18], v15 offset1:255
	s_waitcnt lgkmcnt(2)
	v_mul_f32_e64 v19, v10, -v5
	v_fmac_f32_e32 v19, v4, v9
	v_mul_f32_e32 v4, v10, v4
	v_fmac_f32_e32 v4, v5, v9
	s_waitcnt lgkmcnt(1)
	v_sub_f32_e32 v5, v13, v19
	v_sub_f32_e32 v13, v14, v4
	s_waitcnt lgkmcnt(0)
	v_mul_f32_e64 v4, v12, -v18
	v_mul_f32_e32 v14, v12, v17
	v_fmac_f32_e32 v4, v17, v11
	v_fmac_f32_e32 v14, v18, v11
	v_sub_f32_e32 v4, v5, v4
	v_sub_f32_e32 v5, v13, v14
	ds_write_b64 v0, v[4:5] offset:8
	v_mul_f32_e64 v4, v10, -v3
	v_fmac_f32_e32 v4, v2, v9
	v_mul_f32_e32 v2, v10, v2
	v_fmac_f32_e32 v2, v3, v9
	v_sub_f32_e32 v3, v7, v4
	v_sub_f32_e32 v4, v8, v2
	v_mul_f32_e64 v2, v12, -v16
	v_mul_f32_e32 v5, v12, v15
	v_fmac_f32_e32 v2, v15, v11
	v_fmac_f32_e32 v5, v16, v11
	v_sub_f32_e32 v2, v3, v2
	v_sub_f32_e32 v3, v4, v5
	ds_write_b64 v0, v[2:3] offset:2064
.LBB244_32:
	s_or_b64 exec, exec, s[4:5]
	s_waitcnt lgkmcnt(0)
	s_barrier
	s_and_saveexec_b64 s[0:1], vcc
	s_cbranch_execz .LBB244_34
; %bb.33:
	v_ashrrev_i32_e32 v2, 31, v1
	v_add_u32_e32 v0, 8, v6
	v_lshlrev_b64 v[7:8], 3, v[1:2]
	ds_read2st64_b64 v[2:5], v0 offset1:4
	v_mov_b32_e32 v9, s3
	v_add_co_u32_e32 v6, vcc, s2, v7
	v_addc_co_u32_e32 v7, vcc, v9, v8, vcc
	s_waitcnt lgkmcnt(0)
	v_mad_u64_u32 v[0:1], s[0:1], s14, 63, v[1:2]
	v_mov_b32_e32 v1, 0
	global_store_dwordx2 v[6:7], v[4:5], off
	v_lshlrev_b64 v[0:1], 3, v[0:1]
	v_mov_b32_e32 v4, s3
	v_add_co_u32_e32 v0, vcc, s2, v0
	v_addc_co_u32_e32 v1, vcc, v4, v1, vcc
	global_store_dwordx2 v[0:1], v[2:3], off
.LBB244_34:
	s_endpgm
	.section	.rodata,"a",@progbits
	.p2align	6, 0x0
	.amdhsa_kernel _ZN9rocsparseL33gtsv_solve_spike_propagate_kernelILj256ELj64E21rocsparse_complex_numIfEEEviiiPT1_PKS3_S6_S6_
		.amdhsa_group_segment_fixed_size 12304
		.amdhsa_private_segment_fixed_size 0
		.amdhsa_kernarg_size 304
		.amdhsa_user_sgpr_count 6
		.amdhsa_user_sgpr_private_segment_buffer 1
		.amdhsa_user_sgpr_dispatch_ptr 0
		.amdhsa_user_sgpr_queue_ptr 0
		.amdhsa_user_sgpr_kernarg_segment_ptr 1
		.amdhsa_user_sgpr_dispatch_id 0
		.amdhsa_user_sgpr_flat_scratch_init 0
		.amdhsa_user_sgpr_private_segment_size 0
		.amdhsa_uses_dynamic_stack 0
		.amdhsa_system_sgpr_private_segment_wavefront_offset 0
		.amdhsa_system_sgpr_workgroup_id_x 1
		.amdhsa_system_sgpr_workgroup_id_y 1
		.amdhsa_system_sgpr_workgroup_id_z 0
		.amdhsa_system_sgpr_workgroup_info 0
		.amdhsa_system_vgpr_workitem_id 0
		.amdhsa_next_free_vgpr 41
		.amdhsa_next_free_sgpr 98
		.amdhsa_reserve_vcc 1
		.amdhsa_reserve_flat_scratch 0
		.amdhsa_float_round_mode_32 0
		.amdhsa_float_round_mode_16_64 0
		.amdhsa_float_denorm_mode_32 3
		.amdhsa_float_denorm_mode_16_64 3
		.amdhsa_dx10_clamp 1
		.amdhsa_ieee_mode 1
		.amdhsa_fp16_overflow 0
		.amdhsa_exception_fp_ieee_invalid_op 0
		.amdhsa_exception_fp_denorm_src 0
		.amdhsa_exception_fp_ieee_div_zero 0
		.amdhsa_exception_fp_ieee_overflow 0
		.amdhsa_exception_fp_ieee_underflow 0
		.amdhsa_exception_fp_ieee_inexact 0
		.amdhsa_exception_int_div_zero 0
	.end_amdhsa_kernel
	.section	.text._ZN9rocsparseL33gtsv_solve_spike_propagate_kernelILj256ELj64E21rocsparse_complex_numIfEEEviiiPT1_PKS3_S6_S6_,"axG",@progbits,_ZN9rocsparseL33gtsv_solve_spike_propagate_kernelILj256ELj64E21rocsparse_complex_numIfEEEviiiPT1_PKS3_S6_S6_,comdat
.Lfunc_end244:
	.size	_ZN9rocsparseL33gtsv_solve_spike_propagate_kernelILj256ELj64E21rocsparse_complex_numIfEEEviiiPT1_PKS3_S6_S6_, .Lfunc_end244-_ZN9rocsparseL33gtsv_solve_spike_propagate_kernelILj256ELj64E21rocsparse_complex_numIfEEEviiiPT1_PKS3_S6_S6_
                                        ; -- End function
	.set _ZN9rocsparseL33gtsv_solve_spike_propagate_kernelILj256ELj64E21rocsparse_complex_numIfEEEviiiPT1_PKS3_S6_S6_.num_vgpr, 21
	.set _ZN9rocsparseL33gtsv_solve_spike_propagate_kernelILj256ELj64E21rocsparse_complex_numIfEEEviiiPT1_PKS3_S6_S6_.num_agpr, 0
	.set _ZN9rocsparseL33gtsv_solve_spike_propagate_kernelILj256ELj64E21rocsparse_complex_numIfEEEviiiPT1_PKS3_S6_S6_.numbered_sgpr, 18
	.set _ZN9rocsparseL33gtsv_solve_spike_propagate_kernelILj256ELj64E21rocsparse_complex_numIfEEEviiiPT1_PKS3_S6_S6_.num_named_barrier, 0
	.set _ZN9rocsparseL33gtsv_solve_spike_propagate_kernelILj256ELj64E21rocsparse_complex_numIfEEEviiiPT1_PKS3_S6_S6_.private_seg_size, 0
	.set _ZN9rocsparseL33gtsv_solve_spike_propagate_kernelILj256ELj64E21rocsparse_complex_numIfEEEviiiPT1_PKS3_S6_S6_.uses_vcc, 1
	.set _ZN9rocsparseL33gtsv_solve_spike_propagate_kernelILj256ELj64E21rocsparse_complex_numIfEEEviiiPT1_PKS3_S6_S6_.uses_flat_scratch, 0
	.set _ZN9rocsparseL33gtsv_solve_spike_propagate_kernelILj256ELj64E21rocsparse_complex_numIfEEEviiiPT1_PKS3_S6_S6_.has_dyn_sized_stack, 0
	.set _ZN9rocsparseL33gtsv_solve_spike_propagate_kernelILj256ELj64E21rocsparse_complex_numIfEEEviiiPT1_PKS3_S6_S6_.has_recursion, 0
	.set _ZN9rocsparseL33gtsv_solve_spike_propagate_kernelILj256ELj64E21rocsparse_complex_numIfEEEviiiPT1_PKS3_S6_S6_.has_indirect_call, 0
	.section	.AMDGPU.csdata,"",@progbits
; Kernel info:
; codeLenInByte = 2740
; TotalNumSgprs: 22
; NumVgprs: 21
; ScratchSize: 0
; MemoryBound: 0
; FloatMode: 240
; IeeeMode: 1
; LDSByteSize: 12304 bytes/workgroup (compile time only)
; SGPRBlocks: 12
; VGPRBlocks: 10
; NumSGPRsForWavesPerEU: 102
; NumVGPRsForWavesPerEU: 41
; Occupancy: 5
; WaveLimiterHint : 0
; COMPUTE_PGM_RSRC2:SCRATCH_EN: 0
; COMPUTE_PGM_RSRC2:USER_SGPR: 6
; COMPUTE_PGM_RSRC2:TRAP_HANDLER: 0
; COMPUTE_PGM_RSRC2:TGID_X_EN: 1
; COMPUTE_PGM_RSRC2:TGID_Y_EN: 1
; COMPUTE_PGM_RSRC2:TGID_Z_EN: 0
; COMPUTE_PGM_RSRC2:TIDIG_COMP_CNT: 0
	.section	.text._ZN9rocsparseL39gtsv_spike_backward_substitution_kernelILj256ELj64E21rocsparse_complex_numIfEEEviiiPT1_PKS3_S6_,"axG",@progbits,_ZN9rocsparseL39gtsv_spike_backward_substitution_kernelILj256ELj64E21rocsparse_complex_numIfEEEviiiPT1_PKS3_S6_,comdat
	.globl	_ZN9rocsparseL39gtsv_spike_backward_substitution_kernelILj256ELj64E21rocsparse_complex_numIfEEEviiiPT1_PKS3_S6_ ; -- Begin function _ZN9rocsparseL39gtsv_spike_backward_substitution_kernelILj256ELj64E21rocsparse_complex_numIfEEEviiiPT1_PKS3_S6_
	.p2align	8
	.type	_ZN9rocsparseL39gtsv_spike_backward_substitution_kernelILj256ELj64E21rocsparse_complex_numIfEEEviiiPT1_PKS3_S6_,@function
_ZN9rocsparseL39gtsv_spike_backward_substitution_kernelILj256ELj64E21rocsparse_complex_numIfEEEviiiPT1_PKS3_S6_: ; @_ZN9rocsparseL39gtsv_spike_backward_substitution_kernelILj256ELj64E21rocsparse_complex_numIfEEEviiiPT1_PKS3_S6_
; %bb.0:
	s_load_dword s12, s[4:5], 0x0
	s_lshl_b32 s6, s6, 8
	v_or_b32_e32 v5, s6, v0
	s_waitcnt lgkmcnt(0)
	s_lshr_b32 s10, s12, 6
	v_cmp_gt_i32_e32 vcc, s10, v5
	s_and_saveexec_b64 s[0:1], vcc
	s_cbranch_execz .LBB245_7
; %bb.1:
	s_load_dwordx2 s[8:9], s[4:5], 0x10
	v_cmp_lt_i32_e32 vcc, 0, v5
	v_mov_b32_e32 v1, 0
	s_mul_i32 s11, s12, s7
	v_mov_b32_e32 v2, 0
	s_and_saveexec_b64 s[0:1], vcc
	s_cbranch_execz .LBB245_3
; %bb.2:
	s_mul_i32 s2, s10, 63
	s_mul_i32 s3, s12, s7
	s_add_i32 s2, s2, s3
	v_add3_u32 v1, v5, s2, -1
	v_mov_b32_e32 v2, 0
	v_lshlrev_b64 v[1:2], 3, v[1:2]
	s_waitcnt lgkmcnt(0)
	v_mov_b32_e32 v3, s9
	v_add_co_u32_e32 v1, vcc, s8, v1
	v_addc_co_u32_e32 v2, vcc, v3, v2, vcc
	global_load_dwordx2 v[1:2], v[1:2], off
.LBB245_3:
	s_or_b64 exec, exec, s[0:1]
	s_load_dwordx4 s[0:3], s[4:5], 0x18
	v_add_u32_e32 v3, 64, v5
	v_cmp_le_u32_e32 vcc, s12, v3
	s_and_saveexec_b64 s[4:5], vcc
	s_xor_b64 s[4:5], exec, s[4:5]
	s_or_saveexec_b64 s[4:5], s[4:5]
	v_mov_b32_e32 v3, 0
	v_mov_b32_e32 v9, s11
	;; [unrolled: 1-line block ×3, first 2 shown]
	s_xor_b64 exec, exec, s[4:5]
	s_cbranch_execz .LBB245_5
; %bb.4:
	s_ashr_i32 s7, s11, 31
	v_ashrrev_i32_e32 v4, 31, v5
	v_mov_b32_e32 v6, s7
	v_add_co_u32_e32 v3, vcc, s11, v5
	v_addc_co_u32_e32 v4, vcc, v4, v6, vcc
	v_lshlrev_b64 v[3:4], 3, v[3:4]
	s_waitcnt lgkmcnt(0)
	v_mov_b32_e32 v6, s9
	v_add_co_u32_e32 v3, vcc, s8, v3
	v_addc_co_u32_e32 v4, vcc, v6, v4, vcc
	global_load_dwordx2 v[3:4], v[3:4], off offset:8
	v_mov_b32_e32 v9, s11
.LBB245_5:
	s_or_b64 exec, exec, s[4:5]
	s_lshl_b32 s4, s10, 1
	s_add_i32 s6, s6, s10
	v_add_u32_e32 v5, s4, v5
	v_add_u32_e32 v7, s6, v0
	s_mov_b32 s5, 62
	s_waitcnt lgkmcnt(0)
	v_mov_b32_e32 v0, s9
	v_mov_b32_e32 v10, s1
	;; [unrolled: 1-line block ×3, first 2 shown]
.LBB245_6:                              ; =>This Inner Loop Header: Depth=1
	v_ashrrev_i32_e32 v8, 31, v7
	v_lshlrev_b64 v[14:15], 3, v[7:8]
	v_add_u32_e32 v12, v9, v7
	v_add_co_u32_e32 v16, vcc, s0, v14
	v_ashrrev_i32_e32 v13, 31, v12
	v_addc_co_u32_e32 v17, vcc, v10, v15, vcc
	v_lshlrev_b64 v[12:13], 3, v[12:13]
	v_add_co_u32_e32 v14, vcc, s2, v14
	v_addc_co_u32_e32 v15, vcc, v11, v15, vcc
	v_add_co_u32_e32 v12, vcc, s8, v12
	global_load_dwordx2 v[18:19], v[16:17], off
	global_load_dwordx2 v[20:21], v[14:15], off
	v_addc_co_u32_e32 v13, vcc, v0, v13, vcc
	global_load_dwordx2 v[14:15], v[12:13], off
	s_add_i32 s5, s5, -2
	v_add_u32_e32 v7, s4, v7
	s_cmp_lg_u32 s5, 0
	s_waitcnt vmcnt(2)
	v_mul_f32_e64 v6, v2, -v19
	v_mul_f32_e32 v8, v2, v18
	v_fmac_f32_e32 v6, v18, v1
	s_waitcnt vmcnt(1)
	v_mul_f32_e64 v16, v4, -v21
	v_fmac_f32_e32 v8, v19, v1
	v_mul_f32_e32 v17, v4, v20
	v_fmac_f32_e32 v16, v20, v3
	s_waitcnt vmcnt(0)
	v_sub_f32_e32 v18, v14, v6
	v_ashrrev_i32_e32 v6, 31, v5
	v_fmac_f32_e32 v17, v21, v3
	v_sub_f32_e32 v8, v15, v8
	v_sub_f32_e32 v16, v18, v16
	v_lshlrev_b64 v[18:19], 3, v[5:6]
	v_sub_f32_e32 v17, v8, v17
	v_add_u32_e32 v14, v9, v5
	global_store_dwordx2 v[12:13], v[16:17], off
	v_add_co_u32_e32 v12, vcc, s0, v18
	v_ashrrev_i32_e32 v15, 31, v14
	v_addc_co_u32_e32 v13, vcc, v10, v19, vcc
	v_lshlrev_b64 v[14:15], 3, v[14:15]
	v_add_co_u32_e32 v16, vcc, s2, v18
	v_addc_co_u32_e32 v17, vcc, v11, v19, vcc
	global_load_dwordx2 v[18:19], v[12:13], off
	global_load_dwordx2 v[20:21], v[16:17], off
	v_add_co_u32_e32 v12, vcc, s8, v14
	v_addc_co_u32_e32 v13, vcc, v0, v15, vcc
	global_load_dwordx2 v[14:15], v[12:13], off
	v_add_u32_e32 v5, s4, v5
	s_waitcnt vmcnt(2)
	v_mul_f32_e64 v6, v2, -v19
	v_mul_f32_e32 v8, v2, v18
	v_fmac_f32_e32 v6, v18, v1
	v_fmac_f32_e32 v8, v19, v1
	s_waitcnt vmcnt(1)
	v_mul_f32_e64 v16, v4, -v21
	v_mul_f32_e32 v17, v4, v20
	v_fmac_f32_e32 v16, v20, v3
	v_fmac_f32_e32 v17, v21, v3
	s_waitcnt vmcnt(0)
	v_sub_f32_e32 v6, v14, v6
	v_sub_f32_e32 v8, v15, v8
	;; [unrolled: 1-line block ×4, first 2 shown]
	global_store_dwordx2 v[12:13], v[14:15], off
	s_cbranch_scc1 .LBB245_6
.LBB245_7:
	s_endpgm
	.section	.rodata,"a",@progbits
	.p2align	6, 0x0
	.amdhsa_kernel _ZN9rocsparseL39gtsv_spike_backward_substitution_kernelILj256ELj64E21rocsparse_complex_numIfEEEviiiPT1_PKS3_S6_
		.amdhsa_group_segment_fixed_size 0
		.amdhsa_private_segment_fixed_size 0
		.amdhsa_kernarg_size 40
		.amdhsa_user_sgpr_count 6
		.amdhsa_user_sgpr_private_segment_buffer 1
		.amdhsa_user_sgpr_dispatch_ptr 0
		.amdhsa_user_sgpr_queue_ptr 0
		.amdhsa_user_sgpr_kernarg_segment_ptr 1
		.amdhsa_user_sgpr_dispatch_id 0
		.amdhsa_user_sgpr_flat_scratch_init 0
		.amdhsa_user_sgpr_private_segment_size 0
		.amdhsa_uses_dynamic_stack 0
		.amdhsa_system_sgpr_private_segment_wavefront_offset 0
		.amdhsa_system_sgpr_workgroup_id_x 1
		.amdhsa_system_sgpr_workgroup_id_y 1
		.amdhsa_system_sgpr_workgroup_id_z 0
		.amdhsa_system_sgpr_workgroup_info 0
		.amdhsa_system_vgpr_workitem_id 0
		.amdhsa_next_free_vgpr 22
		.amdhsa_next_free_sgpr 13
		.amdhsa_reserve_vcc 1
		.amdhsa_reserve_flat_scratch 0
		.amdhsa_float_round_mode_32 0
		.amdhsa_float_round_mode_16_64 0
		.amdhsa_float_denorm_mode_32 3
		.amdhsa_float_denorm_mode_16_64 3
		.amdhsa_dx10_clamp 1
		.amdhsa_ieee_mode 1
		.amdhsa_fp16_overflow 0
		.amdhsa_exception_fp_ieee_invalid_op 0
		.amdhsa_exception_fp_denorm_src 0
		.amdhsa_exception_fp_ieee_div_zero 0
		.amdhsa_exception_fp_ieee_overflow 0
		.amdhsa_exception_fp_ieee_underflow 0
		.amdhsa_exception_fp_ieee_inexact 0
		.amdhsa_exception_int_div_zero 0
	.end_amdhsa_kernel
	.section	.text._ZN9rocsparseL39gtsv_spike_backward_substitution_kernelILj256ELj64E21rocsparse_complex_numIfEEEviiiPT1_PKS3_S6_,"axG",@progbits,_ZN9rocsparseL39gtsv_spike_backward_substitution_kernelILj256ELj64E21rocsparse_complex_numIfEEEviiiPT1_PKS3_S6_,comdat
.Lfunc_end245:
	.size	_ZN9rocsparseL39gtsv_spike_backward_substitution_kernelILj256ELj64E21rocsparse_complex_numIfEEEviiiPT1_PKS3_S6_, .Lfunc_end245-_ZN9rocsparseL39gtsv_spike_backward_substitution_kernelILj256ELj64E21rocsparse_complex_numIfEEEviiiPT1_PKS3_S6_
                                        ; -- End function
	.set _ZN9rocsparseL39gtsv_spike_backward_substitution_kernelILj256ELj64E21rocsparse_complex_numIfEEEviiiPT1_PKS3_S6_.num_vgpr, 22
	.set _ZN9rocsparseL39gtsv_spike_backward_substitution_kernelILj256ELj64E21rocsparse_complex_numIfEEEviiiPT1_PKS3_S6_.num_agpr, 0
	.set _ZN9rocsparseL39gtsv_spike_backward_substitution_kernelILj256ELj64E21rocsparse_complex_numIfEEEviiiPT1_PKS3_S6_.numbered_sgpr, 13
	.set _ZN9rocsparseL39gtsv_spike_backward_substitution_kernelILj256ELj64E21rocsparse_complex_numIfEEEviiiPT1_PKS3_S6_.num_named_barrier, 0
	.set _ZN9rocsparseL39gtsv_spike_backward_substitution_kernelILj256ELj64E21rocsparse_complex_numIfEEEviiiPT1_PKS3_S6_.private_seg_size, 0
	.set _ZN9rocsparseL39gtsv_spike_backward_substitution_kernelILj256ELj64E21rocsparse_complex_numIfEEEviiiPT1_PKS3_S6_.uses_vcc, 1
	.set _ZN9rocsparseL39gtsv_spike_backward_substitution_kernelILj256ELj64E21rocsparse_complex_numIfEEEviiiPT1_PKS3_S6_.uses_flat_scratch, 0
	.set _ZN9rocsparseL39gtsv_spike_backward_substitution_kernelILj256ELj64E21rocsparse_complex_numIfEEEviiiPT1_PKS3_S6_.has_dyn_sized_stack, 0
	.set _ZN9rocsparseL39gtsv_spike_backward_substitution_kernelILj256ELj64E21rocsparse_complex_numIfEEEviiiPT1_PKS3_S6_.has_recursion, 0
	.set _ZN9rocsparseL39gtsv_spike_backward_substitution_kernelILj256ELj64E21rocsparse_complex_numIfEEEviiiPT1_PKS3_S6_.has_indirect_call, 0
	.section	.AMDGPU.csdata,"",@progbits
; Kernel info:
; codeLenInByte = 600
; TotalNumSgprs: 17
; NumVgprs: 22
; ScratchSize: 0
; MemoryBound: 0
; FloatMode: 240
; IeeeMode: 1
; LDSByteSize: 0 bytes/workgroup (compile time only)
; SGPRBlocks: 2
; VGPRBlocks: 5
; NumSGPRsForWavesPerEU: 17
; NumVGPRsForWavesPerEU: 22
; Occupancy: 10
; WaveLimiterHint : 0
; COMPUTE_PGM_RSRC2:SCRATCH_EN: 0
; COMPUTE_PGM_RSRC2:USER_SGPR: 6
; COMPUTE_PGM_RSRC2:TRAP_HANDLER: 0
; COMPUTE_PGM_RSRC2:TGID_X_EN: 1
; COMPUTE_PGM_RSRC2:TGID_Y_EN: 1
; COMPUTE_PGM_RSRC2:TGID_Z_EN: 0
; COMPUTE_PGM_RSRC2:TIDIG_COMP_CNT: 0
	.section	.text._ZN9rocsparseL32gtsv_transpose_back_array_kernelILj256ELj64E21rocsparse_complex_numIfEEEviiiPKT1_PS3_,"axG",@progbits,_ZN9rocsparseL32gtsv_transpose_back_array_kernelILj256ELj64E21rocsparse_complex_numIfEEEviiiPKT1_PS3_,comdat
	.globl	_ZN9rocsparseL32gtsv_transpose_back_array_kernelILj256ELj64E21rocsparse_complex_numIfEEEviiiPKT1_PS3_ ; -- Begin function _ZN9rocsparseL32gtsv_transpose_back_array_kernelILj256ELj64E21rocsparse_complex_numIfEEEviiiPKT1_PS3_
	.p2align	8
	.type	_ZN9rocsparseL32gtsv_transpose_back_array_kernelILj256ELj64E21rocsparse_complex_numIfEEEviiiPKT1_PS3_,@function
_ZN9rocsparseL32gtsv_transpose_back_array_kernelILj256ELj64E21rocsparse_complex_numIfEEEviiiPKT1_PS3_: ; @_ZN9rocsparseL32gtsv_transpose_back_array_kernelILj256ELj64E21rocsparse_complex_numIfEEEviiiPKT1_PS3_
; %bb.0:
	s_load_dwordx4 s[0:3], s[4:5], 0x0
	s_waitcnt lgkmcnt(0)
	v_cvt_f32_u32_e32 v1, s1
	s_sub_i32 s3, 0, s1
	v_rcp_iflag_f32_e32 v1, v1
	v_mul_f32_e32 v1, 0x4f7ffffe, v1
	v_cvt_u32_f32_e32 v2, v1
	v_mul_lo_u32 v1, s3, v2
	v_mul_hi_u32 v3, v2, v1
	v_lshl_or_b32 v1, s6, 8, v0
	v_lshlrev_b32_e32 v0, 6, v1
	v_add_u32_e32 v2, v2, v3
	v_mul_hi_u32 v2, v0, v2
	v_mul_lo_u32 v3, v2, s1
	v_add_u32_e32 v4, 1, v2
	v_sub_u32_e32 v3, v0, v3
	v_cmp_le_u32_e32 vcc, s1, v3
	v_cndmask_b32_e32 v2, v2, v4, vcc
	v_subrev_u32_e32 v4, s1, v3
	v_cndmask_b32_e32 v3, v3, v4, vcc
	v_add_u32_e32 v4, 1, v2
	v_cmp_le_u32_e32 vcc, s1, v3
	v_cndmask_b32_e32 v2, v2, v4, vcc
	v_mul_lo_u32 v3, v2, s1
	v_sub_u32_e32 v0, v0, v3
	v_add_u32_e32 v0, v2, v0
	v_cmp_gt_i32_e32 vcc, s0, v0
	s_and_saveexec_b64 s[8:9], vcc
	s_cbranch_execz .LBB246_2
; %bb.1:
	s_load_dwordx4 s[8:11], s[4:5], 0x10
	s_mul_i32 s0, s1, s7
	v_add_u32_e32 v1, s0, v1
	v_ashrrev_i32_e32 v2, 31, v1
	v_lshlrev_b64 v[1:2], 3, v[1:2]
	s_waitcnt lgkmcnt(0)
	v_mov_b32_e32 v3, s9
	v_add_co_u32_e32 v1, vcc, s8, v1
	v_addc_co_u32_e32 v2, vcc, v3, v2, vcc
	global_load_dwordx2 v[1:2], v[1:2], off
	s_mul_i32 s0, s2, s7
	v_add_u32_e32 v3, s0, v0
	v_ashrrev_i32_e32 v4, 31, v3
	v_lshlrev_b64 v[3:4], 3, v[3:4]
	v_mov_b32_e32 v0, s11
	v_add_co_u32_e32 v3, vcc, s10, v3
	v_addc_co_u32_e32 v4, vcc, v0, v4, vcc
	s_waitcnt vmcnt(0)
	global_store_dwordx2 v[3:4], v[1:2], off
.LBB246_2:
	s_endpgm
	.section	.rodata,"a",@progbits
	.p2align	6, 0x0
	.amdhsa_kernel _ZN9rocsparseL32gtsv_transpose_back_array_kernelILj256ELj64E21rocsparse_complex_numIfEEEviiiPKT1_PS3_
		.amdhsa_group_segment_fixed_size 0
		.amdhsa_private_segment_fixed_size 0
		.amdhsa_kernarg_size 32
		.amdhsa_user_sgpr_count 6
		.amdhsa_user_sgpr_private_segment_buffer 1
		.amdhsa_user_sgpr_dispatch_ptr 0
		.amdhsa_user_sgpr_queue_ptr 0
		.amdhsa_user_sgpr_kernarg_segment_ptr 1
		.amdhsa_user_sgpr_dispatch_id 0
		.amdhsa_user_sgpr_flat_scratch_init 0
		.amdhsa_user_sgpr_private_segment_size 0
		.amdhsa_uses_dynamic_stack 0
		.amdhsa_system_sgpr_private_segment_wavefront_offset 0
		.amdhsa_system_sgpr_workgroup_id_x 1
		.amdhsa_system_sgpr_workgroup_id_y 1
		.amdhsa_system_sgpr_workgroup_id_z 0
		.amdhsa_system_sgpr_workgroup_info 0
		.amdhsa_system_vgpr_workitem_id 0
		.amdhsa_next_free_vgpr 5
		.amdhsa_next_free_sgpr 12
		.amdhsa_reserve_vcc 1
		.amdhsa_reserve_flat_scratch 0
		.amdhsa_float_round_mode_32 0
		.amdhsa_float_round_mode_16_64 0
		.amdhsa_float_denorm_mode_32 3
		.amdhsa_float_denorm_mode_16_64 3
		.amdhsa_dx10_clamp 1
		.amdhsa_ieee_mode 1
		.amdhsa_fp16_overflow 0
		.amdhsa_exception_fp_ieee_invalid_op 0
		.amdhsa_exception_fp_denorm_src 0
		.amdhsa_exception_fp_ieee_div_zero 0
		.amdhsa_exception_fp_ieee_overflow 0
		.amdhsa_exception_fp_ieee_underflow 0
		.amdhsa_exception_fp_ieee_inexact 0
		.amdhsa_exception_int_div_zero 0
	.end_amdhsa_kernel
	.section	.text._ZN9rocsparseL32gtsv_transpose_back_array_kernelILj256ELj64E21rocsparse_complex_numIfEEEviiiPKT1_PS3_,"axG",@progbits,_ZN9rocsparseL32gtsv_transpose_back_array_kernelILj256ELj64E21rocsparse_complex_numIfEEEviiiPKT1_PS3_,comdat
.Lfunc_end246:
	.size	_ZN9rocsparseL32gtsv_transpose_back_array_kernelILj256ELj64E21rocsparse_complex_numIfEEEviiiPKT1_PS3_, .Lfunc_end246-_ZN9rocsparseL32gtsv_transpose_back_array_kernelILj256ELj64E21rocsparse_complex_numIfEEEviiiPKT1_PS3_
                                        ; -- End function
	.set _ZN9rocsparseL32gtsv_transpose_back_array_kernelILj256ELj64E21rocsparse_complex_numIfEEEviiiPKT1_PS3_.num_vgpr, 5
	.set _ZN9rocsparseL32gtsv_transpose_back_array_kernelILj256ELj64E21rocsparse_complex_numIfEEEviiiPKT1_PS3_.num_agpr, 0
	.set _ZN9rocsparseL32gtsv_transpose_back_array_kernelILj256ELj64E21rocsparse_complex_numIfEEEviiiPKT1_PS3_.numbered_sgpr, 12
	.set _ZN9rocsparseL32gtsv_transpose_back_array_kernelILj256ELj64E21rocsparse_complex_numIfEEEviiiPKT1_PS3_.num_named_barrier, 0
	.set _ZN9rocsparseL32gtsv_transpose_back_array_kernelILj256ELj64E21rocsparse_complex_numIfEEEviiiPKT1_PS3_.private_seg_size, 0
	.set _ZN9rocsparseL32gtsv_transpose_back_array_kernelILj256ELj64E21rocsparse_complex_numIfEEEviiiPKT1_PS3_.uses_vcc, 1
	.set _ZN9rocsparseL32gtsv_transpose_back_array_kernelILj256ELj64E21rocsparse_complex_numIfEEEviiiPKT1_PS3_.uses_flat_scratch, 0
	.set _ZN9rocsparseL32gtsv_transpose_back_array_kernelILj256ELj64E21rocsparse_complex_numIfEEEviiiPKT1_PS3_.has_dyn_sized_stack, 0
	.set _ZN9rocsparseL32gtsv_transpose_back_array_kernelILj256ELj64E21rocsparse_complex_numIfEEEviiiPKT1_PS3_.has_recursion, 0
	.set _ZN9rocsparseL32gtsv_transpose_back_array_kernelILj256ELj64E21rocsparse_complex_numIfEEEviiiPKT1_PS3_.has_indirect_call, 0
	.section	.AMDGPU.csdata,"",@progbits
; Kernel info:
; codeLenInByte = 248
; TotalNumSgprs: 16
; NumVgprs: 5
; ScratchSize: 0
; MemoryBound: 0
; FloatMode: 240
; IeeeMode: 1
; LDSByteSize: 0 bytes/workgroup (compile time only)
; SGPRBlocks: 1
; VGPRBlocks: 1
; NumSGPRsForWavesPerEU: 16
; NumVGPRsForWavesPerEU: 5
; Occupancy: 10
; WaveLimiterHint : 0
; COMPUTE_PGM_RSRC2:SCRATCH_EN: 0
; COMPUTE_PGM_RSRC2:USER_SGPR: 6
; COMPUTE_PGM_RSRC2:TRAP_HANDLER: 0
; COMPUTE_PGM_RSRC2:TGID_X_EN: 1
; COMPUTE_PGM_RSRC2:TGID_Y_EN: 1
; COMPUTE_PGM_RSRC2:TGID_Z_EN: 0
; COMPUTE_PGM_RSRC2:TIDIG_COMP_CNT: 0
	.section	.text._ZN9rocsparseL42gtsv_transpose_and_pad_array_shared_kernelILj256ELj128E21rocsparse_complex_numIfEEEviiiPKT1_PS3_S3_,"axG",@progbits,_ZN9rocsparseL42gtsv_transpose_and_pad_array_shared_kernelILj256ELj128E21rocsparse_complex_numIfEEEviiiPKT1_PS3_S3_,comdat
	.globl	_ZN9rocsparseL42gtsv_transpose_and_pad_array_shared_kernelILj256ELj128E21rocsparse_complex_numIfEEEviiiPKT1_PS3_S3_ ; -- Begin function _ZN9rocsparseL42gtsv_transpose_and_pad_array_shared_kernelILj256ELj128E21rocsparse_complex_numIfEEEviiiPKT1_PS3_S3_
	.p2align	8
	.type	_ZN9rocsparseL42gtsv_transpose_and_pad_array_shared_kernelILj256ELj128E21rocsparse_complex_numIfEEEviiiPKT1_PS3_S3_,@function
_ZN9rocsparseL42gtsv_transpose_and_pad_array_shared_kernelILj256ELj128E21rocsparse_complex_numIfEEEviiiPKT1_PS3_S3_: ; @_ZN9rocsparseL42gtsv_transpose_and_pad_array_shared_kernelILj256ELj128E21rocsparse_complex_numIfEEEviiiPKT1_PS3_S3_
; %bb.0:
	s_load_dwordx4 s[0:3], s[4:5], 0x0
	v_lshl_or_b32 v3, s6, 8, v0
                                        ; implicit-def: $sgpr10_sgpr11
	s_waitcnt lgkmcnt(0)
	v_cmp_le_i32_e32 vcc, s0, v3
	s_and_saveexec_b64 s[8:9], vcc
	s_xor_b64 s[8:9], exec, s[8:9]
; %bb.1:
	s_load_dwordx2 s[10:11], s[4:5], 0x20
                                        ; implicit-def: $vgpr3
; %bb.2:
	s_or_saveexec_b64 s[8:9], s[8:9]
	s_waitcnt lgkmcnt(0)
	v_mov_b32_e32 v1, s10
	v_mov_b32_e32 v2, s11
	s_xor_b64 exec, exec, s[8:9]
	s_cbranch_execz .LBB247_4
; %bb.3:
	s_load_dwordx2 s[10:11], s[4:5], 0x10
	s_mul_i32 s0, s2, s7
	v_add_u32_e32 v1, s0, v3
	v_ashrrev_i32_e32 v2, 31, v1
	v_lshlrev_b64 v[1:2], 3, v[1:2]
	s_waitcnt lgkmcnt(0)
	v_mov_b32_e32 v3, s11
	v_add_co_u32_e32 v1, vcc, s10, v1
	v_addc_co_u32_e32 v2, vcc, v3, v2, vcc
	global_load_dwordx2 v[1:2], v[1:2], off
.LBB247_4:
	s_or_b64 exec, exec, s[8:9]
	v_lshrrev_b32_e32 v3, 1, v0
	v_and_b32_e32 v4, 1, v0
	v_lshlrev_b32_e32 v0, 3, v0
	s_waitcnt vmcnt(0)
	ds_write_b64 v0, v[1:2]
	s_lshr_b32 s0, s1, 7
	v_lshl_or_b32 v0, s6, 1, v4
	v_mad_u64_u32 v[0:1], s[2:3], s0, v3, v[0:1]
	s_waitcnt lgkmcnt(0)
	s_barrier
	v_cmp_gt_i32_e32 vcc, s1, v0
	s_and_saveexec_b64 s[2:3], vcc
	s_cbranch_execz .LBB247_6
; %bb.5:
	s_load_dwordx2 s[2:3], s[4:5], 0x18
	v_lshlrev_b32_e32 v1, 3, v3
	s_mul_i32 s0, s1, s7
	v_lshl_or_b32 v2, v4, 10, v1
	v_add_u32_e32 v0, s0, v0
	v_ashrrev_i32_e32 v1, 31, v0
	ds_read_b64 v[2:3], v2
	v_lshlrev_b64 v[0:1], 3, v[0:1]
	s_waitcnt lgkmcnt(0)
	v_mov_b32_e32 v4, s3
	v_add_co_u32_e32 v0, vcc, s2, v0
	v_addc_co_u32_e32 v1, vcc, v4, v1, vcc
	global_store_dwordx2 v[0:1], v[2:3], off
.LBB247_6:
	s_endpgm
	.section	.rodata,"a",@progbits
	.p2align	6, 0x0
	.amdhsa_kernel _ZN9rocsparseL42gtsv_transpose_and_pad_array_shared_kernelILj256ELj128E21rocsparse_complex_numIfEEEviiiPKT1_PS3_S3_
		.amdhsa_group_segment_fixed_size 2048
		.amdhsa_private_segment_fixed_size 0
		.amdhsa_kernarg_size 40
		.amdhsa_user_sgpr_count 6
		.amdhsa_user_sgpr_private_segment_buffer 1
		.amdhsa_user_sgpr_dispatch_ptr 0
		.amdhsa_user_sgpr_queue_ptr 0
		.amdhsa_user_sgpr_kernarg_segment_ptr 1
		.amdhsa_user_sgpr_dispatch_id 0
		.amdhsa_user_sgpr_flat_scratch_init 0
		.amdhsa_user_sgpr_private_segment_size 0
		.amdhsa_uses_dynamic_stack 0
		.amdhsa_system_sgpr_private_segment_wavefront_offset 0
		.amdhsa_system_sgpr_workgroup_id_x 1
		.amdhsa_system_sgpr_workgroup_id_y 1
		.amdhsa_system_sgpr_workgroup_id_z 0
		.amdhsa_system_sgpr_workgroup_info 0
		.amdhsa_system_vgpr_workitem_id 0
		.amdhsa_next_free_vgpr 5
		.amdhsa_next_free_sgpr 12
		.amdhsa_reserve_vcc 1
		.amdhsa_reserve_flat_scratch 0
		.amdhsa_float_round_mode_32 0
		.amdhsa_float_round_mode_16_64 0
		.amdhsa_float_denorm_mode_32 3
		.amdhsa_float_denorm_mode_16_64 3
		.amdhsa_dx10_clamp 1
		.amdhsa_ieee_mode 1
		.amdhsa_fp16_overflow 0
		.amdhsa_exception_fp_ieee_invalid_op 0
		.amdhsa_exception_fp_denorm_src 0
		.amdhsa_exception_fp_ieee_div_zero 0
		.amdhsa_exception_fp_ieee_overflow 0
		.amdhsa_exception_fp_ieee_underflow 0
		.amdhsa_exception_fp_ieee_inexact 0
		.amdhsa_exception_int_div_zero 0
	.end_amdhsa_kernel
	.section	.text._ZN9rocsparseL42gtsv_transpose_and_pad_array_shared_kernelILj256ELj128E21rocsparse_complex_numIfEEEviiiPKT1_PS3_S3_,"axG",@progbits,_ZN9rocsparseL42gtsv_transpose_and_pad_array_shared_kernelILj256ELj128E21rocsparse_complex_numIfEEEviiiPKT1_PS3_S3_,comdat
.Lfunc_end247:
	.size	_ZN9rocsparseL42gtsv_transpose_and_pad_array_shared_kernelILj256ELj128E21rocsparse_complex_numIfEEEviiiPKT1_PS3_S3_, .Lfunc_end247-_ZN9rocsparseL42gtsv_transpose_and_pad_array_shared_kernelILj256ELj128E21rocsparse_complex_numIfEEEviiiPKT1_PS3_S3_
                                        ; -- End function
	.set _ZN9rocsparseL42gtsv_transpose_and_pad_array_shared_kernelILj256ELj128E21rocsparse_complex_numIfEEEviiiPKT1_PS3_S3_.num_vgpr, 5
	.set _ZN9rocsparseL42gtsv_transpose_and_pad_array_shared_kernelILj256ELj128E21rocsparse_complex_numIfEEEviiiPKT1_PS3_S3_.num_agpr, 0
	.set _ZN9rocsparseL42gtsv_transpose_and_pad_array_shared_kernelILj256ELj128E21rocsparse_complex_numIfEEEviiiPKT1_PS3_S3_.numbered_sgpr, 12
	.set _ZN9rocsparseL42gtsv_transpose_and_pad_array_shared_kernelILj256ELj128E21rocsparse_complex_numIfEEEviiiPKT1_PS3_S3_.num_named_barrier, 0
	.set _ZN9rocsparseL42gtsv_transpose_and_pad_array_shared_kernelILj256ELj128E21rocsparse_complex_numIfEEEviiiPKT1_PS3_S3_.private_seg_size, 0
	.set _ZN9rocsparseL42gtsv_transpose_and_pad_array_shared_kernelILj256ELj128E21rocsparse_complex_numIfEEEviiiPKT1_PS3_S3_.uses_vcc, 1
	.set _ZN9rocsparseL42gtsv_transpose_and_pad_array_shared_kernelILj256ELj128E21rocsparse_complex_numIfEEEviiiPKT1_PS3_S3_.uses_flat_scratch, 0
	.set _ZN9rocsparseL42gtsv_transpose_and_pad_array_shared_kernelILj256ELj128E21rocsparse_complex_numIfEEEviiiPKT1_PS3_S3_.has_dyn_sized_stack, 0
	.set _ZN9rocsparseL42gtsv_transpose_and_pad_array_shared_kernelILj256ELj128E21rocsparse_complex_numIfEEEviiiPKT1_PS3_S3_.has_recursion, 0
	.set _ZN9rocsparseL42gtsv_transpose_and_pad_array_shared_kernelILj256ELj128E21rocsparse_complex_numIfEEEviiiPKT1_PS3_S3_.has_indirect_call, 0
	.section	.AMDGPU.csdata,"",@progbits
; Kernel info:
; codeLenInByte = 260
; TotalNumSgprs: 16
; NumVgprs: 5
; ScratchSize: 0
; MemoryBound: 0
; FloatMode: 240
; IeeeMode: 1
; LDSByteSize: 2048 bytes/workgroup (compile time only)
; SGPRBlocks: 1
; VGPRBlocks: 1
; NumSGPRsForWavesPerEU: 16
; NumVGPRsForWavesPerEU: 5
; Occupancy: 10
; WaveLimiterHint : 0
; COMPUTE_PGM_RSRC2:SCRATCH_EN: 0
; COMPUTE_PGM_RSRC2:USER_SGPR: 6
; COMPUTE_PGM_RSRC2:TRAP_HANDLER: 0
; COMPUTE_PGM_RSRC2:TGID_X_EN: 1
; COMPUTE_PGM_RSRC2:TGID_Y_EN: 1
; COMPUTE_PGM_RSRC2:TGID_Z_EN: 0
; COMPUTE_PGM_RSRC2:TIDIG_COMP_CNT: 0
	.section	.text._ZN9rocsparseL18gtsv_LBM_wv_kernelILj256ELj128E21rocsparse_complex_numIfEEEviiiPKT1_S5_S5_PS3_S6_S6_Pi,"axG",@progbits,_ZN9rocsparseL18gtsv_LBM_wv_kernelILj256ELj128E21rocsparse_complex_numIfEEEviiiPKT1_S5_S5_PS3_S6_S6_Pi,comdat
	.globl	_ZN9rocsparseL18gtsv_LBM_wv_kernelILj256ELj128E21rocsparse_complex_numIfEEEviiiPKT1_S5_S5_PS3_S6_S6_Pi ; -- Begin function _ZN9rocsparseL18gtsv_LBM_wv_kernelILj256ELj128E21rocsparse_complex_numIfEEEviiiPKT1_S5_S5_PS3_S6_S6_Pi
	.p2align	8
	.type	_ZN9rocsparseL18gtsv_LBM_wv_kernelILj256ELj128E21rocsparse_complex_numIfEEEviiiPKT1_S5_S5_PS3_S6_S6_Pi,@function
_ZN9rocsparseL18gtsv_LBM_wv_kernelILj256ELj128E21rocsparse_complex_numIfEEEviiiPKT1_S5_S5_PS3_S6_S6_Pi: ; @_ZN9rocsparseL18gtsv_LBM_wv_kernelILj256ELj128E21rocsparse_complex_numIfEEEviiiPKT1_S5_S5_PS3_S6_S6_Pi
; %bb.0:
	s_load_dword s29, s[4:5], 0x0
	v_lshl_or_b32 v0, s6, 8, v0
	s_waitcnt lgkmcnt(0)
	s_lshr_b32 s28, s29, 7
	v_cmp_gt_i32_e32 vcc, s28, v0
	s_and_saveexec_b64 s[0:1], vcc
	s_cbranch_execz .LBB248_72
; %bb.1:
	s_load_dwordx2 s[16:17], s[4:5], 0x10
	s_load_dwordx8 s[8:15], s[4:5], 0x20
	v_ashrrev_i32_e32 v1, 31, v0
	v_lshlrev_b64 v[4:5], 3, v[0:1]
	s_mul_i32 s30, s28, 0x7f
	s_waitcnt lgkmcnt(0)
	v_mov_b32_e32 v2, s17
	v_add_co_u32_e32 v1, vcc, s16, v4
	v_addc_co_u32_e32 v2, vcc, v2, v5, vcc
	global_load_dwordx2 v[6:7], v[1:2], off
	v_add_u32_e32 v2, s30, v0
	v_mov_b32_e32 v3, 0
	v_lshlrev_b64 v[8:9], 3, v[2:3]
	v_mov_b32_e32 v2, s9
	v_add_co_u32_e32 v1, vcc, s8, v8
	v_addc_co_u32_e32 v2, vcc, v2, v9, vcc
	global_load_dwordx2 v[10:11], v[1:2], off
	s_load_dwordx2 s[6:7], s[4:5], 0x40
	v_mov_b32_e32 v2, s11
	v_add_co_u32_e32 v1, vcc, s10, v4
	v_addc_co_u32_e32 v2, vcc, v2, v5, vcc
	s_cmp_lt_i32 s29, 1
	v_add_u32_e32 v35, s28, v0
	v_mov_b32_e32 v12, s13
	v_add_co_u32_e32 v8, vcc, s12, v8
	v_addc_co_u32_e32 v9, vcc, v12, v9, vcc
	s_waitcnt vmcnt(1)
	global_store_dwordx2 v[1:2], v[6:7], off
	s_waitcnt vmcnt(1)
	global_store_dwordx2 v[8:9], v[10:11], off
	s_cbranch_scc1 .LBB248_65
; %bb.2:
	s_load_dwordx2 s[18:19], s[4:5], 0x18
	s_mov_b32 s22, 0x372fe950
	s_mul_i32 s31, s28, 0x7e
	s_lshl_b32 s33, s28, 1
	v_add_u32_e32 v36, s28, v35
	s_waitcnt lgkmcnt(0)
	v_mov_b32_e32 v6, s19
	v_add_co_u32_e32 v3, vcc, s18, v4
	v_addc_co_u32_e32 v4, vcc, v6, v5, vcc
	global_load_dwordx2 v[7:8], v[3:4], off
	v_mov_b32_e32 v3, 0
	s_mov_b64 s[20:21], 0
	s_mov_b32 s34, 0xf800000
	v_mov_b32_e32 v37, 0x260
	s_mov_b32 s23, 0x3fe3c6ef
	v_mov_b32_e32 v38, 2
	v_mov_b32_e32 v39, 1
	s_branch .LBB248_5
.LBB248_3:                              ;   in Loop: Header=BB248_5 Depth=1
	s_or_b64 exec, exec, s[4:5]
	v_mul_f32_e64 v5, v7, -v25
	v_mul_f32_e32 v6, v7, v24
	v_fmac_f32_e32 v5, v24, v4
	v_fmac_f32_e32 v6, v25, v4
	v_sub_f32_e32 v7, v19, v5
	v_sub_f32_e32 v8, v20, v6
	v_mov_b32_e32 v4, s28
.LBB248_4:                              ;   in Loop: Header=BB248_5 Depth=1
	s_or_b64 exec, exec, s[2:3]
	v_add_u32_e32 v3, v4, v3
	v_cmp_le_i32_e32 vcc, s29, v3
	s_or_b64 s[20:21], vcc, s[20:21]
	s_andn2_b64 exec, exec, s[20:21]
	s_cbranch_execz .LBB248_64
.LBB248_5:                              ; =>This Inner Loop Header: Depth=1
	v_add_u32_e32 v11, v3, v0
	v_ashrrev_i32_e32 v12, 31, v11
	v_lshlrev_b64 v[15:16], 3, v[11:12]
	v_mov_b32_e32 v5, s9
	v_add_co_u32_e32 v4, vcc, s8, v15
	v_addc_co_u32_e32 v5, vcc, v5, v16, vcc
	global_load_dwordx2 v[13:14], v[4:5], off
	v_cmp_gt_u32_e64 s[0:1], s30, v3
	v_mov_b32_e32 v5, 0
	v_mov_b32_e32 v6, 0
	s_and_saveexec_b64 s[2:3], s[0:1]
	s_cbranch_execz .LBB248_7
; %bb.6:                                ;   in Loop: Header=BB248_5 Depth=1
	v_add_u32_e32 v4, v35, v3
	v_ashrrev_i32_e32 v5, 31, v4
	v_lshlrev_b64 v[4:5], 3, v[4:5]
	v_mov_b32_e32 v6, s17
	v_add_co_u32_e32 v4, vcc, s16, v4
	v_addc_co_u32_e32 v5, vcc, v6, v5, vcc
	global_load_dwordx2 v[5:6], v[4:5], off
.LBB248_7:                              ;   in Loop: Header=BB248_5 Depth=1
	s_or_b64 exec, exec, s[2:3]
	v_mov_b32_e32 v9, 0
	v_mov_b32_e32 v19, 0
	;; [unrolled: 1-line block ×3, first 2 shown]
	s_and_saveexec_b64 s[2:3], s[0:1]
	s_cbranch_execz .LBB248_9
; %bb.8:                                ;   in Loop: Header=BB248_5 Depth=1
	v_add_u32_e32 v17, v35, v3
	v_ashrrev_i32_e32 v18, 31, v17
	v_lshlrev_b64 v[17:18], 3, v[17:18]
	v_mov_b32_e32 v4, s19
	v_add_co_u32_e32 v17, vcc, s18, v17
	v_addc_co_u32_e32 v18, vcc, v4, v18, vcc
	global_load_dwordx2 v[19:20], v[17:18], off
.LBB248_9:                              ;   in Loop: Header=BB248_5 Depth=1
	s_or_b64 exec, exec, s[2:3]
	v_mov_b32_e32 v10, 0
	s_and_saveexec_b64 s[2:3], s[0:1]
	s_cbranch_execz .LBB248_11
; %bb.10:                               ;   in Loop: Header=BB248_5 Depth=1
	v_add_u32_e32 v9, v35, v3
	v_ashrrev_i32_e32 v10, 31, v9
	v_lshlrev_b64 v[9:10], 3, v[9:10]
	v_mov_b32_e32 v4, s9
	v_add_co_u32_e32 v9, vcc, s8, v9
	v_addc_co_u32_e32 v10, vcc, v4, v10, vcc
	global_load_dwordx2 v[9:10], v[9:10], off
.LBB248_11:                             ;   in Loop: Header=BB248_5 Depth=1
	s_or_b64 exec, exec, s[2:3]
	v_cmp_gt_u32_e64 s[2:3], s31, v3
	v_mov_b32_e32 v17, 0
	v_mov_b32_e32 v18, 0
	s_and_saveexec_b64 s[4:5], s[2:3]
	s_cbranch_execz .LBB248_13
; %bb.12:                               ;   in Loop: Header=BB248_5 Depth=1
	v_add_u32_e32 v17, v36, v3
	v_ashrrev_i32_e32 v18, 31, v17
	v_lshlrev_b64 v[17:18], 3, v[17:18]
	v_mov_b32_e32 v4, s17
	v_add_co_u32_e32 v17, vcc, s16, v17
	v_addc_co_u32_e32 v18, vcc, v4, v18, vcc
	global_load_dwordx2 v[17:18], v[17:18], off
.LBB248_13:                             ;   in Loop: Header=BB248_5 Depth=1
	s_or_b64 exec, exec, s[4:5]
	s_waitcnt vmcnt(0)
	v_cmp_gt_f32_e32 vcc, 0, v5
	v_cndmask_b32_e64 v21, v5, -v5, vcc
	v_cmp_gt_f32_e32 vcc, 0, v6
	v_cndmask_b32_e64 v22, v6, -v6, vcc
	v_cmp_ngt_f32_e32 vcc, v21, v22
                                        ; implicit-def: $vgpr4
	s_and_saveexec_b64 s[4:5], vcc
	s_xor_b64 s[24:25], exec, s[4:5]
	s_cbranch_execz .LBB248_17
; %bb.14:                               ;   in Loop: Header=BB248_5 Depth=1
	v_mov_b32_e32 v4, 0
	v_cmp_neq_f32_e32 vcc, 0, v6
	s_and_saveexec_b64 s[26:27], vcc
	s_cbranch_execz .LBB248_16
; %bb.15:                               ;   in Loop: Header=BB248_5 Depth=1
	v_div_scale_f32 v4, s[4:5], v22, v22, v21
	v_div_scale_f32 v23, vcc, v21, v22, v21
	v_rcp_f32_e32 v24, v4
	v_fma_f32 v25, -v4, v24, 1.0
	v_fmac_f32_e32 v24, v25, v24
	v_mul_f32_e32 v25, v23, v24
	v_fma_f32 v26, -v4, v25, v23
	v_fmac_f32_e32 v25, v26, v24
	v_fma_f32 v4, -v4, v25, v23
	v_div_fmas_f32 v4, v4, v24, v25
	v_div_fixup_f32 v4, v4, v22, v21
	v_fma_f32 v4, v4, v4, 1.0
	v_mul_f32_e32 v21, 0x4f800000, v4
	v_cmp_gt_f32_e32 vcc, s34, v4
	v_cndmask_b32_e32 v4, v4, v21, vcc
	v_sqrt_f32_e32 v21, v4
	v_add_u32_e32 v23, -1, v21
	v_add_u32_e32 v24, 1, v21
	v_fma_f32 v25, -v23, v21, v4
	v_fma_f32 v26, -v24, v21, v4
	v_cmp_ge_f32_e64 s[4:5], 0, v25
	v_cndmask_b32_e64 v21, v21, v23, s[4:5]
	v_cmp_lt_f32_e64 s[4:5], 0, v26
	v_cndmask_b32_e64 v21, v21, v24, s[4:5]
	v_mul_f32_e32 v23, 0x37800000, v21
	v_cndmask_b32_e32 v21, v21, v23, vcc
	v_cmp_class_f32_e32 vcc, v4, v37
	v_cndmask_b32_e32 v4, v21, v4, vcc
	v_mul_f32_e32 v4, v22, v4
.LBB248_16:                             ;   in Loop: Header=BB248_5 Depth=1
	s_or_b64 exec, exec, s[26:27]
                                        ; implicit-def: $vgpr21
                                        ; implicit-def: $vgpr22
.LBB248_17:                             ;   in Loop: Header=BB248_5 Depth=1
	s_andn2_saveexec_b64 s[24:25], s[24:25]
	s_cbranch_execz .LBB248_19
; %bb.18:                               ;   in Loop: Header=BB248_5 Depth=1
	v_div_scale_f32 v4, s[4:5], v21, v21, v22
	v_div_scale_f32 v23, vcc, v22, v21, v22
	v_rcp_f32_e32 v24, v4
	v_fma_f32 v25, -v4, v24, 1.0
	v_fmac_f32_e32 v24, v25, v24
	v_mul_f32_e32 v25, v23, v24
	v_fma_f32 v26, -v4, v25, v23
	v_fmac_f32_e32 v25, v26, v24
	v_fma_f32 v4, -v4, v25, v23
	v_div_fmas_f32 v4, v4, v24, v25
	v_div_fixup_f32 v4, v4, v21, v22
	v_fma_f32 v4, v4, v4, 1.0
	v_mul_f32_e32 v22, 0x4f800000, v4
	v_cmp_gt_f32_e32 vcc, s34, v4
	v_cndmask_b32_e32 v4, v4, v22, vcc
	v_sqrt_f32_e32 v22, v4
	v_add_u32_e32 v23, -1, v22
	v_add_u32_e32 v24, 1, v22
	v_fma_f32 v25, -v23, v22, v4
	v_fma_f32 v26, -v24, v22, v4
	v_cmp_ge_f32_e64 s[4:5], 0, v25
	v_cndmask_b32_e64 v22, v22, v23, s[4:5]
	v_cmp_lt_f32_e64 s[4:5], 0, v26
	v_cndmask_b32_e64 v22, v22, v24, s[4:5]
	v_mul_f32_e32 v23, 0x37800000, v22
	v_cndmask_b32_e32 v22, v22, v23, vcc
	v_cmp_class_f32_e32 vcc, v4, v37
	v_cndmask_b32_e32 v4, v22, v4, vcc
	v_mul_f32_e32 v4, v21, v4
.LBB248_19:                             ;   in Loop: Header=BB248_5 Depth=1
	s_or_b64 exec, exec, s[24:25]
	v_cmp_gt_f32_e32 vcc, 0, v17
	v_cndmask_b32_e64 v22, v17, -v17, vcc
	v_cmp_gt_f32_e32 vcc, 0, v18
	v_cndmask_b32_e64 v23, v18, -v18, vcc
	v_cmp_ngt_f32_e32 vcc, v22, v23
                                        ; implicit-def: $vgpr21
	s_and_saveexec_b64 s[4:5], vcc
	s_xor_b64 s[24:25], exec, s[4:5]
	s_cbranch_execz .LBB248_23
; %bb.20:                               ;   in Loop: Header=BB248_5 Depth=1
	v_mov_b32_e32 v21, 0
	v_cmp_neq_f32_e32 vcc, 0, v18
	s_and_saveexec_b64 s[26:27], vcc
	s_cbranch_execz .LBB248_22
; %bb.21:                               ;   in Loop: Header=BB248_5 Depth=1
	v_div_scale_f32 v21, s[4:5], v23, v23, v22
	v_div_scale_f32 v24, vcc, v22, v23, v22
	v_rcp_f32_e32 v25, v21
	v_fma_f32 v26, -v21, v25, 1.0
	v_fmac_f32_e32 v25, v26, v25
	v_mul_f32_e32 v26, v24, v25
	v_fma_f32 v27, -v21, v26, v24
	v_fmac_f32_e32 v26, v27, v25
	v_fma_f32 v21, -v21, v26, v24
	v_div_fmas_f32 v21, v21, v25, v26
	v_div_fixup_f32 v21, v21, v23, v22
	v_fma_f32 v21, v21, v21, 1.0
	v_mul_f32_e32 v22, 0x4f800000, v21
	v_cmp_gt_f32_e32 vcc, s34, v21
	v_cndmask_b32_e32 v21, v21, v22, vcc
	v_sqrt_f32_e32 v22, v21
	v_add_u32_e32 v24, -1, v22
	v_add_u32_e32 v25, 1, v22
	v_fma_f32 v26, -v24, v22, v21
	v_fma_f32 v27, -v25, v22, v21
	v_cmp_ge_f32_e64 s[4:5], 0, v26
	v_cndmask_b32_e64 v22, v22, v24, s[4:5]
	v_cmp_lt_f32_e64 s[4:5], 0, v27
	v_cndmask_b32_e64 v22, v22, v25, s[4:5]
	v_mul_f32_e32 v24, 0x37800000, v22
	v_cndmask_b32_e32 v22, v22, v24, vcc
	v_cmp_class_f32_e32 vcc, v21, v37
	v_cndmask_b32_e32 v21, v22, v21, vcc
	v_mul_f32_e32 v21, v23, v21
.LBB248_22:                             ;   in Loop: Header=BB248_5 Depth=1
	s_or_b64 exec, exec, s[26:27]
                                        ; implicit-def: $vgpr22
                                        ; implicit-def: $vgpr23
.LBB248_23:                             ;   in Loop: Header=BB248_5 Depth=1
	s_andn2_saveexec_b64 s[24:25], s[24:25]
	s_cbranch_execz .LBB248_25
; %bb.24:                               ;   in Loop: Header=BB248_5 Depth=1
	v_div_scale_f32 v21, s[4:5], v22, v22, v23
	v_div_scale_f32 v24, vcc, v23, v22, v23
	v_rcp_f32_e32 v25, v21
	v_fma_f32 v26, -v21, v25, 1.0
	v_fmac_f32_e32 v25, v26, v25
	v_mul_f32_e32 v26, v24, v25
	v_fma_f32 v27, -v21, v26, v24
	v_fmac_f32_e32 v26, v27, v25
	v_fma_f32 v21, -v21, v26, v24
	v_div_fmas_f32 v21, v21, v25, v26
	v_div_fixup_f32 v21, v21, v22, v23
	v_fma_f32 v21, v21, v21, 1.0
	v_mul_f32_e32 v23, 0x4f800000, v21
	v_cmp_gt_f32_e32 vcc, s34, v21
	v_cndmask_b32_e32 v21, v21, v23, vcc
	v_sqrt_f32_e32 v23, v21
	v_add_u32_e32 v24, -1, v23
	v_add_u32_e32 v25, 1, v23
	v_fma_f32 v26, -v24, v23, v21
	v_fma_f32 v27, -v25, v23, v21
	v_cmp_ge_f32_e64 s[4:5], 0, v26
	v_cndmask_b32_e64 v23, v23, v24, s[4:5]
	v_cmp_lt_f32_e64 s[4:5], 0, v27
	v_cndmask_b32_e64 v23, v23, v25, s[4:5]
	v_mul_f32_e32 v24, 0x37800000, v23
	v_cndmask_b32_e32 v23, v23, v24, vcc
	v_cmp_class_f32_e32 vcc, v21, v37
	v_cndmask_b32_e32 v21, v23, v21, vcc
	v_mul_f32_e32 v21, v22, v21
.LBB248_25:                             ;   in Loop: Header=BB248_5 Depth=1
	s_or_b64 exec, exec, s[24:25]
	v_cmp_gt_f32_e32 vcc, 0, v19
	v_cndmask_b32_e64 v23, v19, -v19, vcc
	v_cmp_gt_f32_e32 vcc, 0, v20
	v_cndmask_b32_e64 v24, v20, -v20, vcc
	v_cmp_ngt_f32_e32 vcc, v23, v24
                                        ; implicit-def: $vgpr22
	s_and_saveexec_b64 s[4:5], vcc
	s_xor_b64 s[24:25], exec, s[4:5]
	s_cbranch_execz .LBB248_29
; %bb.26:                               ;   in Loop: Header=BB248_5 Depth=1
	v_mov_b32_e32 v22, 0
	v_cmp_neq_f32_e32 vcc, 0, v20
	s_and_saveexec_b64 s[26:27], vcc
	s_cbranch_execz .LBB248_28
; %bb.27:                               ;   in Loop: Header=BB248_5 Depth=1
	v_div_scale_f32 v22, s[4:5], v24, v24, v23
	v_div_scale_f32 v25, vcc, v23, v24, v23
	v_rcp_f32_e32 v26, v22
	v_fma_f32 v27, -v22, v26, 1.0
	v_fmac_f32_e32 v26, v27, v26
	v_mul_f32_e32 v27, v25, v26
	v_fma_f32 v28, -v22, v27, v25
	v_fmac_f32_e32 v27, v28, v26
	v_fma_f32 v22, -v22, v27, v25
	v_div_fmas_f32 v22, v22, v26, v27
	v_div_fixup_f32 v22, v22, v24, v23
	v_fma_f32 v22, v22, v22, 1.0
	v_mul_f32_e32 v23, 0x4f800000, v22
	v_cmp_gt_f32_e32 vcc, s34, v22
	v_cndmask_b32_e32 v22, v22, v23, vcc
	v_sqrt_f32_e32 v23, v22
	v_add_u32_e32 v25, -1, v23
	v_add_u32_e32 v26, 1, v23
	v_fma_f32 v27, -v25, v23, v22
	v_fma_f32 v28, -v26, v23, v22
	v_cmp_ge_f32_e64 s[4:5], 0, v27
	v_cndmask_b32_e64 v23, v23, v25, s[4:5]
	v_cmp_lt_f32_e64 s[4:5], 0, v28
	v_cndmask_b32_e64 v23, v23, v26, s[4:5]
	v_mul_f32_e32 v25, 0x37800000, v23
	v_cndmask_b32_e32 v23, v23, v25, vcc
	v_cmp_class_f32_e32 vcc, v22, v37
	v_cndmask_b32_e32 v22, v23, v22, vcc
	v_mul_f32_e32 v22, v24, v22
.LBB248_28:                             ;   in Loop: Header=BB248_5 Depth=1
	s_or_b64 exec, exec, s[26:27]
                                        ; implicit-def: $vgpr23
                                        ; implicit-def: $vgpr24
.LBB248_29:                             ;   in Loop: Header=BB248_5 Depth=1
	s_andn2_saveexec_b64 s[24:25], s[24:25]
	s_cbranch_execz .LBB248_31
; %bb.30:                               ;   in Loop: Header=BB248_5 Depth=1
	v_div_scale_f32 v22, s[4:5], v23, v23, v24
	v_div_scale_f32 v25, vcc, v24, v23, v24
	v_rcp_f32_e32 v26, v22
	v_fma_f32 v27, -v22, v26, 1.0
	v_fmac_f32_e32 v26, v27, v26
	v_mul_f32_e32 v27, v25, v26
	v_fma_f32 v28, -v22, v27, v25
	v_fmac_f32_e32 v27, v28, v26
	v_fma_f32 v22, -v22, v27, v25
	v_div_fmas_f32 v22, v22, v26, v27
	v_div_fixup_f32 v22, v22, v23, v24
	v_fma_f32 v22, v22, v22, 1.0
	v_mul_f32_e32 v24, 0x4f800000, v22
	v_cmp_gt_f32_e32 vcc, s34, v22
	v_cndmask_b32_e32 v22, v22, v24, vcc
	v_sqrt_f32_e32 v24, v22
	v_add_u32_e32 v25, -1, v24
	v_add_u32_e32 v26, 1, v24
	v_fma_f32 v27, -v25, v24, v22
	v_fma_f32 v28, -v26, v24, v22
	v_cmp_ge_f32_e64 s[4:5], 0, v27
	v_cndmask_b32_e64 v24, v24, v25, s[4:5]
	v_cmp_lt_f32_e64 s[4:5], 0, v28
	v_cndmask_b32_e64 v24, v24, v26, s[4:5]
	v_mul_f32_e32 v25, 0x37800000, v24
	v_cndmask_b32_e32 v24, v24, v25, vcc
	v_cmp_class_f32_e32 vcc, v22, v37
	v_cndmask_b32_e32 v22, v24, v22, vcc
	v_mul_f32_e32 v22, v23, v22
.LBB248_31:                             ;   in Loop: Header=BB248_5 Depth=1
	s_or_b64 exec, exec, s[24:25]
	v_cmp_gt_f32_e32 vcc, 0, v13
	v_cndmask_b32_e64 v24, v13, -v13, vcc
	v_cmp_gt_f32_e32 vcc, 0, v14
	v_cndmask_b32_e64 v25, v14, -v14, vcc
	v_cmp_ngt_f32_e32 vcc, v24, v25
                                        ; implicit-def: $vgpr23
	s_and_saveexec_b64 s[4:5], vcc
	s_xor_b64 s[24:25], exec, s[4:5]
	s_cbranch_execz .LBB248_35
; %bb.32:                               ;   in Loop: Header=BB248_5 Depth=1
	v_mov_b32_e32 v23, 0
	v_cmp_neq_f32_e32 vcc, 0, v14
	s_and_saveexec_b64 s[26:27], vcc
	s_cbranch_execz .LBB248_34
; %bb.33:                               ;   in Loop: Header=BB248_5 Depth=1
	v_div_scale_f32 v23, s[4:5], v25, v25, v24
	v_div_scale_f32 v26, vcc, v24, v25, v24
	v_rcp_f32_e32 v27, v23
	v_fma_f32 v28, -v23, v27, 1.0
	v_fmac_f32_e32 v27, v28, v27
	v_mul_f32_e32 v28, v26, v27
	v_fma_f32 v29, -v23, v28, v26
	v_fmac_f32_e32 v28, v29, v27
	v_fma_f32 v23, -v23, v28, v26
	v_div_fmas_f32 v23, v23, v27, v28
	v_div_fixup_f32 v23, v23, v25, v24
	v_fma_f32 v23, v23, v23, 1.0
	v_mul_f32_e32 v24, 0x4f800000, v23
	v_cmp_gt_f32_e32 vcc, s34, v23
	v_cndmask_b32_e32 v23, v23, v24, vcc
	v_sqrt_f32_e32 v24, v23
	v_add_u32_e32 v26, -1, v24
	v_add_u32_e32 v27, 1, v24
	v_fma_f32 v28, -v26, v24, v23
	v_fma_f32 v29, -v27, v24, v23
	v_cmp_ge_f32_e64 s[4:5], 0, v28
	v_cndmask_b32_e64 v24, v24, v26, s[4:5]
	v_cmp_lt_f32_e64 s[4:5], 0, v29
	v_cndmask_b32_e64 v24, v24, v27, s[4:5]
	v_mul_f32_e32 v26, 0x37800000, v24
	v_cndmask_b32_e32 v24, v24, v26, vcc
	v_cmp_class_f32_e32 vcc, v23, v37
	v_cndmask_b32_e32 v23, v24, v23, vcc
	v_mul_f32_e32 v23, v25, v23
.LBB248_34:                             ;   in Loop: Header=BB248_5 Depth=1
	s_or_b64 exec, exec, s[26:27]
                                        ; implicit-def: $vgpr24
                                        ; implicit-def: $vgpr25
.LBB248_35:                             ;   in Loop: Header=BB248_5 Depth=1
	s_andn2_saveexec_b64 s[24:25], s[24:25]
	s_cbranch_execz .LBB248_37
; %bb.36:                               ;   in Loop: Header=BB248_5 Depth=1
	v_div_scale_f32 v23, s[4:5], v24, v24, v25
	v_div_scale_f32 v26, vcc, v25, v24, v25
	v_rcp_f32_e32 v27, v23
	v_fma_f32 v28, -v23, v27, 1.0
	v_fmac_f32_e32 v27, v28, v27
	v_mul_f32_e32 v28, v26, v27
	v_fma_f32 v29, -v23, v28, v26
	v_fmac_f32_e32 v28, v29, v27
	v_fma_f32 v23, -v23, v28, v26
	v_div_fmas_f32 v23, v23, v27, v28
	v_div_fixup_f32 v23, v23, v24, v25
	v_fma_f32 v23, v23, v23, 1.0
	v_mul_f32_e32 v25, 0x4f800000, v23
	v_cmp_gt_f32_e32 vcc, s34, v23
	v_cndmask_b32_e32 v23, v23, v25, vcc
	v_sqrt_f32_e32 v25, v23
	v_add_u32_e32 v26, -1, v25
	v_add_u32_e32 v27, 1, v25
	v_fma_f32 v28, -v26, v25, v23
	v_fma_f32 v29, -v27, v25, v23
	v_cmp_ge_f32_e64 s[4:5], 0, v28
	v_cndmask_b32_e64 v25, v25, v26, s[4:5]
	v_cmp_lt_f32_e64 s[4:5], 0, v29
	v_cndmask_b32_e64 v25, v25, v27, s[4:5]
	v_mul_f32_e32 v26, 0x37800000, v25
	v_cndmask_b32_e32 v25, v25, v26, vcc
	v_cmp_class_f32_e32 vcc, v23, v37
	v_cndmask_b32_e32 v23, v25, v23, vcc
	v_mul_f32_e32 v23, v24, v23
.LBB248_37:                             ;   in Loop: Header=BB248_5 Depth=1
	s_or_b64 exec, exec, s[24:25]
	v_cmp_gt_f32_e32 vcc, 0, v9
	v_cndmask_b32_e64 v24, v9, -v9, vcc
	v_cmp_gt_f32_e32 vcc, 0, v10
	v_cndmask_b32_e64 v25, v10, -v10, vcc
	v_cmp_ngt_f32_e32 vcc, v24, v25
                                        ; implicit-def: $vgpr26
	s_and_saveexec_b64 s[4:5], vcc
	s_xor_b64 s[24:25], exec, s[4:5]
	s_cbranch_execz .LBB248_41
; %bb.38:                               ;   in Loop: Header=BB248_5 Depth=1
	v_mov_b32_e32 v26, 0
	v_cmp_neq_f32_e32 vcc, 0, v10
	s_and_saveexec_b64 s[26:27], vcc
	s_cbranch_execz .LBB248_40
; %bb.39:                               ;   in Loop: Header=BB248_5 Depth=1
	v_div_scale_f32 v26, s[4:5], v25, v25, v24
	v_div_scale_f32 v27, vcc, v24, v25, v24
	v_rcp_f32_e32 v28, v26
	v_fma_f32 v29, -v26, v28, 1.0
	v_fmac_f32_e32 v28, v29, v28
	v_mul_f32_e32 v29, v27, v28
	v_fma_f32 v30, -v26, v29, v27
	v_fmac_f32_e32 v29, v30, v28
	v_fma_f32 v26, -v26, v29, v27
	v_div_fmas_f32 v26, v26, v28, v29
	v_div_fixup_f32 v24, v26, v25, v24
	v_fma_f32 v24, v24, v24, 1.0
	v_mul_f32_e32 v26, 0x4f800000, v24
	v_cmp_gt_f32_e32 vcc, s34, v24
	v_cndmask_b32_e32 v24, v24, v26, vcc
	v_sqrt_f32_e32 v26, v24
	v_add_u32_e32 v27, -1, v26
	v_add_u32_e32 v28, 1, v26
	v_fma_f32 v29, -v27, v26, v24
	v_fma_f32 v30, -v28, v26, v24
	v_cmp_ge_f32_e64 s[4:5], 0, v29
	v_cndmask_b32_e64 v26, v26, v27, s[4:5]
	v_cmp_lt_f32_e64 s[4:5], 0, v30
	v_cndmask_b32_e64 v26, v26, v28, s[4:5]
	v_mul_f32_e32 v27, 0x37800000, v26
	v_cndmask_b32_e32 v26, v26, v27, vcc
	v_cmp_class_f32_e32 vcc, v24, v37
	v_cndmask_b32_e32 v24, v26, v24, vcc
	v_mul_f32_e32 v26, v25, v24
.LBB248_40:                             ;   in Loop: Header=BB248_5 Depth=1
	s_or_b64 exec, exec, s[26:27]
                                        ; implicit-def: $vgpr24
                                        ; implicit-def: $vgpr25
.LBB248_41:                             ;   in Loop: Header=BB248_5 Depth=1
	s_andn2_saveexec_b64 s[24:25], s[24:25]
	s_cbranch_execz .LBB248_43
; %bb.42:                               ;   in Loop: Header=BB248_5 Depth=1
	v_div_scale_f32 v26, s[4:5], v24, v24, v25
	v_div_scale_f32 v27, vcc, v25, v24, v25
	v_rcp_f32_e32 v28, v26
	v_fma_f32 v29, -v26, v28, 1.0
	v_fmac_f32_e32 v28, v29, v28
	v_mul_f32_e32 v29, v27, v28
	v_fma_f32 v30, -v26, v29, v27
	v_fmac_f32_e32 v29, v30, v28
	v_fma_f32 v26, -v26, v29, v27
	v_div_fmas_f32 v26, v26, v28, v29
	v_div_fixup_f32 v25, v26, v24, v25
	v_fma_f32 v25, v25, v25, 1.0
	v_mul_f32_e32 v26, 0x4f800000, v25
	v_cmp_gt_f32_e32 vcc, s34, v25
	v_cndmask_b32_e32 v25, v25, v26, vcc
	v_sqrt_f32_e32 v26, v25
	v_add_u32_e32 v27, -1, v26
	v_add_u32_e32 v28, 1, v26
	v_fma_f32 v29, -v27, v26, v25
	v_fma_f32 v30, -v28, v26, v25
	v_cmp_ge_f32_e64 s[4:5], 0, v29
	v_cndmask_b32_e64 v26, v26, v27, s[4:5]
	v_cmp_lt_f32_e64 s[4:5], 0, v30
	v_cndmask_b32_e64 v26, v26, v28, s[4:5]
	v_mul_f32_e32 v27, 0x37800000, v26
	v_cndmask_b32_e32 v26, v26, v27, vcc
	v_cmp_class_f32_e32 vcc, v25, v37
	v_cndmask_b32_e32 v25, v26, v25, vcc
	v_mul_f32_e32 v26, v24, v25
.LBB248_43:                             ;   in Loop: Header=BB248_5 Depth=1
	s_or_b64 exec, exec, s[24:25]
	v_cmp_gt_f32_e32 vcc, 0, v7
	v_cndmask_b32_e64 v24, v7, -v7, vcc
	v_cmp_gt_f32_e32 vcc, 0, v8
	v_cndmask_b32_e64 v25, v8, -v8, vcc
	v_cmp_ngt_f32_e32 vcc, v24, v25
                                        ; implicit-def: $vgpr27
	s_and_saveexec_b64 s[4:5], vcc
	s_xor_b64 s[24:25], exec, s[4:5]
	s_cbranch_execz .LBB248_47
; %bb.44:                               ;   in Loop: Header=BB248_5 Depth=1
	v_mov_b32_e32 v27, 0
	v_cmp_neq_f32_e32 vcc, 0, v8
	s_and_saveexec_b64 s[26:27], vcc
	s_cbranch_execz .LBB248_46
; %bb.45:                               ;   in Loop: Header=BB248_5 Depth=1
	v_div_scale_f32 v27, s[4:5], v25, v25, v24
	v_div_scale_f32 v28, vcc, v24, v25, v24
	v_rcp_f32_e32 v29, v27
	v_fma_f32 v30, -v27, v29, 1.0
	v_fmac_f32_e32 v29, v30, v29
	v_mul_f32_e32 v30, v28, v29
	v_fma_f32 v31, -v27, v30, v28
	v_fmac_f32_e32 v30, v31, v29
	v_fma_f32 v27, -v27, v30, v28
	v_div_fmas_f32 v27, v27, v29, v30
	v_div_fixup_f32 v24, v27, v25, v24
	v_fma_f32 v24, v24, v24, 1.0
	v_mul_f32_e32 v27, 0x4f800000, v24
	v_cmp_gt_f32_e32 vcc, s34, v24
	v_cndmask_b32_e32 v24, v24, v27, vcc
	v_sqrt_f32_e32 v27, v24
	v_add_u32_e32 v28, -1, v27
	v_add_u32_e32 v29, 1, v27
	v_fma_f32 v30, -v28, v27, v24
	v_fma_f32 v31, -v29, v27, v24
	v_cmp_ge_f32_e64 s[4:5], 0, v30
	v_cndmask_b32_e64 v27, v27, v28, s[4:5]
	v_cmp_lt_f32_e64 s[4:5], 0, v31
	v_cndmask_b32_e64 v27, v27, v29, s[4:5]
	v_mul_f32_e32 v28, 0x37800000, v27
	v_cndmask_b32_e32 v27, v27, v28, vcc
	v_cmp_class_f32_e32 vcc, v24, v37
	v_cndmask_b32_e32 v24, v27, v24, vcc
	v_mul_f32_e32 v27, v25, v24
.LBB248_46:                             ;   in Loop: Header=BB248_5 Depth=1
	s_or_b64 exec, exec, s[26:27]
                                        ; implicit-def: $vgpr24
                                        ; implicit-def: $vgpr25
.LBB248_47:                             ;   in Loop: Header=BB248_5 Depth=1
	s_andn2_saveexec_b64 s[24:25], s[24:25]
	s_cbranch_execz .LBB248_49
; %bb.48:                               ;   in Loop: Header=BB248_5 Depth=1
	v_div_scale_f32 v27, s[4:5], v24, v24, v25
	v_div_scale_f32 v28, vcc, v25, v24, v25
	v_rcp_f32_e32 v29, v27
	v_fma_f32 v30, -v27, v29, 1.0
	v_fmac_f32_e32 v29, v30, v29
	v_mul_f32_e32 v30, v28, v29
	v_fma_f32 v31, -v27, v30, v28
	v_fmac_f32_e32 v30, v31, v29
	v_fma_f32 v27, -v27, v30, v28
	v_div_fmas_f32 v27, v27, v29, v30
	v_div_fixup_f32 v25, v27, v24, v25
	v_fma_f32 v25, v25, v25, 1.0
	v_mul_f32_e32 v27, 0x4f800000, v25
	v_cmp_gt_f32_e32 vcc, s34, v25
	v_cndmask_b32_e32 v25, v25, v27, vcc
	v_sqrt_f32_e32 v27, v25
	v_add_u32_e32 v28, -1, v27
	v_add_u32_e32 v29, 1, v27
	v_fma_f32 v30, -v28, v27, v25
	v_fma_f32 v31, -v29, v27, v25
	v_cmp_ge_f32_e64 s[4:5], 0, v30
	v_cndmask_b32_e64 v27, v27, v28, s[4:5]
	v_cmp_lt_f32_e64 s[4:5], 0, v31
	v_cndmask_b32_e64 v27, v27, v29, s[4:5]
	v_mul_f32_e32 v28, 0x37800000, v27
	v_cndmask_b32_e32 v27, v27, v28, vcc
	v_cmp_class_f32_e32 vcc, v25, v37
	v_cndmask_b32_e32 v25, v27, v25, vcc
	v_mul_f32_e32 v27, v24, v25
.LBB248_49:                             ;   in Loop: Header=BB248_5 Depth=1
	s_or_b64 exec, exec, s[24:25]
	v_mul_f32_e64 v24, v14, -v6
	v_fmac_f32_e32 v24, v5, v13
	v_mul_f32_e32 v25, v5, v14
	v_fmac_f32_e32 v25, v6, v13
	v_cmp_gt_f32_e32 vcc, 0, v24
	v_cndmask_b32_e64 v28, v24, -v24, vcc
	v_cmp_gt_f32_e32 vcc, 0, v25
	v_cndmask_b32_e64 v29, v25, -v25, vcc
	v_cmp_ngt_f32_e32 vcc, v28, v29
                                        ; implicit-def: $vgpr30
	s_and_saveexec_b64 s[4:5], vcc
	s_xor_b64 s[24:25], exec, s[4:5]
	s_cbranch_execz .LBB248_53
; %bb.50:                               ;   in Loop: Header=BB248_5 Depth=1
	v_mov_b32_e32 v30, 0
	v_cmp_neq_f32_e32 vcc, 0, v25
	s_and_saveexec_b64 s[26:27], vcc
	s_cbranch_execz .LBB248_52
; %bb.51:                               ;   in Loop: Header=BB248_5 Depth=1
	v_div_scale_f32 v30, s[4:5], v29, v29, v28
	v_div_scale_f32 v31, vcc, v28, v29, v28
	v_rcp_f32_e32 v32, v30
	v_fma_f32 v33, -v30, v32, 1.0
	v_fmac_f32_e32 v32, v33, v32
	v_mul_f32_e32 v33, v31, v32
	v_fma_f32 v34, -v30, v33, v31
	v_fmac_f32_e32 v33, v34, v32
	v_fma_f32 v30, -v30, v33, v31
	v_div_fmas_f32 v30, v30, v32, v33
	v_div_fixup_f32 v28, v30, v29, v28
	v_fma_f32 v28, v28, v28, 1.0
	v_mul_f32_e32 v30, 0x4f800000, v28
	v_cmp_gt_f32_e32 vcc, s34, v28
	v_cndmask_b32_e32 v28, v28, v30, vcc
	v_sqrt_f32_e32 v30, v28
	v_add_u32_e32 v31, -1, v30
	v_add_u32_e32 v32, 1, v30
	v_fma_f32 v33, -v31, v30, v28
	v_fma_f32 v34, -v32, v30, v28
	v_cmp_ge_f32_e64 s[4:5], 0, v33
	v_cndmask_b32_e64 v30, v30, v31, s[4:5]
	v_cmp_lt_f32_e64 s[4:5], 0, v34
	v_cndmask_b32_e64 v30, v30, v32, s[4:5]
	v_mul_f32_e32 v31, 0x37800000, v30
	v_cndmask_b32_e32 v30, v30, v31, vcc
	v_cmp_class_f32_e32 vcc, v28, v37
	v_cndmask_b32_e32 v28, v30, v28, vcc
	v_mul_f32_e32 v30, v29, v28
.LBB248_52:                             ;   in Loop: Header=BB248_5 Depth=1
	s_or_b64 exec, exec, s[26:27]
                                        ; implicit-def: $vgpr28
                                        ; implicit-def: $vgpr29
.LBB248_53:                             ;   in Loop: Header=BB248_5 Depth=1
	s_andn2_saveexec_b64 s[24:25], s[24:25]
	s_cbranch_execz .LBB248_55
; %bb.54:                               ;   in Loop: Header=BB248_5 Depth=1
	v_div_scale_f32 v30, s[4:5], v28, v28, v29
	v_div_scale_f32 v31, vcc, v29, v28, v29
	v_rcp_f32_e32 v32, v30
	v_fma_f32 v33, -v30, v32, 1.0
	v_fmac_f32_e32 v32, v33, v32
	v_mul_f32_e32 v33, v31, v32
	v_fma_f32 v34, -v30, v33, v31
	v_fmac_f32_e32 v33, v34, v32
	v_fma_f32 v30, -v30, v33, v31
	v_div_fmas_f32 v30, v30, v32, v33
	v_div_fixup_f32 v29, v30, v28, v29
	v_fma_f32 v29, v29, v29, 1.0
	v_mul_f32_e32 v30, 0x4f800000, v29
	v_cmp_gt_f32_e32 vcc, s34, v29
	v_cndmask_b32_e32 v29, v29, v30, vcc
	v_sqrt_f32_e32 v30, v29
	v_add_u32_e32 v31, -1, v30
	v_add_u32_e32 v32, 1, v30
	v_fma_f32 v33, -v31, v30, v29
	v_fma_f32 v34, -v32, v30, v29
	v_cmp_ge_f32_e64 s[4:5], 0, v33
	v_cndmask_b32_e64 v30, v30, v31, s[4:5]
	v_cmp_lt_f32_e64 s[4:5], 0, v34
	v_cndmask_b32_e64 v30, v30, v32, s[4:5]
	v_mul_f32_e32 v31, 0x37800000, v30
	v_cndmask_b32_e32 v30, v30, v31, vcc
	v_cmp_class_f32_e32 vcc, v29, v37
	v_cndmask_b32_e32 v29, v30, v29, vcc
	v_mul_f32_e32 v30, v28, v29
.LBB248_55:                             ;   in Loop: Header=BB248_5 Depth=1
	s_or_b64 exec, exec, s[24:25]
	v_cmp_lt_f32_e32 vcc, v4, v21
	v_cndmask_b32_e32 v4, v4, v21, vcc
	v_cmp_lt_f32_e32 vcc, v22, v4
	v_cndmask_b32_e32 v4, v22, v4, vcc
	;; [unrolled: 2-line block ×4, first 2 shown]
	v_cvt_f64_f32_e32 v[21:22], v4
	v_cvt_f64_f32_e32 v[26:27], v27
	v_cvt_f64_f32_e32 v[28:29], v30
	v_cmp_ne_u32_e64 s[4:5], s30, v3
	v_mul_f64 v[21:22], v[21:22], v[26:27]
	v_mul_f64 v[26:27], v[28:29], s[22:23]
	v_cmp_nge_f64_e32 vcc, v[21:22], v[26:27]
	s_and_b64 s[4:5], s[4:5], vcc
	s_and_saveexec_b64 s[24:25], s[4:5]
	s_xor_b64 s[4:5], exec, s[24:25]
	s_cbranch_execz .LBB248_61
; %bb.56:                               ;   in Loop: Header=BB248_5 Depth=1
	v_mul_f32_e64 v4, v20, -v8
	v_mul_f32_e32 v21, v7, v20
	v_fmac_f32_e32 v4, v7, v19
	v_fmac_f32_e32 v21, v8, v19
	v_sub_f32_e32 v23, v4, v24
	v_sub_f32_e32 v24, v21, v25
	v_mul_f32_e32 v33, v24, v24
	v_fmac_f32_e32 v33, v23, v23
	v_div_scale_f32 v21, s[24:25], v33, v33, 1.0
	v_div_scale_f32 v22, vcc, 1.0, v33, 1.0
	v_ashrrev_i32_e32 v4, 31, v3
	v_mov_b32_e32 v30, s11
	v_lshlrev_b64 v[11:12], 2, v[11:12]
	v_rcp_f32_e32 v25, v21
	v_fma_f32 v26, -v21, v25, 1.0
	v_fmac_f32_e32 v25, v26, v25
	v_mul_f32_e32 v26, v22, v25
	v_fma_f32 v27, -v21, v26, v22
	v_fmac_f32_e32 v26, v27, v25
	v_fma_f32 v21, -v21, v26, v22
	v_div_fmas_f32 v34, v21, v25, v26
	v_add_u32_e32 v25, v35, v3
	v_lshlrev_b64 v[21:22], 3, v[3:4]
	v_ashrrev_i32_e32 v26, 31, v25
	v_add_co_u32_e32 v31, vcc, v1, v21
	v_lshlrev_b64 v[27:28], 3, v[25:26]
	v_addc_co_u32_e32 v32, vcc, v2, v22, vcc
	v_add_co_u32_e32 v29, vcc, s10, v27
	v_fma_f32 v4, 0, v24, v23
	v_fma_f32 v23, v23, 0, -v24
	v_addc_co_u32_e32 v30, vcc, v30, v28, vcc
	v_div_fixup_f32 v21, v34, v33, 1.0
	v_mul_f32_e32 v4, v4, v21
	v_mul_f32_e32 v40, v23, v21
	global_load_dwordx2 v[21:22], v[31:32], off
	global_load_dwordx2 v[23:24], v[29:30], off
	s_waitcnt vmcnt(1)
	v_mul_f32_e64 v33, v22, -v20
	s_waitcnt vmcnt(0)
	v_mul_f32_e64 v34, v24, -v14
	v_fmac_f32_e32 v33, v19, v21
	v_fmac_f32_e32 v34, v13, v23
	v_sub_f32_e32 v41, v33, v34
	v_mul_f32_e32 v33, v19, v22
	v_mul_f32_e32 v34, v24, v13
	v_fmac_f32_e32 v33, v20, v21
	v_fmac_f32_e32 v34, v14, v23
	v_sub_f32_e32 v42, v33, v34
	v_mul_f32_e64 v33, v40, -v42
	v_mul_f32_e32 v34, v40, v41
	v_fmac_f32_e32 v33, v41, v4
	v_fmac_f32_e32 v34, v42, v4
	global_store_dwordx2 v[31:32], v[33:34], off
	v_mov_b32_e32 v31, s13
	v_add_co_u32_e32 v41, vcc, s12, v15
	v_addc_co_u32_e32 v42, vcc, v31, v16, vcc
	global_load_dwordx2 v[31:32], v[41:42], off
	s_waitcnt vmcnt(0)
	v_mul_f32_e64 v43, v32, -v20
	v_mul_f32_e32 v44, v19, v32
	v_fmac_f32_e32 v43, v19, v31
	v_fmac_f32_e32 v44, v20, v31
	v_mov_b32_e32 v20, s13
	v_add_co_u32_e32 v19, vcc, s12, v27
	v_addc_co_u32_e32 v20, vcc, v20, v28, vcc
	global_load_dwordx2 v[33:34], v[19:20], off
	v_add_co_u32_e32 v15, vcc, s14, v15
	s_waitcnt vmcnt(0)
	v_mul_f32_e64 v45, v34, -v14
	v_fmac_f32_e32 v45, v13, v33
	v_sub_f32_e32 v45, v43, v45
	v_mul_f32_e32 v43, v34, v13
	v_fmac_f32_e32 v43, v14, v33
	v_sub_f32_e32 v46, v44, v43
	v_mul_f32_e64 v43, v40, -v46
	v_mul_f32_e32 v44, v40, v45
	v_fmac_f32_e32 v43, v45, v4
	v_fmac_f32_e32 v44, v46, v4
	global_store_dwordx2 v[41:42], v[43:44], off
	v_mov_b32_e32 v41, s15
	v_addc_co_u32_e32 v16, vcc, v41, v16, vcc
	v_mul_f32_e32 v41, v10, v14
	v_fma_f32 v41, -v13, v9, v41
	v_mul_f32_e64 v13, v10, -v13
	v_fma_f32 v42, -v14, v9, v13
	v_mul_f32_e64 v13, v40, -v42
	v_mul_f32_e32 v14, v40, v41
	v_fmac_f32_e32 v13, v41, v4
	v_fmac_f32_e32 v14, v42, v4
	global_store_dwordx2 v[15:16], v[13:14], off
	v_mov_b32_e32 v13, s7
	v_add_co_u32_e32 v11, vcc, s6, v11
	v_addc_co_u32_e32 v12, vcc, v13, v12, vcc
	global_store_dword v[11:12], v38, off
	s_and_saveexec_b64 s[24:25], s[0:1]
	s_cbranch_execz .LBB248_58
; %bb.57:                               ;   in Loop: Header=BB248_5 Depth=1
	v_mul_f32_e32 v11, v6, v22
	v_mul_f32_e64 v12, v22, -v5
	v_mul_f32_e64 v13, v24, -v8
	v_mul_f32_e32 v14, v7, v24
	v_fma_f32 v11, -v5, v21, v11
	v_fma_f32 v12, -v6, v21, v12
	v_fmac_f32_e32 v13, v7, v23
	v_fmac_f32_e32 v14, v8, v23
	v_add_f32_e32 v13, v11, v13
	v_add_f32_e32 v14, v12, v14
	v_mul_f32_e64 v11, v40, -v14
	v_mul_f32_e32 v12, v40, v13
	v_fmac_f32_e32 v11, v13, v4
	v_fmac_f32_e32 v12, v14, v4
	global_store_dwordx2 v[29:30], v[11:12], off
	v_mul_f32_e32 v11, v6, v32
	v_mul_f32_e64 v12, v32, -v5
	v_mul_f32_e64 v13, v34, -v8
	v_mul_f32_e32 v14, v7, v34
	v_fma_f32 v11, -v5, v31, v11
	v_fma_f32 v12, -v6, v31, v12
	v_fmac_f32_e32 v13, v7, v33
	v_fmac_f32_e32 v14, v8, v33
	v_add_f32_e32 v13, v11, v13
	v_add_f32_e32 v14, v12, v14
	v_mul_f32_e64 v11, v40, -v14
	v_mul_f32_e32 v12, v40, v13
	v_fmac_f32_e32 v11, v13, v4
	v_fmac_f32_e32 v12, v14, v4
	v_mul_f32_e32 v13, v7, v10
	global_store_dwordx2 v[19:20], v[11:12], off
	v_mul_f32_e64 v12, v10, -v8
	v_fmac_f32_e32 v13, v8, v9
	v_fmac_f32_e32 v12, v7, v9
	v_mul_f32_e64 v11, v40, -v13
	v_fmac_f32_e32 v11, v12, v4
	v_mul_f32_e32 v12, v40, v12
	v_fmac_f32_e32 v12, v13, v4
	v_mov_b32_e32 v14, s15
	v_add_co_u32_e32 v13, vcc, s14, v27
	v_addc_co_u32_e32 v14, vcc, v14, v28, vcc
	global_store_dwordx2 v[13:14], v[11:12], off
	v_lshlrev_b64 v[11:12], 2, v[25:26]
	v_mov_b32_e32 v13, s7
	v_add_co_u32_e32 v11, vcc, s6, v11
	v_addc_co_u32_e32 v12, vcc, v13, v12, vcc
	global_store_dword v[11:12], v38, off
.LBB248_58:                             ;   in Loop: Header=BB248_5 Depth=1
	s_or_b64 exec, exec, s[24:25]
	v_mov_b32_e32 v12, 0
	v_mov_b32_e32 v11, 0
	s_and_saveexec_b64 s[24:25], s[2:3]
	s_cbranch_execz .LBB248_60
; %bb.59:                               ;   in Loop: Header=BB248_5 Depth=1
	v_add_u32_e32 v11, v36, v3
	v_ashrrev_i32_e32 v12, 31, v11
	v_lshlrev_b64 v[11:12], 3, v[11:12]
	v_mov_b32_e32 v14, s11
	v_add_co_u32_e32 v13, vcc, s10, v11
	v_addc_co_u32_e32 v14, vcc, v14, v12, vcc
	v_mov_b32_e32 v19, s19
	v_add_co_u32_e32 v11, vcc, s18, v11
	v_addc_co_u32_e32 v12, vcc, v19, v12, vcc
	global_load_dwordx2 v[15:16], v[13:14], off
	v_mul_f32_e32 v19, v6, v18
	global_load_dwordx2 v[11:12], v[11:12], off
	v_mul_f32_e64 v20, v18, -v5
	v_mul_f32_e64 v25, v18, -v8
	v_mul_f32_e32 v26, v7, v18
	v_mul_f32_e64 v27, v8, -v18
	v_mul_f32_e32 v28, v8, v17
	v_fma_f32 v5, -v5, v17, v19
	v_fma_f32 v6, -v6, v17, v20
	v_fmac_f32_e32 v25, v7, v17
	v_fmac_f32_e32 v26, v8, v17
	v_fmac_f32_e32 v27, v17, v7
	v_fmac_f32_e32 v28, v18, v7
	v_mul_f32_e64 v7, v40, -v6
	v_mul_f32_e32 v8, v40, v5
	v_mul_f32_e64 v17, v40, -v26
	v_mul_f32_e32 v18, v40, v25
	v_mul_f32_e64 v19, v10, -v28
	v_mul_f32_e32 v10, v10, v27
	v_fmac_f32_e32 v7, v5, v4
	v_fmac_f32_e32 v8, v6, v4
	;; [unrolled: 1-line block ×6, first 2 shown]
	v_mul_f32_e32 v5, v8, v22
	v_mul_f32_e64 v6, v22, -v7
	v_mul_f32_e64 v9, v24, -v18
	v_mul_f32_e32 v20, v17, v24
	v_mul_f32_e64 v22, v40, -v10
	v_mul_f32_e32 v24, v40, v19
	v_fma_f32 v5, -v7, v21, v5
	v_fma_f32 v6, -v8, v21, v6
	v_fmac_f32_e32 v9, v17, v23
	v_fmac_f32_e32 v20, v18, v23
	;; [unrolled: 1-line block ×4, first 2 shown]
	v_sub_f32_e32 v4, v5, v9
	v_sub_f32_e32 v5, v6, v20
	s_waitcnt vmcnt(1)
	v_add_f32_e32 v4, v4, v15
	v_add_f32_e32 v5, v5, v16
	s_waitcnt vmcnt(0)
	v_sub_f32_e32 v11, v11, v22
	v_sub_f32_e32 v12, v12, v24
	global_store_dwordx2 v[13:14], v[4:5], off
.LBB248_60:                             ;   in Loop: Header=BB248_5 Depth=1
	s_or_b64 exec, exec, s[24:25]
	v_mov_b32_e32 v8, v12
	v_mov_b32_e32 v7, v11
                                        ; implicit-def: $vgpr13_vgpr14
                                        ; implicit-def: $vgpr5
                                        ; implicit-def: $vgpr19
                                        ; implicit-def: $vgpr24
                                        ; implicit-def: $vgpr25
                                        ; implicit-def: $vgpr11_vgpr12
                                        ; implicit-def: $vgpr15_vgpr16
.LBB248_61:                             ;   in Loop: Header=BB248_5 Depth=1
	s_or_saveexec_b64 s[2:3], s[4:5]
	v_mov_b32_e32 v4, s33
	s_xor_b64 exec, exec, s[2:3]
	s_cbranch_execz .LBB248_4
; %bb.62:                               ;   in Loop: Header=BB248_5 Depth=1
	v_ashrrev_i32_e32 v4, 31, v3
	v_lshlrev_b64 v[9:10], 3, v[3:4]
	v_mov_b32_e32 v4, s13
	v_add_co_u32_e32 v17, vcc, s12, v15
	v_addc_co_u32_e32 v18, vcc, v4, v16, vcc
	v_add_co_u32_e32 v26, vcc, v1, v9
	v_addc_co_u32_e32 v27, vcc, v2, v10, vcc
	global_load_dwordx2 v[21:22], v[17:18], off
	global_load_dwordx2 v[9:10], v[26:27], off
	v_mul_f32_e32 v4, v8, v8
	v_fmac_f32_e32 v4, v7, v7
	v_div_scale_f32 v23, s[4:5], v4, v4, 1.0
	v_div_scale_f32 v28, vcc, 1.0, v4, 1.0
	v_rcp_f32_e32 v29, v23
	v_fma_f32 v30, -v23, v29, 1.0
	v_fmac_f32_e32 v29, v30, v29
	v_mul_f32_e32 v30, v28, v29
	v_fma_f32 v31, -v23, v30, v28
	v_fmac_f32_e32 v30, v31, v29
	v_fma_f32 v23, -v23, v30, v28
	v_div_fmas_f32 v23, v23, v29, v30
	v_fma_f32 v28, 0, v8, v7
	v_fma_f32 v29, v7, 0, -v8
	v_mov_b32_e32 v30, s15
	v_lshlrev_b64 v[7:8], 2, v[11:12]
	v_add_co_u32_e32 v11, vcc, s14, v15
	v_addc_co_u32_e32 v12, vcc, v30, v16, vcc
	v_add_co_u32_e32 v15, vcc, s6, v7
	v_mov_b32_e32 v31, s7
	v_addc_co_u32_e32 v16, vcc, v31, v8, vcc
	v_div_fixup_f32 v7, v23, v4, 1.0
	v_mul_f32_e32 v4, v28, v7
	v_mul_f32_e32 v7, v29, v7
	v_mul_f32_e64 v28, v7, -v14
	v_mul_f32_e32 v29, v7, v13
	v_fmac_f32_e32 v28, v13, v4
	v_fmac_f32_e32 v29, v14, v4
	global_store_dwordx2 v[11:12], v[28:29], off
	s_waitcnt vmcnt(2)
	v_mul_f32_e64 v11, v7, -v22
	v_mul_f32_e32 v12, v7, v21
	s_waitcnt vmcnt(1)
	v_mul_f32_e64 v13, v7, -v10
	v_mul_f32_e32 v14, v7, v9
	v_fmac_f32_e32 v11, v21, v4
	v_fmac_f32_e32 v12, v22, v4
	;; [unrolled: 1-line block ×4, first 2 shown]
	global_store_dwordx2 v[17:18], v[11:12], off
	global_store_dwordx2 v[26:27], v[13:14], off
	global_store_dword v[15:16], v39, off
	s_and_saveexec_b64 s[4:5], s[0:1]
	s_cbranch_execz .LBB248_3
; %bb.63:                               ;   in Loop: Header=BB248_5 Depth=1
	v_add_u32_e32 v11, v35, v3
	v_ashrrev_i32_e32 v12, 31, v11
	v_lshlrev_b64 v[11:12], 3, v[11:12]
	v_mov_b32_e32 v8, s11
	v_add_co_u32_e32 v11, vcc, s10, v11
	v_addc_co_u32_e32 v12, vcc, v8, v12, vcc
	global_load_dwordx2 v[13:14], v[11:12], off
	v_mul_f32_e32 v8, v7, v5
	v_mul_f32_e64 v15, v7, -v6
	v_fmac_f32_e32 v8, v6, v4
	v_fmac_f32_e32 v15, v5, v4
	v_mul_f32_e32 v5, v8, v10
	v_mul_f32_e64 v6, v10, -v15
	v_fma_f32 v5, -v15, v9, v5
	v_fma_f32 v6, -v8, v9, v6
	s_waitcnt vmcnt(0)
	v_add_f32_e32 v5, v5, v13
	v_add_f32_e32 v6, v6, v14
	global_store_dwordx2 v[11:12], v[5:6], off
	s_branch .LBB248_3
.LBB248_64:
	s_or_b64 exec, exec, s[20:21]
.LBB248_65:
	v_subrev_u32_e32 v5, s28, v3
	v_add_u32_e32 v3, v5, v0
	v_ashrrev_i32_e32 v4, 31, v3
	v_lshlrev_b64 v[3:4], 2, v[3:4]
	s_waitcnt lgkmcnt(0)
	v_mov_b32_e32 v6, s7
	v_add_co_u32_e32 v3, vcc, s6, v3
	v_addc_co_u32_e32 v4, vcc, v6, v4, vcc
	s_waitcnt vmcnt(0)
	buffer_wbinvl1_vol
	global_load_dword v3, v[3:4], off
	s_waitcnt vmcnt(0)
	v_mul_lo_u32 v3, v3, s28
	v_sub_u32_e32 v3, v5, v3
	v_cmp_lt_i32_e32 vcc, -1, v3
	s_and_b64 exec, exec, vcc
	s_cbranch_execz .LBB248_72
; %bb.66:
	v_subrev_u32_e32 v11, s28, v0
	s_lshl_b32 s4, s28, 1
	s_mov_b64 s[0:1], 0
	v_mov_b32_e32 v12, s7
	v_mov_b32_e32 v13, s15
	s_branch .LBB248_68
.LBB248_67:                             ;   in Loop: Header=BB248_68 Depth=1
	s_or_b64 exec, exec, s[2:3]
	s_waitcnt vmcnt(0)
	v_lshlrev_b64 v[5:6], 3, v[7:8]
	v_mov_b32_e32 v7, s13
	v_add_co_u32_e32 v5, vcc, s12, v5
	v_addc_co_u32_e32 v6, vcc, v7, v6, vcc
	global_load_dwordx2 v[7:8], v[5:6], off
	v_sub_u32_e32 v3, v3, v9
	v_cmp_gt_i32_e32 vcc, 0, v3
	s_or_b64 s[0:1], vcc, s[0:1]
	s_waitcnt vmcnt(0)
	v_add_f32_e32 v7, v7, v4
	v_add_f32_e32 v8, v14, v8
	global_store_dwordx2 v[5:6], v[7:8], off
	s_andn2_b64 exec, exec, s[0:1]
	s_cbranch_execz .LBB248_72
.LBB248_68:                             ; =>This Inner Loop Header: Depth=1
	v_add_u32_e32 v7, v3, v0
	v_ashrrev_i32_e32 v8, 31, v7
	v_lshlrev_b64 v[4:5], 2, v[7:8]
	v_lshlrev_b64 v[9:10], 3, v[7:8]
	v_add_co_u32_e32 v4, vcc, s6, v4
	v_addc_co_u32_e32 v5, vcc, v12, v5, vcc
	global_load_dword v14, v[4:5], off
	v_add_co_u32_e32 v4, vcc, s14, v9
	v_addc_co_u32_e32 v5, vcc, v13, v10, vcc
	global_load_dwordx2 v[5:6], v[4:5], off
                                        ; implicit-def: $vgpr4
	s_waitcnt vmcnt(1)
	v_cmp_ne_u32_e32 vcc, 1, v14
                                        ; implicit-def: $vgpr14
	s_and_saveexec_b64 s[2:3], vcc
	s_xor_b64 s[2:3], exec, s[2:3]
	s_cbranch_execz .LBB248_70
; %bb.69:                               ;   in Loop: Header=BB248_68 Depth=1
	v_add_u32_e32 v7, v35, v3
	v_ashrrev_i32_e32 v8, 31, v7
	v_lshlrev_b64 v[7:8], 3, v[7:8]
	v_mov_b32_e32 v4, s11
	v_add_co_u32_e32 v14, vcc, s10, v7
	v_addc_co_u32_e32 v15, vcc, v4, v8, vcc
	v_ashrrev_i32_e32 v4, 31, v3
	v_lshlrev_b64 v[18:19], 3, v[3:4]
	v_mov_b32_e32 v4, s13
	v_add_co_u32_e32 v20, vcc, s12, v7
	v_addc_co_u32_e32 v21, vcc, v4, v8, vcc
	global_load_dwordx2 v[16:17], v[14:15], off
	v_add_co_u32_e32 v18, vcc, v1, v18
	global_load_dwordx2 v[22:23], v[20:21], off
	v_addc_co_u32_e32 v19, vcc, v2, v19, vcc
	global_load_dwordx2 v[24:25], v[18:19], off
	v_add_co_u32_e32 v9, vcc, s12, v9
	v_addc_co_u32_e32 v10, vcc, v4, v10, vcc
	global_load_dwordx2 v[26:27], v[9:10], off
	v_add_u32_e32 v7, v11, v3
	v_ashrrev_i32_e32 v8, 31, v7
	v_lshlrev_b64 v[28:29], 3, v[7:8]
	v_mov_b32_e32 v4, s15
	v_add_co_u32_e32 v30, vcc, s14, v28
	v_addc_co_u32_e32 v31, vcc, v4, v29, vcc
	v_mov_b32_e32 v32, s11
	global_load_dwordx2 v[30:31], v[30:31], off
	s_waitcnt vmcnt(4)
	v_mul_f32_e32 v4, v6, v17
	v_mul_f32_e64 v17, v17, -v5
	v_fma_f32 v4, -v5, v16, v4
	s_waitcnt vmcnt(3)
	v_mul_f32_e32 v33, v6, v23
	v_fma_f32 v16, -v6, v16, v17
	v_mul_f32_e64 v23, v23, -v5
	v_fma_f32 v17, -v5, v22, v33
	s_waitcnt vmcnt(2)
	v_add_f32_e32 v4, v24, v4
	v_add_f32_e32 v5, v16, v25
	v_fma_f32 v6, -v6, v22, v23
	global_store_dwordx2 v[18:19], v[4:5], off
	s_waitcnt vmcnt(2)
	v_add_f32_e32 v16, v26, v17
	v_add_f32_e32 v17, v6, v27
	global_load_dwordx2 v[4:5], v[14:15], off
	v_add_co_u32_e32 v14, vcc, s10, v28
	global_store_dwordx2 v[9:10], v[16:17], off
	v_addc_co_u32_e32 v15, vcc, v32, v29, vcc
	global_load_dwordx2 v[9:10], v[20:21], off
	global_load_dwordx2 v[16:17], v[14:15], off
	s_waitcnt vmcnt(3)
	v_mul_f32_e32 v6, v31, v5
	v_mul_f32_e64 v5, v5, -v30
	v_fma_f32 v6, -v30, v4, v6
	v_fma_f32 v19, -v31, v4, v5
	s_waitcnt vmcnt(1)
	v_mul_f32_e32 v18, v31, v10
	v_mul_f32_e64 v10, v10, -v30
	s_waitcnt vmcnt(0)
	v_add_f32_e32 v5, v16, v6
	v_add_f32_e32 v6, v19, v17
	v_fma_f32 v4, -v30, v9, v18
	global_store_dwordx2 v[14:15], v[5:6], off
	v_fma_f32 v14, -v31, v9, v10
                                        ; implicit-def: $vgpr5_vgpr6
.LBB248_70:                             ;   in Loop: Header=BB248_68 Depth=1
	s_or_saveexec_b64 s[2:3], s[2:3]
	v_mov_b32_e32 v9, s4
	s_xor_b64 exec, exec, s[2:3]
	s_cbranch_execz .LBB248_67
; %bb.71:                               ;   in Loop: Header=BB248_68 Depth=1
	v_add_u32_e32 v9, v35, v3
	v_ashrrev_i32_e32 v10, 31, v9
	v_lshlrev_b64 v[9:10], 3, v[9:10]
	v_mov_b32_e32 v4, s11
	v_add_co_u32_e32 v14, vcc, s10, v9
	v_addc_co_u32_e32 v15, vcc, v4, v10, vcc
	v_ashrrev_i32_e32 v4, 31, v3
	v_mov_b32_e32 v16, s13
	v_add_co_u32_e32 v9, vcc, s12, v9
	v_addc_co_u32_e32 v10, vcc, v16, v10, vcc
	v_lshlrev_b64 v[16:17], 3, v[3:4]
	global_load_dwordx2 v[14:15], v[14:15], off
	v_add_co_u32_e32 v16, vcc, v1, v16
	global_load_dwordx2 v[9:10], v[9:10], off
	v_addc_co_u32_e32 v17, vcc, v2, v17, vcc
	global_load_dwordx2 v[18:19], v[16:17], off
	s_waitcnt vmcnt(2)
	v_mul_f32_e32 v4, v6, v15
	v_mul_f32_e64 v15, v15, -v5
	v_fma_f32 v21, -v5, v14, v4
	s_waitcnt vmcnt(1)
	v_mul_f32_e32 v20, v6, v10
	v_mul_f32_e64 v10, v10, -v5
	v_fma_f32 v15, -v6, v14, v15
	v_fma_f32 v4, -v5, v9, v20
	;; [unrolled: 1-line block ×3, first 2 shown]
	s_waitcnt vmcnt(0)
	v_add_f32_e32 v5, v18, v21
	v_add_f32_e32 v6, v15, v19
	v_mov_b32_e32 v9, s28
	global_store_dwordx2 v[16:17], v[5:6], off
	s_branch .LBB248_67
.LBB248_72:
	s_endpgm
	.section	.rodata,"a",@progbits
	.p2align	6, 0x0
	.amdhsa_kernel _ZN9rocsparseL18gtsv_LBM_wv_kernelILj256ELj128E21rocsparse_complex_numIfEEEviiiPKT1_S5_S5_PS3_S6_S6_Pi
		.amdhsa_group_segment_fixed_size 0
		.amdhsa_private_segment_fixed_size 0
		.amdhsa_kernarg_size 72
		.amdhsa_user_sgpr_count 6
		.amdhsa_user_sgpr_private_segment_buffer 1
		.amdhsa_user_sgpr_dispatch_ptr 0
		.amdhsa_user_sgpr_queue_ptr 0
		.amdhsa_user_sgpr_kernarg_segment_ptr 1
		.amdhsa_user_sgpr_dispatch_id 0
		.amdhsa_user_sgpr_flat_scratch_init 0
		.amdhsa_user_sgpr_private_segment_size 0
		.amdhsa_uses_dynamic_stack 0
		.amdhsa_system_sgpr_private_segment_wavefront_offset 0
		.amdhsa_system_sgpr_workgroup_id_x 1
		.amdhsa_system_sgpr_workgroup_id_y 0
		.amdhsa_system_sgpr_workgroup_id_z 0
		.amdhsa_system_sgpr_workgroup_info 0
		.amdhsa_system_vgpr_workitem_id 0
		.amdhsa_next_free_vgpr 47
		.amdhsa_next_free_sgpr 35
		.amdhsa_reserve_vcc 1
		.amdhsa_reserve_flat_scratch 0
		.amdhsa_float_round_mode_32 0
		.amdhsa_float_round_mode_16_64 0
		.amdhsa_float_denorm_mode_32 3
		.amdhsa_float_denorm_mode_16_64 3
		.amdhsa_dx10_clamp 1
		.amdhsa_ieee_mode 1
		.amdhsa_fp16_overflow 0
		.amdhsa_exception_fp_ieee_invalid_op 0
		.amdhsa_exception_fp_denorm_src 0
		.amdhsa_exception_fp_ieee_div_zero 0
		.amdhsa_exception_fp_ieee_overflow 0
		.amdhsa_exception_fp_ieee_underflow 0
		.amdhsa_exception_fp_ieee_inexact 0
		.amdhsa_exception_int_div_zero 0
	.end_amdhsa_kernel
	.section	.text._ZN9rocsparseL18gtsv_LBM_wv_kernelILj256ELj128E21rocsparse_complex_numIfEEEviiiPKT1_S5_S5_PS3_S6_S6_Pi,"axG",@progbits,_ZN9rocsparseL18gtsv_LBM_wv_kernelILj256ELj128E21rocsparse_complex_numIfEEEviiiPKT1_S5_S5_PS3_S6_S6_Pi,comdat
.Lfunc_end248:
	.size	_ZN9rocsparseL18gtsv_LBM_wv_kernelILj256ELj128E21rocsparse_complex_numIfEEEviiiPKT1_S5_S5_PS3_S6_S6_Pi, .Lfunc_end248-_ZN9rocsparseL18gtsv_LBM_wv_kernelILj256ELj128E21rocsparse_complex_numIfEEEviiiPKT1_S5_S5_PS3_S6_S6_Pi
                                        ; -- End function
	.set _ZN9rocsparseL18gtsv_LBM_wv_kernelILj256ELj128E21rocsparse_complex_numIfEEEviiiPKT1_S5_S5_PS3_S6_S6_Pi.num_vgpr, 47
	.set _ZN9rocsparseL18gtsv_LBM_wv_kernelILj256ELj128E21rocsparse_complex_numIfEEEviiiPKT1_S5_S5_PS3_S6_S6_Pi.num_agpr, 0
	.set _ZN9rocsparseL18gtsv_LBM_wv_kernelILj256ELj128E21rocsparse_complex_numIfEEEviiiPKT1_S5_S5_PS3_S6_S6_Pi.numbered_sgpr, 35
	.set _ZN9rocsparseL18gtsv_LBM_wv_kernelILj256ELj128E21rocsparse_complex_numIfEEEviiiPKT1_S5_S5_PS3_S6_S6_Pi.num_named_barrier, 0
	.set _ZN9rocsparseL18gtsv_LBM_wv_kernelILj256ELj128E21rocsparse_complex_numIfEEEviiiPKT1_S5_S5_PS3_S6_S6_Pi.private_seg_size, 0
	.set _ZN9rocsparseL18gtsv_LBM_wv_kernelILj256ELj128E21rocsparse_complex_numIfEEEviiiPKT1_S5_S5_PS3_S6_S6_Pi.uses_vcc, 1
	.set _ZN9rocsparseL18gtsv_LBM_wv_kernelILj256ELj128E21rocsparse_complex_numIfEEEviiiPKT1_S5_S5_PS3_S6_S6_Pi.uses_flat_scratch, 0
	.set _ZN9rocsparseL18gtsv_LBM_wv_kernelILj256ELj128E21rocsparse_complex_numIfEEEviiiPKT1_S5_S5_PS3_S6_S6_Pi.has_dyn_sized_stack, 0
	.set _ZN9rocsparseL18gtsv_LBM_wv_kernelILj256ELj128E21rocsparse_complex_numIfEEEviiiPKT1_S5_S5_PS3_S6_S6_Pi.has_recursion, 0
	.set _ZN9rocsparseL18gtsv_LBM_wv_kernelILj256ELj128E21rocsparse_complex_numIfEEEviiiPKT1_S5_S5_PS3_S6_S6_Pi.has_indirect_call, 0
	.section	.AMDGPU.csdata,"",@progbits
; Kernel info:
; codeLenInByte = 6096
; TotalNumSgprs: 39
; NumVgprs: 47
; ScratchSize: 0
; MemoryBound: 0
; FloatMode: 240
; IeeeMode: 1
; LDSByteSize: 0 bytes/workgroup (compile time only)
; SGPRBlocks: 4
; VGPRBlocks: 11
; NumSGPRsForWavesPerEU: 39
; NumVGPRsForWavesPerEU: 47
; Occupancy: 5
; WaveLimiterHint : 0
; COMPUTE_PGM_RSRC2:SCRATCH_EN: 0
; COMPUTE_PGM_RSRC2:USER_SGPR: 6
; COMPUTE_PGM_RSRC2:TRAP_HANDLER: 0
; COMPUTE_PGM_RSRC2:TGID_X_EN: 1
; COMPUTE_PGM_RSRC2:TGID_Y_EN: 0
; COMPUTE_PGM_RSRC2:TGID_Z_EN: 0
; COMPUTE_PGM_RSRC2:TIDIG_COMP_CNT: 0
	.section	.text._ZN9rocsparseL19gtsv_LBM_rhs_kernelILj256ELj128ELj8E21rocsparse_complex_numIfEEEviiiPKT2_S5_S5_PS3_S5_PKi,"axG",@progbits,_ZN9rocsparseL19gtsv_LBM_rhs_kernelILj256ELj128ELj8E21rocsparse_complex_numIfEEEviiiPKT2_S5_S5_PS3_S5_PKi,comdat
	.globl	_ZN9rocsparseL19gtsv_LBM_rhs_kernelILj256ELj128ELj8E21rocsparse_complex_numIfEEEviiiPKT2_S5_S5_PS3_S5_PKi ; -- Begin function _ZN9rocsparseL19gtsv_LBM_rhs_kernelILj256ELj128ELj8E21rocsparse_complex_numIfEEEviiiPKT2_S5_S5_PS3_S5_PKi
	.p2align	8
	.type	_ZN9rocsparseL19gtsv_LBM_rhs_kernelILj256ELj128ELj8E21rocsparse_complex_numIfEEEviiiPKT2_S5_S5_PS3_S5_PKi,@function
_ZN9rocsparseL19gtsv_LBM_rhs_kernelILj256ELj128ELj8E21rocsparse_complex_numIfEEEviiiPKT2_S5_S5_PS3_S5_PKi: ; @_ZN9rocsparseL19gtsv_LBM_rhs_kernelILj256ELj128ELj8E21rocsparse_complex_numIfEEEviiiPKT2_S5_S5_PS3_S5_PKi
; %bb.0:
	s_load_dword s23, s[4:5], 0x0
	v_lshl_or_b32 v0, s6, 8, v0
	s_waitcnt lgkmcnt(0)
	s_lshr_b32 s22, s23, 7
	v_cmp_gt_i32_e32 vcc, s22, v0
	s_and_saveexec_b64 s[0:1], vcc
	s_cbranch_execz .LBB249_29
; %bb.1:
	s_load_dwordx4 s[8:11], s[4:5], 0x28
	s_load_dwordx2 s[16:17], s[4:5], 0x38
	s_cmp_lt_i32 s23, 1
	v_add_u32_e32 v25, s22, v0
	s_mul_i32 s24, s7, s23
	s_cbranch_scc1 .LBB249_21
; %bb.2:
	s_load_dwordx4 s[12:15], s[4:5], 0x10
	s_load_dwordx2 s[6:7], s[4:5], 0x20
	v_ashrrev_i32_e32 v1, 31, v0
	v_lshlrev_b64 v[1:2], 3, v[0:1]
	s_lshl_b32 s28, s24, 3
	s_waitcnt lgkmcnt(0)
	v_mov_b32_e32 v3, s15
	v_add_co_u32_e32 v1, vcc, s14, v1
	v_addc_co_u32_e32 v2, vcc, v3, v2, vcc
	global_load_dwordx2 v[3:4], v[1:2], off
	s_add_i32 s29, s28, s23
	s_add_i32 s30, s29, s23
	;; [unrolled: 1-line block ×6, first 2 shown]
	s_mul_i32 s25, s22, 0x7f
	s_mul_i32 s26, s22, 0x7e
	s_lshl_b32 s27, s22, 1
	v_add_u32_e32 v26, s22, v25
	s_add_i32 s36, s35, s23
	v_mov_b32_e32 v2, 0
	s_mov_b64 s[18:19], 0
	v_mov_b32_e32 v28, s7
	v_mov_b32_e32 v27, 0
	s_branch .LBB249_5
.LBB249_3:                              ;   in Loop: Header=BB249_5 Depth=1
	s_or_b64 exec, exec, s[4:5]
	v_fmac_f32_e32 v30, v5, v7
	v_fmac_f32_e32 v29, v6, v7
	v_mul_f32_e64 v1, v31, -v29
	v_mul_f32_e32 v4, v31, v30
	v_fmac_f32_e32 v1, v30, v8
	v_fmac_f32_e32 v4, v29, v8
	v_sub_f32_e32 v3, v9, v1
	v_sub_f32_e32 v4, v10, v4
	v_mov_b32_e32 v8, s22
.LBB249_4:                              ;   in Loop: Header=BB249_5 Depth=1
	s_or_b64 exec, exec, s[2:3]
	v_add_u32_e32 v27, v8, v27
	v_cmp_le_i32_e32 vcc, s23, v27
	s_or_b64 s[18:19], vcc, s[18:19]
	s_andn2_b64 exec, exec, s[18:19]
	s_cbranch_execz .LBB249_20
.LBB249_5:                              ; =>This Inner Loop Header: Depth=1
	v_add_u32_e32 v15, v27, v0
	v_ashrrev_i32_e32 v16, 31, v15
	v_lshlrev_b64 v[5:6], 3, v[15:16]
	v_cmp_gt_u32_e64 s[0:1], s25, v27
	v_add_co_u32_e32 v5, vcc, s6, v5
	v_addc_co_u32_e32 v6, vcc, v28, v6, vcc
	global_load_dwordx2 v[7:8], v[5:6], off
	v_mov_b32_e32 v5, 0
	v_mov_b32_e32 v6, 0
	s_and_saveexec_b64 s[2:3], s[0:1]
	s_cbranch_execz .LBB249_7
; %bb.6:                                ;   in Loop: Header=BB249_5 Depth=1
	v_add_u32_e32 v5, v25, v27
	v_ashrrev_i32_e32 v6, 31, v5
	v_lshlrev_b64 v[5:6], 3, v[5:6]
	v_mov_b32_e32 v1, s13
	v_add_co_u32_e32 v5, vcc, s12, v5
	v_addc_co_u32_e32 v6, vcc, v1, v6, vcc
	global_load_dwordx2 v[5:6], v[5:6], off
.LBB249_7:                              ;   in Loop: Header=BB249_5 Depth=1
	s_or_b64 exec, exec, s[2:3]
	v_mov_b32_e32 v11, 0
	v_mov_b32_e32 v9, 0
	;; [unrolled: 1-line block ×3, first 2 shown]
	s_and_saveexec_b64 s[2:3], s[0:1]
	s_cbranch_execz .LBB249_9
; %bb.8:                                ;   in Loop: Header=BB249_5 Depth=1
	v_add_u32_e32 v9, v25, v27
	v_ashrrev_i32_e32 v10, 31, v9
	v_lshlrev_b64 v[9:10], 3, v[9:10]
	v_mov_b32_e32 v1, s15
	v_add_co_u32_e32 v9, vcc, s14, v9
	v_addc_co_u32_e32 v10, vcc, v1, v10, vcc
	global_load_dwordx2 v[9:10], v[9:10], off
.LBB249_9:                              ;   in Loop: Header=BB249_5 Depth=1
	s_or_b64 exec, exec, s[2:3]
	v_mov_b32_e32 v12, 0
	s_and_saveexec_b64 s[2:3], s[0:1]
	s_cbranch_execz .LBB249_11
; %bb.10:                               ;   in Loop: Header=BB249_5 Depth=1
	v_add_u32_e32 v11, v25, v27
	v_ashrrev_i32_e32 v12, 31, v11
	v_lshlrev_b64 v[11:12], 3, v[11:12]
	v_mov_b32_e32 v1, s7
	v_add_co_u32_e32 v11, vcc, s6, v11
	v_addc_co_u32_e32 v12, vcc, v1, v12, vcc
	global_load_dwordx2 v[11:12], v[11:12], off
.LBB249_11:                             ;   in Loop: Header=BB249_5 Depth=1
	s_or_b64 exec, exec, s[2:3]
	v_cmp_gt_u32_e64 s[2:3], s26, v27
	v_mov_b32_e32 v13, 0
	v_mov_b32_e32 v14, 0
	s_and_saveexec_b64 s[4:5], s[2:3]
	s_cbranch_execz .LBB249_13
; %bb.12:                               ;   in Loop: Header=BB249_5 Depth=1
	v_add_u32_e32 v13, v26, v27
	v_ashrrev_i32_e32 v14, 31, v13
	v_lshlrev_b64 v[13:14], 3, v[13:14]
	v_mov_b32_e32 v1, s13
	v_add_co_u32_e32 v13, vcc, s12, v13
	v_addc_co_u32_e32 v14, vcc, v1, v14, vcc
	global_load_dwordx2 v[13:14], v[13:14], off
.LBB249_13:                             ;   in Loop: Header=BB249_5 Depth=1
	s_or_b64 exec, exec, s[4:5]
	v_lshlrev_b64 v[16:17], 2, v[15:16]
	v_mov_b32_e32 v1, s17
	v_add_co_u32_e32 v16, vcc, s16, v16
	v_addc_co_u32_e32 v17, vcc, v1, v17, vcc
	global_load_dword v20, v[16:17], off
	v_cmp_ne_u32_e32 vcc, s25, v27
	s_waitcnt vmcnt(1)
	v_mul_f32_e64 v30, v8, -v6
	v_mul_f32_e32 v29, v5, v8
	v_add_u32_e32 v1, s28, v15
	v_add_u32_e32 v23, s29, v15
	;; [unrolled: 1-line block ×8, first 2 shown]
	s_waitcnt vmcnt(0)
	v_cmp_ne_u32_e64 s[4:5], 1, v20
	s_and_b64 s[4:5], vcc, s[4:5]
	s_and_saveexec_b64 s[20:21], s[4:5]
	s_xor_b64 s[4:5], exec, s[20:21]
	s_cbranch_execz .LBB249_17
; %bb.14:                               ;   in Loop: Header=BB249_5 Depth=1
	v_mul_f32_e32 v22, v3, v10
	v_mul_f32_e64 v20, v10, -v4
	v_fmac_f32_e32 v22, v4, v9
	v_fmac_f32_e32 v29, v6, v7
	v_fmac_f32_e32 v20, v3, v9
	v_fmac_f32_e32 v30, v5, v7
	v_sub_f32_e32 v33, v22, v29
	v_sub_f32_e32 v20, v20, v30
	v_mul_f32_e32 v35, v33, v33
	v_fmac_f32_e32 v35, v20, v20
	v_div_scale_f32 v31, s[20:21], v35, v35, 1.0
	v_div_scale_f32 v32, vcc, 1.0, v35, 1.0
	v_lshlrev_b64 v[29:30], 3, v[1:2]
	v_mov_b32_e32 v24, v2
	v_mov_b32_e32 v1, s9
	v_lshlrev_b64 v[23:24], 3, v[23:24]
	v_mov_b32_e32 v36, s9
	v_mov_b32_e32 v22, v2
	;; [unrolled: 1-line block ×3, first 2 shown]
	v_rcp_f32_e32 v34, v31
	v_fma_f32 v37, -v31, v34, 1.0
	v_fmac_f32_e32 v34, v37, v34
	v_mul_f32_e32 v37, v32, v34
	v_fma_f32 v38, -v31, v37, v32
	v_fmac_f32_e32 v37, v38, v34
	v_fma_f32 v31, -v31, v37, v32
	v_div_fmas_f32 v39, v31, v34, v37
	v_add_co_u32_e32 v29, vcc, s8, v29
	v_addc_co_u32_e32 v30, vcc, v1, v30, vcc
	v_add_co_u32_e32 v23, vcc, s8, v23
	v_fma_f32 v1, 0, v33, v20
	v_fma_f32 v20, v20, 0, -v33
	v_addc_co_u32_e32 v24, vcc, v36, v24, vcc
	global_load_dwordx2 v[33:34], v[29:30], off
	global_load_dwordx2 v[37:38], v[23:24], off
	v_lshlrev_b64 v[31:32], 3, v[21:22]
	v_add_co_u32_e32 v31, vcc, s8, v31
	v_div_fixup_f32 v22, v39, v35, 1.0
	v_mul_f32_e32 v21, v1, v22
	v_mul_f32_e32 v22, v20, v22
	v_mov_b32_e32 v20, v2
	v_lshlrev_b64 v[19:20], 3, v[19:20]
	v_addc_co_u32_e32 v32, vcc, v40, v32, vcc
	v_add_co_u32_e32 v42, vcc, s8, v19
	v_mov_b32_e32 v19, v2
	v_mov_b32_e32 v1, s9
	v_lshlrev_b64 v[18:19], 3, v[18:19]
	v_addc_co_u32_e32 v43, vcc, v1, v20, vcc
	v_add_co_u32_e32 v53, vcc, s8, v18
	v_add_u32_e32 v39, v25, v27
	v_addc_co_u32_e32 v54, vcc, v1, v19, vcc
	v_add_u32_e32 v1, s28, v39
	v_lshlrev_b64 v[19:20], 3, v[1:2]
	v_mov_b32_e32 v18, v2
	v_mov_b32_e32 v1, s9
	v_add_co_u32_e32 v55, vcc, s8, v19
	v_lshlrev_b64 v[17:18], 3, v[17:18]
	v_addc_co_u32_e32 v56, vcc, v1, v20, vcc
	v_add_co_u32_e32 v57, vcc, s8, v17
	v_mov_b32_e32 v17, v2
	v_lshlrev_b64 v[16:17], 3, v[16:17]
	v_addc_co_u32_e32 v58, vcc, v1, v18, vcc
	v_add_co_u32_e32 v59, vcc, s8, v16
	v_addc_co_u32_e32 v60, vcc, v1, v17, vcc
	v_add_u32_e32 v1, s29, v39
	v_lshlrev_b64 v[17:18], 3, v[1:2]
	v_mov_b32_e32 v16, v2
	v_lshlrev_b64 v[15:16], 3, v[15:16]
	v_mov_b32_e32 v1, s9
	v_add_co_u32_e32 v61, vcc, s8, v17
	v_addc_co_u32_e32 v62, vcc, v1, v18, vcc
	v_mov_b32_e32 v35, s9
	v_add_co_u32_e32 v63, vcc, s8, v15
	v_add_u32_e32 v1, s30, v39
	v_addc_co_u32_e32 v64, vcc, v35, v16, vcc
	v_lshlrev_b64 v[15:16], 3, v[1:2]
	v_mov_b32_e32 v1, s9
	v_add_co_u32_e32 v65, vcc, s8, v15
	global_load_dwordx2 v[19:20], v[55:56], off
	global_load_dwordx2 v[46:47], v[31:32], off
	;; [unrolled: 1-line block ×3, first 2 shown]
	v_addc_co_u32_e32 v66, vcc, v1, v16, vcc
	v_add_u32_e32 v1, s31, v39
	v_lshlrev_b64 v[15:16], 3, v[1:2]
	global_load_dwordx2 v[17:18], v[61:62], off
	v_mov_b32_e32 v1, s9
	v_add_co_u32_e32 v67, vcc, s8, v15
	v_addc_co_u32_e32 v68, vcc, v1, v16, vcc
	v_add_u32_e32 v1, s33, v39
	v_lshlrev_b64 v[35:36], 3, v[1:2]
	global_load_dwordx2 v[15:16], v[65:66], off
	global_load_dwordx2 v[75:76], v[67:68], off
	v_mov_b32_e32 v1, s9
	v_add_co_u32_e32 v69, vcc, s8, v35
	v_addc_co_u32_e32 v70, vcc, v1, v36, vcc
	v_add_u32_e32 v1, s34, v39
	v_lshlrev_b64 v[35:36], 3, v[1:2]
	v_mov_b32_e32 v1, s9
	v_add_co_u32_e32 v71, vcc, s8, v35
	v_addc_co_u32_e32 v72, vcc, v1, v36, vcc
	v_add_u32_e32 v1, s35, v39
	v_lshlrev_b64 v[35:36], 3, v[1:2]
	s_waitcnt vmcnt(7)
	v_mul_f32_e64 v45, v22, -v34
	v_mul_f32_e32 v48, v22, v33
	v_mov_b32_e32 v1, s9
	v_add_co_u32_e32 v77, vcc, s8, v35
	v_fmac_f32_e32 v45, v33, v21
	v_fmac_f32_e32 v48, v34, v21
	global_load_dwordx2 v[33:34], v[53:54], off
	global_load_dwordx2 v[81:82], v[69:70], off
	v_addc_co_u32_e32 v78, vcc, v1, v36, vcc
	v_add_u32_e32 v1, s36, v39
	v_lshlrev_b64 v[35:36], 3, v[1:2]
	v_mov_b32_e32 v1, s9
	v_add_co_u32_e32 v79, vcc, s8, v35
	v_addc_co_u32_e32 v80, vcc, v1, v36, vcc
	global_load_dwordx2 v[83:84], v[57:58], off
	global_load_dwordx2 v[85:86], v[59:60], off
	;; [unrolled: 1-line block ×6, first 2 shown]
	v_mul_f32_e64 v1, v48, -v10
	v_fmac_f32_e32 v1, v9, v45
	s_waitcnt vmcnt(14)
	v_mul_f32_e32 v39, v22, v37
	v_mul_f32_e64 v36, v22, -v38
	v_fmac_f32_e32 v39, v38, v21
	v_fmac_f32_e32 v36, v37, v21
	s_waitcnt vmcnt(13)
	v_mul_f32_e32 v52, v22, v19
	v_mul_f32_e64 v51, v22, -v20
	v_fmac_f32_e32 v52, v20, v21
	v_fmac_f32_e32 v51, v19, v21
	v_mul_f32_e32 v20, v9, v48
	v_mul_f32_e64 v19, v52, -v8
	v_mul_f32_e32 v35, v52, v7
	v_fmac_f32_e32 v20, v10, v45
	v_fmac_f32_e32 v19, v7, v51
	;; [unrolled: 1-line block ×3, first 2 shown]
	s_waitcnt vmcnt(10)
	v_mul_f32_e32 v41, v22, v17
	v_sub_f32_e32 v19, v1, v19
	v_sub_f32_e32 v20, v20, v35
	v_mul_f32_e64 v38, v22, -v18
	v_fmac_f32_e32 v41, v18, v21
	global_store_dwordx2 v[29:30], v[19:20], off
	v_fmac_f32_e32 v38, v17, v21
	v_mul_f32_e64 v1, v39, -v10
	v_mul_f32_e32 v18, v9, v39
	v_mul_f32_e64 v17, v41, -v8
	v_mul_f32_e32 v19, v41, v7
	v_fmac_f32_e32 v1, v9, v36
	v_fmac_f32_e32 v18, v10, v36
	;; [unrolled: 1-line block ×4, first 2 shown]
	v_mul_f32_e32 v49, v22, v46
	s_waitcnt vmcnt(10)
	v_mul_f32_e32 v50, v22, v15
	v_sub_f32_e32 v17, v1, v17
	v_sub_f32_e32 v18, v18, v19
	v_mul_f32_e64 v44, v22, -v47
	v_fmac_f32_e32 v49, v47, v21
	v_mul_f32_e64 v47, v22, -v16
	v_fmac_f32_e32 v50, v16, v21
	global_store_dwordx2 v[23:24], v[17:18], off
	v_fmac_f32_e32 v44, v46, v21
	v_fmac_f32_e32 v47, v15, v21
	v_mul_f32_e64 v1, v49, -v10
	v_mul_f32_e32 v16, v9, v49
	v_mul_f32_e64 v15, v50, -v8
	v_mul_f32_e32 v17, v50, v7
	v_fmac_f32_e32 v1, v9, v44
	v_fmac_f32_e32 v16, v10, v44
	;; [unrolled: 1-line block ×4, first 2 shown]
	v_sub_f32_e32 v15, v1, v15
	v_sub_f32_e32 v16, v16, v17
	v_mul_f32_e32 v35, v22, v73
	s_waitcnt vmcnt(10)
	v_mul_f32_e32 v37, v22, v75
	global_store_dwordx2 v[31:32], v[15:16], off
	v_mul_f32_e64 v30, v22, -v74
	v_fmac_f32_e32 v35, v74, v21
	v_mul_f32_e64 v32, v22, -v76
	v_fmac_f32_e32 v37, v76, v21
	v_fmac_f32_e32 v30, v73, v21
	;; [unrolled: 1-line block ×3, first 2 shown]
	v_mul_f32_e64 v1, v35, -v10
	v_mul_f32_e32 v16, v9, v35
	v_mul_f32_e64 v15, v37, -v8
	v_mul_f32_e32 v17, v37, v7
	v_fmac_f32_e32 v1, v9, v30
	v_fmac_f32_e32 v16, v10, v30
	;; [unrolled: 1-line block ×4, first 2 shown]
	v_sub_f32_e32 v15, v1, v15
	v_sub_f32_e32 v16, v16, v17
	global_store_dwordx2 v[42:43], v[15:16], off
	s_waitcnt vmcnt(11)
	v_mul_f32_e32 v43, v22, v33
	s_waitcnt vmcnt(10)
	v_mul_f32_e32 v46, v22, v81
	v_mul_f32_e64 v40, v22, -v34
	v_fmac_f32_e32 v43, v34, v21
	v_mul_f32_e64 v42, v22, -v82
	v_fmac_f32_e32 v46, v82, v21
	v_fmac_f32_e32 v40, v33, v21
	;; [unrolled: 1-line block ×3, first 2 shown]
	v_mul_f32_e64 v1, v43, -v10
	v_mul_f32_e32 v16, v9, v43
	v_mul_f32_e64 v15, v46, -v8
	v_mul_f32_e32 v17, v46, v7
	v_fmac_f32_e32 v1, v9, v40
	v_fmac_f32_e32 v16, v10, v40
	;; [unrolled: 1-line block ×4, first 2 shown]
	s_waitcnt vmcnt(9)
	v_mul_f32_e32 v33, v22, v83
	s_waitcnt vmcnt(6)
	v_mul_f32_e32 v34, v22, v89
	v_sub_f32_e32 v15, v1, v15
	v_sub_f32_e32 v16, v16, v17
	v_mul_f32_e64 v29, v22, -v84
	v_fmac_f32_e32 v33, v84, v21
	v_mul_f32_e64 v31, v22, -v90
	v_fmac_f32_e32 v34, v90, v21
	global_store_dwordx2 v[53:54], v[15:16], off
	v_fmac_f32_e32 v29, v83, v21
	v_fmac_f32_e32 v31, v89, v21
	v_mul_f32_e64 v1, v33, -v10
	v_mul_f32_e32 v16, v9, v33
	v_mul_f32_e64 v15, v34, -v8
	v_mul_f32_e32 v17, v34, v7
	v_fmac_f32_e32 v1, v9, v29
	v_fmac_f32_e32 v16, v10, v29
	;; [unrolled: 1-line block ×4, first 2 shown]
	v_mul_f32_e32 v23, v22, v85
	s_waitcnt vmcnt(6)
	v_mul_f32_e32 v24, v22, v91
	v_sub_f32_e32 v15, v1, v15
	v_sub_f32_e32 v16, v16, v17
	v_mul_f32_e64 v17, v22, -v86
	v_fmac_f32_e32 v23, v86, v21
	v_mul_f32_e64 v19, v22, -v92
	v_fmac_f32_e32 v24, v92, v21
	global_store_dwordx2 v[57:58], v[15:16], off
	v_fmac_f32_e32 v17, v85, v21
	v_fmac_f32_e32 v19, v91, v21
	v_mul_f32_e64 v1, v23, -v10
	v_mul_f32_e32 v16, v9, v23
	v_mul_f32_e64 v15, v24, -v8
	v_mul_f32_e32 v18, v24, v7
	v_fmac_f32_e32 v1, v9, v17
	v_fmac_f32_e32 v16, v10, v17
	;; [unrolled: 1-line block ×4, first 2 shown]
	v_sub_f32_e32 v15, v1, v15
	v_sub_f32_e32 v16, v16, v18
	v_mul_f32_e32 v18, v22, v87
	global_store_dwordx2 v[59:60], v[15:16], off
	v_mul_f32_e64 v15, v22, -v88
	v_fmac_f32_e32 v18, v88, v21
	v_fmac_f32_e32 v15, v87, v21
	s_waitcnt vmcnt(7)
	v_mul_f32_e32 v20, v22, v93
	v_mul_f32_e64 v1, v18, -v10
	v_mul_f32_e64 v16, v22, -v94
	v_fmac_f32_e32 v20, v94, v21
	v_fmac_f32_e32 v1, v9, v15
	v_mul_f32_e32 v9, v9, v18
	v_fmac_f32_e32 v16, v93, v21
	v_fmac_f32_e32 v9, v10, v15
	v_mul_f32_e64 v10, v20, -v8
	v_mul_f32_e32 v53, v20, v7
	v_fmac_f32_e32 v10, v7, v16
	v_fmac_f32_e32 v53, v8, v16
	v_sub_f32_e32 v7, v1, v10
	v_sub_f32_e32 v8, v9, v53
	global_store_dwordx2 v[63:64], v[7:8], off
	v_mul_f32_e64 v7, v48, -v5
	v_mul_f32_e32 v1, v6, v48
	v_fma_f32 v8, -v6, v45, v7
	v_mul_f32_e64 v7, v52, -v4
	v_mul_f32_e32 v9, v3, v52
	v_fma_f32 v1, -v5, v45, v1
	v_fmac_f32_e32 v7, v3, v51
	v_fmac_f32_e32 v9, v4, v51
	v_add_f32_e32 v7, v1, v7
	v_add_f32_e32 v8, v8, v9
	global_store_dwordx2 v[55:56], v[7:8], off
	v_mul_f32_e64 v7, v39, -v5
	v_mul_f32_e32 v1, v6, v39
	v_fma_f32 v8, -v6, v36, v7
	v_mul_f32_e64 v7, v41, -v4
	v_mul_f32_e32 v9, v3, v41
	v_fma_f32 v1, -v5, v36, v1
	v_fmac_f32_e32 v7, v3, v38
	v_fmac_f32_e32 v9, v4, v38
	v_add_f32_e32 v7, v1, v7
	v_add_f32_e32 v8, v8, v9
	global_store_dwordx2 v[61:62], v[7:8], off
	v_mul_f32_e32 v7, v6, v49
	v_mul_f32_e64 v8, v49, -v5
	v_mul_f32_e64 v9, v50, -v4
	v_mul_f32_e32 v10, v3, v50
	v_fma_f32 v7, -v5, v44, v7
	v_fma_f32 v8, -v6, v44, v8
	v_fmac_f32_e32 v9, v3, v47
	v_fmac_f32_e32 v10, v4, v47
	v_add_f32_e32 v7, v7, v9
	v_add_f32_e32 v8, v8, v10
	global_store_dwordx2 v[65:66], v[7:8], off
	v_mul_f32_e32 v7, v6, v35
	v_mul_f32_e64 v8, v35, -v5
	v_mul_f32_e64 v9, v37, -v4
	v_mul_f32_e32 v10, v3, v37
	v_fma_f32 v7, -v5, v30, v7
	v_fma_f32 v8, -v6, v30, v8
	v_fmac_f32_e32 v9, v3, v32
	v_fmac_f32_e32 v10, v4, v32
	v_add_f32_e32 v7, v7, v9
	v_add_f32_e32 v8, v8, v10
	global_store_dwordx2 v[67:68], v[7:8], off
	v_mul_f32_e32 v7, v6, v43
	v_mul_f32_e64 v8, v43, -v5
	v_mul_f32_e64 v9, v46, -v4
	v_mul_f32_e32 v10, v3, v46
	v_fma_f32 v7, -v5, v40, v7
	v_fma_f32 v8, -v6, v40, v8
	v_fmac_f32_e32 v9, v3, v42
	v_fmac_f32_e32 v10, v4, v42
	v_add_f32_e32 v7, v7, v9
	v_add_f32_e32 v8, v8, v10
	global_store_dwordx2 v[69:70], v[7:8], off
	v_mul_f32_e32 v7, v6, v33
	v_mul_f32_e64 v8, v33, -v5
	v_mul_f32_e64 v9, v34, -v4
	v_mul_f32_e32 v10, v3, v34
	v_fma_f32 v7, -v5, v29, v7
	v_fma_f32 v8, -v6, v29, v8
	v_fmac_f32_e32 v9, v3, v31
	v_fmac_f32_e32 v10, v4, v31
	v_add_f32_e32 v7, v7, v9
	v_add_f32_e32 v8, v8, v10
	global_store_dwordx2 v[71:72], v[7:8], off
	v_mul_f32_e32 v7, v6, v23
	v_mul_f32_e64 v8, v23, -v5
	v_mul_f32_e64 v9, v24, -v4
	v_mul_f32_e32 v10, v3, v24
	v_fma_f32 v7, -v5, v17, v7
	v_fma_f32 v8, -v6, v17, v8
	v_fmac_f32_e32 v9, v3, v19
	v_fmac_f32_e32 v10, v4, v19
	v_add_f32_e32 v7, v7, v9
	v_add_f32_e32 v8, v8, v10
	global_store_dwordx2 v[77:78], v[7:8], off
	v_mul_f32_e32 v7, v6, v18
	v_mul_f32_e64 v8, v18, -v5
	v_mul_f32_e64 v9, v20, -v4
	v_mul_f32_e32 v10, v3, v20
	v_fma_f32 v7, -v5, v15, v7
	v_fma_f32 v8, -v6, v15, v8
	v_fmac_f32_e32 v9, v3, v16
	v_fmac_f32_e32 v10, v4, v16
	v_add_f32_e32 v7, v7, v9
	v_add_f32_e32 v8, v8, v10
	v_mov_b32_e32 v1, 0
	global_store_dwordx2 v[79:80], v[7:8], off
	v_mov_b32_e32 v7, 0
	s_and_saveexec_b64 s[20:21], s[2:3]
	s_cbranch_execz .LBB249_16
; %bb.15:                               ;   in Loop: Header=BB249_5 Depth=1
	v_add_u32_e32 v7, v26, v27
	v_add_u32_e32 v1, s28, v7
	v_lshlrev_b64 v[8:9], 3, v[1:2]
	v_mov_b32_e32 v1, s9
	v_add_co_u32_e32 v8, vcc, s8, v8
	v_addc_co_u32_e32 v9, vcc, v1, v9, vcc
	global_load_dwordx2 v[53:54], v[8:9], off
	v_mul_f32_e32 v1, v6, v14
	v_mul_f32_e64 v10, v14, -v5
	v_mul_f32_e64 v57, v14, -v4
	v_mul_f32_e32 v58, v3, v14
	v_fma_f32 v60, -v5, v13, v1
	v_fma_f32 v10, -v6, v13, v10
	v_fmac_f32_e32 v57, v3, v13
	v_fmac_f32_e32 v58, v4, v13
	v_mul_f32_e32 v5, v10, v48
	v_mul_f32_e64 v6, v48, -v60
	v_add_u32_e32 v1, s29, v7
	v_mul_f32_e64 v48, v52, -v58
	v_mul_f32_e32 v52, v57, v52
	v_fma_f32 v56, -v60, v45, v5
	v_fma_f32 v45, -v10, v45, v6
	v_lshlrev_b64 v[5:6], 3, v[1:2]
	v_fmac_f32_e32 v52, v58, v51
	v_add_u32_e32 v1, s30, v7
	v_mov_b32_e32 v55, s9
	v_fmac_f32_e32 v48, v57, v51
	v_sub_f32_e32 v45, v45, v52
	v_lshlrev_b64 v[51:52], 3, v[1:2]
	v_add_co_u32_e32 v5, vcc, s8, v5
	v_sub_f32_e32 v48, v56, v48
	v_addc_co_u32_e32 v6, vcc, v55, v6, vcc
	v_mov_b32_e32 v59, s9
	global_load_dwordx2 v[55:56], v[5:6], off
	v_add_co_u32_e32 v51, vcc, s8, v51
	v_addc_co_u32_e32 v52, vcc, v59, v52, vcc
	v_mul_f32_e32 v1, v10, v39
	v_mul_f32_e64 v39, v39, -v60
	v_mul_f32_e64 v59, v50, -v58
	v_mul_f32_e32 v50, v57, v50
	v_fma_f32 v1, -v60, v36, v1
	v_fma_f32 v36, -v10, v36, v39
	v_fmac_f32_e32 v59, v57, v47
	v_fmac_f32_e32 v50, v58, v47
	s_waitcnt vmcnt(1)
	v_add_f32_e32 v53, v48, v53
	v_add_f32_e32 v54, v45, v54
	global_store_dwordx2 v[8:9], v[53:54], off
	global_load_dwordx2 v[8:9], v[51:52], off
	v_mul_f32_e64 v45, v41, -v58
	v_mul_f32_e32 v41, v57, v41
	v_mul_f32_e32 v54, v10, v49
	v_mul_f32_e64 v49, v49, -v60
	v_fmac_f32_e32 v45, v57, v38
	v_fmac_f32_e32 v41, v58, v38
	v_fma_f32 v38, -v60, v44, v54
	v_fma_f32 v39, -v10, v44, v49
	v_sub_f32_e32 v47, v1, v45
	v_add_u32_e32 v1, s31, v7
	v_sub_f32_e32 v36, v36, v41
	v_sub_f32_e32 v41, v38, v59
	;; [unrolled: 1-line block ×3, first 2 shown]
	v_lshlrev_b64 v[38:39], 3, v[1:2]
	v_add_u32_e32 v1, s33, v7
	v_mov_b32_e32 v48, s9
	v_lshlrev_b64 v[44:45], 3, v[1:2]
	v_add_co_u32_e32 v38, vcc, s8, v38
	v_addc_co_u32_e32 v39, vcc, v48, v39, vcc
	v_mov_b32_e32 v53, s9
	v_add_co_u32_e32 v44, vcc, s8, v44
	v_addc_co_u32_e32 v45, vcc, v53, v45, vcc
	s_waitcnt vmcnt(2)
	v_add_f32_e32 v47, v47, v55
	v_add_f32_e32 v48, v36, v56
	global_store_dwordx2 v[5:6], v[47:48], off
	global_load_dwordx2 v[5:6], v[38:39], off
	v_mul_f32_e32 v1, v10, v35
	v_mul_f32_e64 v36, v37, -v58
	v_mul_f32_e64 v35, v35, -v60
	v_mul_f32_e32 v37, v57, v37
	v_mul_f32_e32 v47, v10, v43
	v_mul_f32_e64 v43, v43, -v60
	v_mul_f32_e64 v48, v46, -v58
	v_mul_f32_e32 v46, v57, v46
	v_fma_f32 v1, -v60, v30, v1
	v_fmac_f32_e32 v36, v57, v32
	v_fma_f32 v30, -v10, v30, v35
	v_fmac_f32_e32 v37, v58, v32
	v_fma_f32 v32, -v60, v40, v47
	v_fma_f32 v35, -v10, v40, v43
	v_fmac_f32_e32 v46, v58, v42
	v_sub_f32_e32 v40, v1, v36
	v_add_u32_e32 v1, s34, v7
	v_fmac_f32_e32 v48, v57, v42
	v_sub_f32_e32 v30, v30, v37
	v_sub_f32_e32 v37, v35, v46
	v_lshlrev_b64 v[35:36], 3, v[1:2]
	v_sub_f32_e32 v32, v32, v48
	v_add_co_u32_e32 v35, vcc, s8, v35
	v_mul_f32_e32 v1, v10, v33
	v_fma_f32 v1, -v60, v29, v1
	s_waitcnt vmcnt(2)
	v_add_f32_e32 v8, v41, v8
	v_add_f32_e32 v9, v49, v9
	global_store_dwordx2 v[51:52], v[8:9], off
	global_load_dwordx2 v[8:9], v[44:45], off
	v_mov_b32_e32 v41, s9
	v_addc_co_u32_e32 v36, vcc, v41, v36, vcc
	s_waitcnt vmcnt(2)
	v_add_f32_e32 v5, v40, v5
	v_add_f32_e32 v6, v30, v6
	global_store_dwordx2 v[38:39], v[5:6], off
	v_mov_b32_e32 v30, s9
	s_waitcnt vmcnt(1)
	v_add_f32_e32 v5, v32, v8
	v_add_f32_e32 v6, v37, v9
	global_store_dwordx2 v[44:45], v[5:6], off
	global_load_dwordx2 v[5:6], v[35:36], off
	v_mul_f32_e64 v9, v34, -v58
	v_mul_f32_e64 v8, v33, -v60
	v_mul_f32_e32 v32, v57, v34
	v_fmac_f32_e32 v9, v57, v31
	v_fma_f32 v8, -v10, v29, v8
	v_fmac_f32_e32 v32, v58, v31
	v_sub_f32_e32 v31, v1, v9
	v_add_u32_e32 v1, s35, v7
	v_sub_f32_e32 v32, v8, v32
	v_lshlrev_b64 v[8:9], 3, v[1:2]
	v_mov_b32_e32 v1, s15
	v_add_co_u32_e32 v29, vcc, s8, v8
	v_addc_co_u32_e32 v30, vcc, v30, v9, vcc
	v_ashrrev_i32_e32 v8, 31, v7
	v_lshlrev_b64 v[8:9], 3, v[7:8]
	v_mul_f32_e64 v33, v24, -v58
	v_mul_f32_e32 v24, v57, v24
	v_add_co_u32_e32 v8, vcc, s14, v8
	v_fmac_f32_e32 v24, v58, v19
	v_addc_co_u32_e32 v9, vcc, v1, v9, vcc
	v_add_u32_e32 v1, s36, v7
	v_fmac_f32_e32 v33, v57, v19
	global_load_dwordx2 v[8:9], v[8:9], off
	v_mul_f32_e64 v7, v18, -v60
	v_fma_f32 v7, -v10, v15, v7
	s_waitcnt vmcnt(1)
	v_add_f32_e32 v5, v31, v5
	v_add_f32_e32 v6, v32, v6
	global_store_dwordx2 v[35:36], v[5:6], off
	global_load_dwordx2 v[5:6], v[29:30], off
	v_mul_f32_e32 v32, v10, v23
	v_mul_f32_e64 v23, v23, -v60
	v_fma_f32 v32, -v60, v17, v32
	v_fma_f32 v17, -v10, v17, v23
	v_sub_f32_e32 v17, v17, v24
	v_lshlrev_b64 v[23:24], 3, v[1:2]
	v_sub_f32_e32 v19, v32, v33
	v_mov_b32_e32 v31, s9
	v_add_co_u32_e32 v23, vcc, s8, v23
	v_addc_co_u32_e32 v24, vcc, v31, v24, vcc
	v_mul_f32_e64 v1, v4, -v14
	v_mul_f32_e32 v4, v4, v13
	v_fmac_f32_e32 v1, v13, v3
	v_fmac_f32_e32 v4, v14, v3
	v_mul_f32_e32 v3, v10, v18
	v_mul_f32_e64 v13, v20, -v58
	v_mul_f32_e32 v14, v57, v20
	v_fma_f32 v3, -v60, v15, v3
	v_fmac_f32_e32 v13, v57, v16
	v_fmac_f32_e32 v14, v58, v16
	s_waitcnt vmcnt(0)
	v_add_f32_e32 v5, v19, v5
	v_add_f32_e32 v6, v17, v6
	global_store_dwordx2 v[29:30], v[5:6], off
	global_load_dwordx2 v[5:6], v[23:24], off
	v_mul_f32_e64 v17, v12, -v4
	v_mul_f32_e32 v12, v12, v1
	v_fmac_f32_e32 v17, v1, v11
	v_fmac_f32_e32 v12, v4, v11
	v_sub_f32_e32 v1, v3, v13
	v_mul_f32_e64 v3, v22, -v12
	v_mul_f32_e32 v10, v22, v17
	v_sub_f32_e32 v4, v7, v14
	v_fmac_f32_e32 v3, v17, v21
	v_fmac_f32_e32 v10, v12, v21
	v_sub_f32_e32 v7, v8, v3
	s_waitcnt vmcnt(0)
	v_add_f32_e32 v3, v1, v5
	v_add_f32_e32 v4, v4, v6
	v_sub_f32_e32 v1, v9, v10
	global_store_dwordx2 v[23:24], v[3:4], off
.LBB249_16:                             ;   in Loop: Header=BB249_5 Depth=1
	s_or_b64 exec, exec, s[20:21]
	v_mov_b32_e32 v4, v1
	v_mov_b32_e32 v3, v7
                                        ; implicit-def: $vgpr7_vgpr8
                                        ; implicit-def: $vgpr5
                                        ; implicit-def: $vgpr9
                                        ; implicit-def: $vgpr30
                                        ; implicit-def: $vgpr29
                                        ; implicit-def: $vgpr23
                                        ; implicit-def: $vgpr21
                                        ; implicit-def: $vgpr19
                                        ; implicit-def: $vgpr18
                                        ; implicit-def: $vgpr17
                                        ; implicit-def: $vgpr16
                                        ; implicit-def: $vgpr15
.LBB249_17:                             ;   in Loop: Header=BB249_5 Depth=1
	s_or_saveexec_b64 s[2:3], s[4:5]
	v_mov_b32_e32 v8, s27
	s_xor_b64 exec, exec, s[2:3]
	s_cbranch_execz .LBB249_4
; %bb.18:                               ;   in Loop: Header=BB249_5 Depth=1
	v_lshlrev_b64 v[11:12], 3, v[1:2]
	v_mov_b32_e32 v24, v2
	v_mov_b32_e32 v1, s9
	v_lshlrev_b64 v[13:14], 3, v[23:24]
	v_add_co_u32_e32 v32, vcc, s8, v11
	v_mov_b32_e32 v22, v2
	v_addc_co_u32_e32 v33, vcc, v1, v12, vcc
	v_mov_b32_e32 v8, s9
	v_lshlrev_b64 v[21:22], 3, v[21:22]
	v_add_co_u32_e32 v34, vcc, s8, v13
	v_mov_b32_e32 v20, v2
	v_addc_co_u32_e32 v35, vcc, v8, v14, vcc
	v_mov_b32_e32 v31, s9
	v_lshlrev_b64 v[19:20], 3, v[19:20]
	v_add_co_u32_e32 v36, vcc, s8, v21
	v_addc_co_u32_e32 v37, vcc, v31, v22, vcc
	v_add_co_u32_e32 v38, vcc, s8, v19
	v_mov_b32_e32 v19, v2
	v_mov_b32_e32 v39, s9
	v_lshlrev_b64 v[13:14], 3, v[18:19]
	v_addc_co_u32_e32 v39, vcc, v39, v20, vcc
	v_add_co_u32_e32 v40, vcc, s8, v13
	v_mov_b32_e32 v18, v2
	v_addc_co_u32_e32 v41, vcc, v1, v14, vcc
	v_lshlrev_b64 v[13:14], 3, v[17:18]
	v_mov_b32_e32 v17, v2
	v_add_co_u32_e32 v44, vcc, s8, v13
	v_addc_co_u32_e32 v45, vcc, v1, v14, vcc
	v_lshlrev_b64 v[13:14], 3, v[16:17]
	v_mov_b32_e32 v16, v2
	v_add_co_u32_e32 v50, vcc, s8, v13
	v_addc_co_u32_e32 v51, vcc, v1, v14, vcc
	v_lshlrev_b64 v[13:14], 3, v[15:16]
	global_load_dwordx2 v[11:12], v[32:33], off
	v_add_co_u32_e32 v56, vcc, s8, v13
	v_addc_co_u32_e32 v57, vcc, v1, v14, vcc
	global_load_dwordx2 v[18:19], v[34:35], off
	global_load_dwordx2 v[42:43], v[36:37], off
	;; [unrolled: 1-line block ×7, first 2 shown]
	v_mul_f32_e32 v1, v4, v4
	v_fmac_f32_e32 v1, v3, v3
	v_div_scale_f32 v8, s[4:5], v1, v1, 1.0
	v_div_scale_f32 v13, vcc, 1.0, v1, 1.0
	v_rcp_f32_e32 v14, v8
	v_fma_f32 v15, -v8, v14, 1.0
	v_fmac_f32_e32 v14, v15, v14
	v_mul_f32_e32 v15, v13, v14
	v_fma_f32 v16, -v8, v15, v13
	v_fmac_f32_e32 v15, v16, v14
	v_fma_f32 v8, -v8, v15, v13
	v_div_fmas_f32 v8, v8, v14, v15
	v_fma_f32 v13, 0, v4, v3
	v_fma_f32 v3, v3, 0, -v4
	v_div_fixup_f32 v1, v8, v1, 1.0
	v_mul_f32_e32 v31, v3, v1
	v_mul_f32_e32 v8, v13, v1
	s_waitcnt vmcnt(7)
	v_mul_f32_e64 v23, v31, -v12
	v_mul_f32_e32 v24, v31, v11
	v_fmac_f32_e32 v23, v11, v8
	v_fmac_f32_e32 v24, v12, v8
	s_waitcnt vmcnt(6)
	v_mul_f32_e64 v21, v31, -v19
	v_mul_f32_e32 v22, v31, v18
	v_fmac_f32_e32 v21, v18, v8
	v_fmac_f32_e32 v22, v19, v8
	s_waitcnt vmcnt(5)
	v_mul_f32_e64 v19, v31, -v43
	v_mul_f32_e32 v20, v31, v42
	s_waitcnt vmcnt(4)
	v_mul_f32_e64 v17, v31, -v47
	v_mul_f32_e32 v18, v31, v46
	;; [unrolled: 3-line block ×6, first 2 shown]
	v_fmac_f32_e32 v19, v42, v8
	v_fmac_f32_e32 v20, v43, v8
	;; [unrolled: 1-line block ×12, first 2 shown]
	global_store_dwordx2 v[32:33], v[23:24], off
	global_store_dwordx2 v[34:35], v[21:22], off
	;; [unrolled: 1-line block ×8, first 2 shown]
	s_and_saveexec_b64 s[4:5], s[0:1]
	s_cbranch_execz .LBB249_3
; %bb.19:                               ;   in Loop: Header=BB249_5 Depth=1
	v_add_u32_e32 v42, v25, v27
	v_add_u32_e32 v1, s28, v42
	v_lshlrev_b64 v[32:33], 3, v[1:2]
	v_mov_b32_e32 v1, s9
	v_add_co_u32_e32 v32, vcc, s8, v32
	v_addc_co_u32_e32 v33, vcc, v1, v33, vcc
	global_load_dwordx2 v[34:35], v[32:33], off
	v_add_u32_e32 v1, s29, v42
	v_lshlrev_b64 v[36:37], 3, v[1:2]
	v_mov_b32_e32 v40, s9
	v_add_u32_e32 v1, s30, v42
	v_add_co_u32_e32 v36, vcc, s8, v36
	v_lshlrev_b64 v[38:39], 3, v[1:2]
	v_addc_co_u32_e32 v37, vcc, v40, v37, vcc
	global_load_dwordx2 v[40:41], v[36:37], off
	v_mov_b32_e32 v43, s9
	v_add_co_u32_e32 v38, vcc, s8, v38
	v_addc_co_u32_e32 v39, vcc, v43, v39, vcc
	v_mov_b32_e32 v44, s9
	s_waitcnt vmcnt(1)
	v_fma_f32 v34, -v5, v23, v34
	v_fma_f32 v1, -v6, v23, v35
	v_fmac_f32_e32 v34, v6, v24
	v_fma_f32 v35, -v5, v24, v1
	global_store_dwordx2 v[32:33], v[34:35], off
	global_load_dwordx2 v[23:24], v[38:39], off
	v_add_u32_e32 v1, s31, v42
	v_lshlrev_b64 v[32:33], 3, v[1:2]
	v_add_u32_e32 v1, s33, v42
	v_lshlrev_b64 v[34:35], 3, v[1:2]
	v_add_co_u32_e32 v32, vcc, s8, v32
	s_waitcnt vmcnt(2)
	v_fma_f32 v40, -v5, v21, v40
	v_fma_f32 v1, -v6, v21, v41
	v_addc_co_u32_e32 v33, vcc, v43, v33, vcc
	v_fmac_f32_e32 v40, v6, v22
	v_fma_f32 v41, -v5, v22, v1
	v_add_co_u32_e32 v34, vcc, s8, v34
	global_store_dwordx2 v[36:37], v[40:41], off
	v_addc_co_u32_e32 v35, vcc, v44, v35, vcc
	global_load_dwordx2 v[21:22], v[32:33], off
	v_mov_b32_e32 v36, s9
	s_waitcnt vmcnt(2)
	v_fma_f32 v23, -v5, v19, v23
	v_fma_f32 v1, -v6, v19, v24
	v_fmac_f32_e32 v23, v6, v20
	v_fma_f32 v24, -v5, v20, v1
	global_store_dwordx2 v[38:39], v[23:24], off
	global_load_dwordx2 v[19:20], v[34:35], off
	v_add_u32_e32 v1, s34, v42
	v_lshlrev_b64 v[23:24], 3, v[1:2]
	v_add_co_u32_e32 v23, vcc, s8, v23
	v_addc_co_u32_e32 v24, vcc, v36, v24, vcc
	s_waitcnt vmcnt(2)
	v_fma_f32 v1, -v6, v17, v22
	v_fma_f32 v21, -v5, v17, v21
	;; [unrolled: 1-line block ×3, first 2 shown]
	v_fmac_f32_e32 v21, v6, v18
	global_store_dwordx2 v[32:33], v[21:22], off
	s_waitcnt vmcnt(1)
	v_fma_f32 v17, -v5, v15, v19
	v_fma_f32 v1, -v6, v15, v20
	v_fmac_f32_e32 v17, v6, v16
	v_fma_f32 v18, -v5, v16, v1
	global_store_dwordx2 v[34:35], v[17:18], off
	global_load_dwordx2 v[15:16], v[23:24], off
	v_add_u32_e32 v1, s35, v42
	v_lshlrev_b64 v[17:18], 3, v[1:2]
	v_mov_b32_e32 v19, s9
	v_add_co_u32_e32 v17, vcc, s8, v17
	v_addc_co_u32_e32 v18, vcc, v19, v18, vcc
	s_waitcnt vmcnt(0)
	v_fma_f32 v15, -v5, v13, v15
	v_fma_f32 v1, -v6, v13, v16
	v_fmac_f32_e32 v15, v6, v14
	v_fma_f32 v16, -v5, v14, v1
	global_store_dwordx2 v[23:24], v[15:16], off
	global_load_dwordx2 v[13:14], v[17:18], off
	v_add_u32_e32 v1, s36, v42
	v_lshlrev_b64 v[15:16], 3, v[1:2]
	v_add_co_u32_e32 v15, vcc, s8, v15
	v_addc_co_u32_e32 v16, vcc, v19, v16, vcc
	s_waitcnt vmcnt(0)
	v_fma_f32 v13, -v5, v11, v13
	v_fma_f32 v1, -v6, v11, v14
	v_fmac_f32_e32 v13, v6, v12
	v_fma_f32 v14, -v5, v12, v1
	global_store_dwordx2 v[17:18], v[13:14], off
	global_load_dwordx2 v[11:12], v[15:16], off
	s_waitcnt vmcnt(0)
	v_fma_f32 v11, -v5, v3, v11
	v_fma_f32 v1, -v6, v3, v12
	v_fmac_f32_e32 v11, v6, v4
	v_fma_f32 v12, -v5, v4, v1
	global_store_dwordx2 v[15:16], v[11:12], off
	s_branch .LBB249_3
.LBB249_20:
	s_or_b64 exec, exec, s[18:19]
	s_branch .LBB249_22
.LBB249_21:
	v_mov_b32_e32 v27, 0
.LBB249_22:
	v_subrev_u32_e32 v3, s22, v27
	v_add_u32_e32 v1, v3, v0
	v_ashrrev_i32_e32 v2, 31, v1
	v_lshlrev_b64 v[1:2], 2, v[1:2]
	s_waitcnt lgkmcnt(0)
	v_mov_b32_e32 v4, s17
	v_add_co_u32_e32 v1, vcc, s16, v1
	v_addc_co_u32_e32 v2, vcc, v4, v2, vcc
	s_waitcnt vmcnt(0)
	buffer_wbinvl1_vol
	global_load_dword v1, v[1:2], off
	s_waitcnt vmcnt(0)
	v_mul_lo_u32 v1, v1, s22
	v_sub_u32_e32 v7, v3, v1
	v_cmp_lt_i32_e32 vcc, -1, v7
	s_and_b64 exec, exec, vcc
	s_cbranch_execz .LBB249_29
; %bb.23:
	s_lshl_b32 s4, s24, 3
	s_add_i32 s5, s4, s23
	s_add_i32 s6, s5, s23
	;; [unrolled: 1-line block ×7, first 2 shown]
	s_lshl_b32 s18, s22, 1
	s_mov_b64 s[0:1], 0
	v_mov_b32_e32 v8, s17
	v_mov_b32_e32 v9, s11
	;; [unrolled: 1-line block ×3, first 2 shown]
	s_branch .LBB249_25
.LBB249_24:                             ;   in Loop: Header=BB249_25 Depth=1
	s_or_b64 exec, exec, s[2:3]
	v_sub_u32_e32 v7, v7, v1
	v_cmp_gt_i32_e32 vcc, 0, v7
	s_or_b64 s[0:1], vcc, s[0:1]
	s_andn2_b64 exec, exec, s[0:1]
	s_cbranch_execz .LBB249_29
.LBB249_25:                             ; =>This Inner Loop Header: Depth=1
	v_add_u32_e32 v5, v7, v0
	v_ashrrev_i32_e32 v6, 31, v5
	s_waitcnt vmcnt(0)
	v_lshlrev_b64 v[3:4], 2, v[5:6]
	v_add_co_u32_e32 v3, vcc, s16, v3
	v_addc_co_u32_e32 v4, vcc, v8, v4, vcc
	global_load_dword v1, v[3:4], off
	v_lshlrev_b64 v[3:4], 3, v[5:6]
	v_add_co_u32_e32 v3, vcc, s10, v3
	v_addc_co_u32_e32 v4, vcc, v9, v4, vcc
	global_load_dwordx2 v[3:4], v[3:4], off
	s_waitcnt vmcnt(1)
	v_cmp_ne_u32_e32 vcc, 1, v1
	s_and_saveexec_b64 s[2:3], vcc
	s_xor_b64 s[2:3], exec, s[2:3]
	s_cbranch_execz .LBB249_27
; %bb.26:                               ;   in Loop: Header=BB249_25 Depth=1
	v_add_u32_e32 v6, v25, v7
	v_add_u32_e32 v1, s4, v6
	v_lshlrev_b64 v[10:11], 3, v[1:2]
	v_mov_b32_e32 v1, s9
	v_add_co_u32_e32 v10, vcc, s8, v10
	v_addc_co_u32_e32 v11, vcc, v1, v11, vcc
	v_add_u32_e32 v1, s5, v6
	v_lshlrev_b64 v[12:13], 3, v[1:2]
	v_add_u32_e32 v1, s6, v6
	v_lshlrev_b64 v[14:15], 3, v[1:2]
	;; [unrolled: 2-line block ×8, first 2 shown]
	v_mov_b32_e32 v1, s9
	v_add_co_u32_e32 v28, vcc, s8, v28
	v_addc_co_u32_e32 v29, vcc, v1, v29, vcc
	global_load_dwordx2 v[10:11], v[10:11], off
	v_add_co_u32_e32 v12, vcc, s8, v12
	global_load_dwordx2 v[30:31], v[28:29], off
	v_addc_co_u32_e32 v13, vcc, v1, v13, vcc
	v_mov_b32_e32 v6, s9
	v_add_co_u32_e32 v14, vcc, s8, v14
	v_addc_co_u32_e32 v15, vcc, v6, v15, vcc
	v_mov_b32_e32 v24, s9
	v_add_co_u32_e32 v16, vcc, s8, v16
	v_addc_co_u32_e32 v17, vcc, v24, v17, vcc
	v_mov_b32_e32 v38, s9
	global_load_dwordx2 v[32:33], v[12:13], off
	global_load_dwordx2 v[34:35], v[14:15], off
	;; [unrolled: 1-line block ×3, first 2 shown]
	v_add_co_u32_e32 v12, vcc, s8, v18
	v_addc_co_u32_e32 v13, vcc, v38, v19, vcc
	v_mov_b32_e32 v39, s9
	v_add_co_u32_e32 v14, vcc, s8, v20
	v_addc_co_u32_e32 v15, vcc, v39, v21, vcc
	v_mov_b32_e32 v40, s9
	v_add_co_u32_e32 v16, vcc, s8, v22
	v_addc_co_u32_e32 v17, vcc, v40, v23, vcc
	v_add_u32_e32 v1, s5, v5
	v_mov_b32_e32 v41, s9
	v_add_co_u32_e32 v18, vcc, s8, v26
	v_lshlrev_b64 v[20:21], 3, v[1:2]
	v_addc_co_u32_e32 v19, vcc, v41, v27, vcc
	global_load_dwordx2 v[22:23], v[12:13], off
	global_load_dwordx2 v[26:27], v[14:15], off
	;; [unrolled: 1-line block ×4, first 2 shown]
	v_mov_b32_e32 v42, s9
	v_add_co_u32_e32 v12, vcc, s8, v20
	v_addc_co_u32_e32 v13, vcc, v42, v21, vcc
	v_mov_b32_e32 v19, s9
	s_waitcnt vmcnt(7)
	v_fma_f32 v14, -v3, v10, v30
	v_fma_f32 v1, -v4, v10, v31
	v_fmac_f32_e32 v14, v4, v11
	v_fma_f32 v15, -v3, v11, v1
	global_store_dwordx2 v[28:29], v[14:15], off
	global_load_dwordx2 v[14:15], v[12:13], off
	v_add_u32_e32 v1, s6, v5
	v_lshlrev_b64 v[16:17], 3, v[1:2]
	v_add_co_u32_e32 v16, vcc, s8, v16
	v_addc_co_u32_e32 v17, vcc, v6, v17, vcc
	s_waitcnt vmcnt(0)
	v_fma_f32 v14, -v3, v32, v14
	v_fma_f32 v1, -v4, v32, v15
	v_fmac_f32_e32 v14, v4, v33
	v_fma_f32 v15, -v3, v33, v1
	global_store_dwordx2 v[12:13], v[14:15], off
	global_load_dwordx2 v[12:13], v[16:17], off
	v_add_u32_e32 v1, s7, v5
	v_lshlrev_b64 v[14:15], 3, v[1:2]
	v_add_co_u32_e32 v14, vcc, s8, v14
	v_addc_co_u32_e32 v15, vcc, v6, v15, vcc
	s_waitcnt vmcnt(0)
	v_fma_f32 v12, -v3, v34, v12
	v_fma_f32 v1, -v4, v34, v13
	v_fmac_f32_e32 v12, v4, v35
	v_fma_f32 v13, -v3, v35, v1
	global_store_dwordx2 v[16:17], v[12:13], off
	global_load_dwordx2 v[12:13], v[14:15], off
	v_add_u32_e32 v1, s12, v5
	v_lshlrev_b64 v[16:17], 3, v[1:2]
	v_add_co_u32_e32 v16, vcc, s8, v16
	v_addc_co_u32_e32 v17, vcc, v6, v17, vcc
	s_waitcnt vmcnt(0)
	v_fma_f32 v12, -v3, v36, v12
	v_fma_f32 v1, -v4, v36, v13
	v_fmac_f32_e32 v12, v4, v37
	v_fma_f32 v13, -v3, v37, v1
	global_store_dwordx2 v[14:15], v[12:13], off
	global_load_dwordx2 v[12:13], v[16:17], off
	v_add_u32_e32 v1, s13, v5
	v_lshlrev_b64 v[14:15], 3, v[1:2]
	v_add_co_u32_e32 v14, vcc, s8, v14
	v_addc_co_u32_e32 v15, vcc, v6, v15, vcc
	s_waitcnt vmcnt(0)
	v_fma_f32 v12, -v3, v22, v12
	v_fma_f32 v1, -v4, v22, v13
	v_fmac_f32_e32 v12, v4, v23
	v_fma_f32 v13, -v3, v23, v1
	global_store_dwordx2 v[16:17], v[12:13], off
	global_load_dwordx2 v[12:13], v[14:15], off
	v_add_u32_e32 v1, s14, v5
	v_lshlrev_b64 v[16:17], 3, v[1:2]
	v_add_co_u32_e32 v16, vcc, s8, v16
	v_addc_co_u32_e32 v17, vcc, v6, v17, vcc
	s_waitcnt vmcnt(0)
	v_fma_f32 v12, -v3, v26, v12
	v_fma_f32 v1, -v4, v26, v13
	v_fmac_f32_e32 v12, v4, v27
	v_fma_f32 v13, -v3, v27, v1
	global_store_dwordx2 v[14:15], v[12:13], off
	global_load_dwordx2 v[12:13], v[16:17], off
	v_add_u32_e32 v1, s15, v5
	v_lshlrev_b64 v[5:6], 3, v[1:2]
	v_mov_b32_e32 v14, s9
	v_add_co_u32_e32 v5, vcc, s8, v5
	v_addc_co_u32_e32 v6, vcc, v14, v6, vcc
	s_waitcnt vmcnt(0)
	v_fma_f32 v12, -v3, v38, v12
	v_fma_f32 v1, -v4, v38, v13
	v_fmac_f32_e32 v12, v4, v39
	v_fma_f32 v13, -v3, v39, v1
	global_store_dwordx2 v[16:17], v[12:13], off
	global_load_dwordx2 v[12:13], v[5:6], off
	v_subrev_u32_e32 v1, s22, v7
	v_add_u32_e32 v14, v1, v0
	v_ashrrev_i32_e32 v15, 31, v14
	v_lshlrev_b64 v[15:16], 3, v[14:15]
	v_mov_b32_e32 v17, s11
	v_add_co_u32_e32 v15, vcc, s10, v15
	v_add_u32_e32 v1, s4, v14
	v_addc_co_u32_e32 v16, vcc, v17, v16, vcc
	v_lshlrev_b64 v[17:18], 3, v[1:2]
	global_load_dwordx2 v[15:16], v[15:16], off
	v_add_co_u32_e32 v17, vcc, s8, v17
	v_addc_co_u32_e32 v18, vcc, v19, v18, vcc
	s_waitcnt vmcnt(1)
	v_fma_f32 v12, -v3, v40, v12
	v_fma_f32 v1, -v4, v40, v13
	v_fmac_f32_e32 v12, v4, v41
	v_fma_f32 v13, -v3, v41, v1
	global_store_dwordx2 v[5:6], v[12:13], off
	global_load_dwordx2 v[3:4], v[17:18], off
	v_add_u32_e32 v1, s5, v14
	v_lshlrev_b64 v[5:6], 3, v[1:2]
	v_mov_b32_e32 v12, s9
	v_add_co_u32_e32 v5, vcc, s8, v5
	v_addc_co_u32_e32 v6, vcc, v12, v6, vcc
	s_waitcnt vmcnt(0)
	v_fma_f32 v3, -v15, v10, v3
	v_fma_f32 v1, -v16, v10, v4
	v_fmac_f32_e32 v3, v16, v11
	v_fma_f32 v4, -v15, v11, v1
	global_store_dwordx2 v[17:18], v[3:4], off
	global_load_dwordx2 v[3:4], v[5:6], off
	v_add_u32_e32 v1, s6, v14
	v_lshlrev_b64 v[10:11], 3, v[1:2]
	v_add_co_u32_e32 v10, vcc, s8, v10
	v_addc_co_u32_e32 v11, vcc, v12, v11, vcc
	s_waitcnt vmcnt(0)
	v_fma_f32 v3, -v15, v32, v3
	v_fma_f32 v1, -v16, v32, v4
	v_fmac_f32_e32 v3, v16, v33
	v_fma_f32 v4, -v15, v33, v1
	global_store_dwordx2 v[5:6], v[3:4], off
	global_load_dwordx2 v[3:4], v[10:11], off
	v_add_u32_e32 v1, s7, v14
	v_lshlrev_b64 v[5:6], 3, v[1:2]
	;; [unrolled: 11-line block ×6, first 2 shown]
	v_add_co_u32_e32 v5, vcc, s8, v5
	v_addc_co_u32_e32 v6, vcc, v12, v6, vcc
	s_waitcnt vmcnt(0)
	v_fma_f32 v3, -v15, v38, v3
	v_fma_f32 v1, -v16, v38, v4
	v_fmac_f32_e32 v3, v16, v39
	v_fma_f32 v4, -v15, v39, v1
	global_store_dwordx2 v[10:11], v[3:4], off
	global_load_dwordx2 v[3:4], v[5:6], off
	s_waitcnt vmcnt(0)
	v_fma_f32 v3, -v15, v40, v3
	v_fma_f32 v1, -v16, v40, v4
	v_fmac_f32_e32 v3, v16, v41
	v_fma_f32 v4, -v15, v41, v1
	global_store_dwordx2 v[5:6], v[3:4], off
                                        ; implicit-def: $vgpr5
                                        ; implicit-def: $vgpr3_vgpr4
.LBB249_27:                             ;   in Loop: Header=BB249_25 Depth=1
	s_or_saveexec_b64 s[2:3], s[2:3]
	v_mov_b32_e32 v1, s18
	s_xor_b64 exec, exec, s[2:3]
	s_cbranch_execz .LBB249_24
; %bb.28:                               ;   in Loop: Header=BB249_25 Depth=1
	v_add_u32_e32 v6, v25, v7
	v_add_u32_e32 v1, s4, v6
	v_lshlrev_b64 v[10:11], 3, v[1:2]
	v_mov_b32_e32 v1, s9
	v_add_co_u32_e32 v10, vcc, s8, v10
	v_addc_co_u32_e32 v11, vcc, v1, v11, vcc
	v_add_u32_e32 v1, s4, v5
	v_lshlrev_b64 v[12:13], 3, v[1:2]
	v_mov_b32_e32 v1, s9
	v_add_co_u32_e32 v12, vcc, s8, v12
	v_addc_co_u32_e32 v13, vcc, v1, v13, vcc
	global_load_dwordx2 v[14:15], v[10:11], off
	global_load_dwordx2 v[16:17], v[12:13], off
	v_add_u32_e32 v1, s5, v6
	v_lshlrev_b64 v[10:11], 3, v[1:2]
	v_add_u32_e32 v1, s5, v5
	v_mov_b32_e32 v20, s9
	v_lshlrev_b64 v[18:19], 3, v[1:2]
	v_add_co_u32_e32 v10, vcc, s8, v10
	v_addc_co_u32_e32 v11, vcc, v20, v11, vcc
	v_mov_b32_e32 v21, s9
	v_add_co_u32_e32 v18, vcc, s8, v18
	v_addc_co_u32_e32 v19, vcc, v21, v19, vcc
	s_waitcnt vmcnt(0)
	v_fma_f32 v16, -v3, v14, v16
	v_fma_f32 v1, -v4, v14, v17
	v_fmac_f32_e32 v16, v4, v15
	v_fma_f32 v17, -v3, v15, v1
	global_store_dwordx2 v[12:13], v[16:17], off
	global_load_dwordx2 v[12:13], v[10:11], off
	s_nop 0
	global_load_dwordx2 v[14:15], v[18:19], off
	v_add_u32_e32 v1, s6, v6
	v_lshlrev_b64 v[10:11], 3, v[1:2]
	v_add_u32_e32 v1, s6, v5
	v_lshlrev_b64 v[16:17], 3, v[1:2]
	v_add_co_u32_e32 v10, vcc, s8, v10
	v_addc_co_u32_e32 v11, vcc, v20, v11, vcc
	v_add_co_u32_e32 v16, vcc, s8, v16
	v_addc_co_u32_e32 v17, vcc, v21, v17, vcc
	s_waitcnt vmcnt(0)
	v_fma_f32 v14, -v3, v12, v14
	v_fma_f32 v1, -v4, v12, v15
	v_fmac_f32_e32 v14, v4, v13
	v_fma_f32 v15, -v3, v13, v1
	global_store_dwordx2 v[18:19], v[14:15], off
	global_load_dwordx2 v[12:13], v[10:11], off
	s_nop 0
	global_load_dwordx2 v[14:15], v[16:17], off
	v_add_u32_e32 v1, s7, v6
	v_lshlrev_b64 v[10:11], 3, v[1:2]
	v_add_u32_e32 v1, s7, v5
	v_lshlrev_b64 v[18:19], 3, v[1:2]
	v_add_co_u32_e32 v10, vcc, s8, v10
	v_addc_co_u32_e32 v11, vcc, v20, v11, vcc
	;; [unrolled: 17-line block ×5, first 2 shown]
	v_add_co_u32_e32 v16, vcc, s8, v16
	v_addc_co_u32_e32 v17, vcc, v21, v17, vcc
	s_waitcnt vmcnt(0)
	v_fma_f32 v14, -v3, v12, v14
	v_fma_f32 v1, -v4, v12, v15
	v_fmac_f32_e32 v14, v4, v13
	v_fma_f32 v15, -v3, v13, v1
	global_store_dwordx2 v[18:19], v[14:15], off
	global_load_dwordx2 v[12:13], v[10:11], off
	s_nop 0
	global_load_dwordx2 v[14:15], v[16:17], off
	v_add_u32_e32 v1, s15, v6
	v_lshlrev_b64 v[10:11], 3, v[1:2]
	v_add_u32_e32 v1, s15, v5
	v_mov_b32_e32 v18, s9
	v_lshlrev_b64 v[5:6], 3, v[1:2]
	v_add_co_u32_e32 v10, vcc, s8, v10
	v_addc_co_u32_e32 v11, vcc, v18, v11, vcc
	v_mov_b32_e32 v19, s9
	v_add_co_u32_e32 v5, vcc, s8, v5
	v_addc_co_u32_e32 v6, vcc, v19, v6, vcc
	s_waitcnt vmcnt(0)
	v_fma_f32 v14, -v3, v12, v14
	v_fma_f32 v1, -v4, v12, v15
	v_fmac_f32_e32 v14, v4, v13
	v_fma_f32 v15, -v3, v13, v1
	global_store_dwordx2 v[16:17], v[14:15], off
	global_load_dwordx2 v[12:13], v[10:11], off
	s_nop 0
	global_load_dwordx2 v[14:15], v[5:6], off
	s_waitcnt vmcnt(0)
	v_fma_f32 v10, -v3, v12, v14
	v_fma_f32 v1, -v4, v12, v15
	v_fmac_f32_e32 v10, v4, v13
	v_fma_f32 v11, -v3, v13, v1
	v_mov_b32_e32 v1, s22
	global_store_dwordx2 v[5:6], v[10:11], off
	s_branch .LBB249_24
.LBB249_29:
	s_endpgm
	.section	.rodata,"a",@progbits
	.p2align	6, 0x0
	.amdhsa_kernel _ZN9rocsparseL19gtsv_LBM_rhs_kernelILj256ELj128ELj8E21rocsparse_complex_numIfEEEviiiPKT2_S5_S5_PS3_S5_PKi
		.amdhsa_group_segment_fixed_size 0
		.amdhsa_private_segment_fixed_size 0
		.amdhsa_kernarg_size 64
		.amdhsa_user_sgpr_count 6
		.amdhsa_user_sgpr_private_segment_buffer 1
		.amdhsa_user_sgpr_dispatch_ptr 0
		.amdhsa_user_sgpr_queue_ptr 0
		.amdhsa_user_sgpr_kernarg_segment_ptr 1
		.amdhsa_user_sgpr_dispatch_id 0
		.amdhsa_user_sgpr_flat_scratch_init 0
		.amdhsa_user_sgpr_private_segment_size 0
		.amdhsa_uses_dynamic_stack 0
		.amdhsa_system_sgpr_private_segment_wavefront_offset 0
		.amdhsa_system_sgpr_workgroup_id_x 1
		.amdhsa_system_sgpr_workgroup_id_y 1
		.amdhsa_system_sgpr_workgroup_id_z 0
		.amdhsa_system_sgpr_workgroup_info 0
		.amdhsa_system_vgpr_workitem_id 0
		.amdhsa_next_free_vgpr 95
		.amdhsa_next_free_sgpr 37
		.amdhsa_reserve_vcc 1
		.amdhsa_reserve_flat_scratch 0
		.amdhsa_float_round_mode_32 0
		.amdhsa_float_round_mode_16_64 0
		.amdhsa_float_denorm_mode_32 3
		.amdhsa_float_denorm_mode_16_64 3
		.amdhsa_dx10_clamp 1
		.amdhsa_ieee_mode 1
		.amdhsa_fp16_overflow 0
		.amdhsa_exception_fp_ieee_invalid_op 0
		.amdhsa_exception_fp_denorm_src 0
		.amdhsa_exception_fp_ieee_div_zero 0
		.amdhsa_exception_fp_ieee_overflow 0
		.amdhsa_exception_fp_ieee_underflow 0
		.amdhsa_exception_fp_ieee_inexact 0
		.amdhsa_exception_int_div_zero 0
	.end_amdhsa_kernel
	.section	.text._ZN9rocsparseL19gtsv_LBM_rhs_kernelILj256ELj128ELj8E21rocsparse_complex_numIfEEEviiiPKT2_S5_S5_PS3_S5_PKi,"axG",@progbits,_ZN9rocsparseL19gtsv_LBM_rhs_kernelILj256ELj128ELj8E21rocsparse_complex_numIfEEEviiiPKT2_S5_S5_PS3_S5_PKi,comdat
.Lfunc_end249:
	.size	_ZN9rocsparseL19gtsv_LBM_rhs_kernelILj256ELj128ELj8E21rocsparse_complex_numIfEEEviiiPKT2_S5_S5_PS3_S5_PKi, .Lfunc_end249-_ZN9rocsparseL19gtsv_LBM_rhs_kernelILj256ELj128ELj8E21rocsparse_complex_numIfEEEviiiPKT2_S5_S5_PS3_S5_PKi
                                        ; -- End function
	.set _ZN9rocsparseL19gtsv_LBM_rhs_kernelILj256ELj128ELj8E21rocsparse_complex_numIfEEEviiiPKT2_S5_S5_PS3_S5_PKi.num_vgpr, 95
	.set _ZN9rocsparseL19gtsv_LBM_rhs_kernelILj256ELj128ELj8E21rocsparse_complex_numIfEEEviiiPKT2_S5_S5_PS3_S5_PKi.num_agpr, 0
	.set _ZN9rocsparseL19gtsv_LBM_rhs_kernelILj256ELj128ELj8E21rocsparse_complex_numIfEEEviiiPKT2_S5_S5_PS3_S5_PKi.numbered_sgpr, 37
	.set _ZN9rocsparseL19gtsv_LBM_rhs_kernelILj256ELj128ELj8E21rocsparse_complex_numIfEEEviiiPKT2_S5_S5_PS3_S5_PKi.num_named_barrier, 0
	.set _ZN9rocsparseL19gtsv_LBM_rhs_kernelILj256ELj128ELj8E21rocsparse_complex_numIfEEEviiiPKT2_S5_S5_PS3_S5_PKi.private_seg_size, 0
	.set _ZN9rocsparseL19gtsv_LBM_rhs_kernelILj256ELj128ELj8E21rocsparse_complex_numIfEEEviiiPKT2_S5_S5_PS3_S5_PKi.uses_vcc, 1
	.set _ZN9rocsparseL19gtsv_LBM_rhs_kernelILj256ELj128ELj8E21rocsparse_complex_numIfEEEviiiPKT2_S5_S5_PS3_S5_PKi.uses_flat_scratch, 0
	.set _ZN9rocsparseL19gtsv_LBM_rhs_kernelILj256ELj128ELj8E21rocsparse_complex_numIfEEEviiiPKT2_S5_S5_PS3_S5_PKi.has_dyn_sized_stack, 0
	.set _ZN9rocsparseL19gtsv_LBM_rhs_kernelILj256ELj128ELj8E21rocsparse_complex_numIfEEEviiiPKT2_S5_S5_PS3_S5_PKi.has_recursion, 0
	.set _ZN9rocsparseL19gtsv_LBM_rhs_kernelILj256ELj128ELj8E21rocsparse_complex_numIfEEEviiiPKT2_S5_S5_PS3_S5_PKi.has_indirect_call, 0
	.section	.AMDGPU.csdata,"",@progbits
; Kernel info:
; codeLenInByte = 7364
; TotalNumSgprs: 41
; NumVgprs: 95
; ScratchSize: 0
; MemoryBound: 0
; FloatMode: 240
; IeeeMode: 1
; LDSByteSize: 0 bytes/workgroup (compile time only)
; SGPRBlocks: 5
; VGPRBlocks: 23
; NumSGPRsForWavesPerEU: 41
; NumVGPRsForWavesPerEU: 95
; Occupancy: 2
; WaveLimiterHint : 0
; COMPUTE_PGM_RSRC2:SCRATCH_EN: 0
; COMPUTE_PGM_RSRC2:USER_SGPR: 6
; COMPUTE_PGM_RSRC2:TRAP_HANDLER: 0
; COMPUTE_PGM_RSRC2:TGID_X_EN: 1
; COMPUTE_PGM_RSRC2:TGID_Y_EN: 1
; COMPUTE_PGM_RSRC2:TGID_Z_EN: 0
; COMPUTE_PGM_RSRC2:TIDIG_COMP_CNT: 0
	.section	.text._ZN9rocsparseL19gtsv_LBM_rhs_kernelILj256ELj128ELj4E21rocsparse_complex_numIfEEEviiiPKT2_S5_S5_PS3_S5_PKi,"axG",@progbits,_ZN9rocsparseL19gtsv_LBM_rhs_kernelILj256ELj128ELj4E21rocsparse_complex_numIfEEEviiiPKT2_S5_S5_PS3_S5_PKi,comdat
	.globl	_ZN9rocsparseL19gtsv_LBM_rhs_kernelILj256ELj128ELj4E21rocsparse_complex_numIfEEEviiiPKT2_S5_S5_PS3_S5_PKi ; -- Begin function _ZN9rocsparseL19gtsv_LBM_rhs_kernelILj256ELj128ELj4E21rocsparse_complex_numIfEEEviiiPKT2_S5_S5_PS3_S5_PKi
	.p2align	8
	.type	_ZN9rocsparseL19gtsv_LBM_rhs_kernelILj256ELj128ELj4E21rocsparse_complex_numIfEEEviiiPKT2_S5_S5_PS3_S5_PKi,@function
_ZN9rocsparseL19gtsv_LBM_rhs_kernelILj256ELj128ELj4E21rocsparse_complex_numIfEEEviiiPKT2_S5_S5_PS3_S5_PKi: ; @_ZN9rocsparseL19gtsv_LBM_rhs_kernelILj256ELj128ELj4E21rocsparse_complex_numIfEEEviiiPKT2_S5_S5_PS3_S5_PKi
; %bb.0:
	s_load_dword s23, s[4:5], 0x0
	v_lshl_or_b32 v0, s6, 8, v0
	s_waitcnt lgkmcnt(0)
	s_lshr_b32 s22, s23, 7
	v_cmp_gt_i32_e32 vcc, s22, v0
	s_and_saveexec_b64 s[0:1], vcc
	s_cbranch_execz .LBB250_29
; %bb.1:
	s_load_dwordx4 s[8:11], s[4:5], 0x28
	s_load_dwordx2 s[16:17], s[4:5], 0x38
	s_cmp_lt_i32 s23, 1
	v_add_u32_e32 v19, s22, v0
	s_mul_i32 s24, s7, s23
	s_cbranch_scc1 .LBB250_21
; %bb.2:
	s_load_dwordx4 s[12:15], s[4:5], 0x10
	s_load_dwordx2 s[6:7], s[4:5], 0x20
	v_ashrrev_i32_e32 v1, 31, v0
	v_lshlrev_b64 v[1:2], 3, v[0:1]
	s_lshl_b32 s28, s24, 2
	s_waitcnt lgkmcnt(0)
	v_mov_b32_e32 v3, s15
	v_add_co_u32_e32 v1, vcc, s14, v1
	v_addc_co_u32_e32 v2, vcc, v3, v2, vcc
	global_load_dwordx2 v[5:6], v[1:2], off
	s_add_i32 s29, s28, s23
	s_add_i32 s30, s29, s23
	s_mul_i32 s25, s22, 0x7f
	s_mul_i32 s26, s22, 0x7e
	s_lshl_b32 s27, s22, 1
	v_add_u32_e32 v21, s22, v19
	s_add_i32 s31, s30, s23
	v_mov_b32_e32 v2, 0
	s_mov_b64 s[18:19], 0
	v_mov_b32_e32 v22, s7
	v_mov_b32_e32 v20, 0
	s_branch .LBB250_5
.LBB250_3:                              ;   in Loop: Header=BB250_5 Depth=1
	s_or_b64 exec, exec, s[4:5]
	v_fmac_f32_e32 v24, v3, v7
	v_fmac_f32_e32 v23, v4, v7
	v_mul_f32_e64 v1, v17, -v23
	v_mul_f32_e32 v3, v17, v24
	v_fmac_f32_e32 v1, v24, v8
	v_fmac_f32_e32 v3, v23, v8
	v_sub_f32_e32 v5, v9, v1
	v_sub_f32_e32 v6, v10, v3
	v_mov_b32_e32 v8, s22
.LBB250_4:                              ;   in Loop: Header=BB250_5 Depth=1
	s_or_b64 exec, exec, s[2:3]
	v_add_u32_e32 v20, v8, v20
	v_cmp_le_i32_e32 vcc, s23, v20
	s_or_b64 s[18:19], vcc, s[18:19]
	s_andn2_b64 exec, exec, s[18:19]
	s_cbranch_execz .LBB250_20
.LBB250_5:                              ; =>This Inner Loop Header: Depth=1
	v_add_u32_e32 v15, v20, v0
	v_ashrrev_i32_e32 v16, 31, v15
	v_lshlrev_b64 v[3:4], 3, v[15:16]
	v_cmp_gt_u32_e64 s[0:1], s25, v20
	v_add_co_u32_e32 v3, vcc, s6, v3
	v_addc_co_u32_e32 v4, vcc, v22, v4, vcc
	global_load_dwordx2 v[7:8], v[3:4], off
	v_mov_b32_e32 v3, 0
	v_mov_b32_e32 v4, 0
	s_and_saveexec_b64 s[2:3], s[0:1]
	s_cbranch_execz .LBB250_7
; %bb.6:                                ;   in Loop: Header=BB250_5 Depth=1
	v_add_u32_e32 v3, v19, v20
	v_ashrrev_i32_e32 v4, 31, v3
	v_lshlrev_b64 v[3:4], 3, v[3:4]
	v_mov_b32_e32 v1, s13
	v_add_co_u32_e32 v3, vcc, s12, v3
	v_addc_co_u32_e32 v4, vcc, v1, v4, vcc
	global_load_dwordx2 v[3:4], v[3:4], off
.LBB250_7:                              ;   in Loop: Header=BB250_5 Depth=1
	s_or_b64 exec, exec, s[2:3]
	v_mov_b32_e32 v11, 0
	v_mov_b32_e32 v9, 0
	;; [unrolled: 1-line block ×3, first 2 shown]
	s_and_saveexec_b64 s[2:3], s[0:1]
	s_cbranch_execz .LBB250_9
; %bb.8:                                ;   in Loop: Header=BB250_5 Depth=1
	v_add_u32_e32 v9, v19, v20
	v_ashrrev_i32_e32 v10, 31, v9
	v_lshlrev_b64 v[9:10], 3, v[9:10]
	v_mov_b32_e32 v1, s15
	v_add_co_u32_e32 v9, vcc, s14, v9
	v_addc_co_u32_e32 v10, vcc, v1, v10, vcc
	global_load_dwordx2 v[9:10], v[9:10], off
.LBB250_9:                              ;   in Loop: Header=BB250_5 Depth=1
	s_or_b64 exec, exec, s[2:3]
	v_mov_b32_e32 v12, 0
	s_and_saveexec_b64 s[2:3], s[0:1]
	s_cbranch_execz .LBB250_11
; %bb.10:                               ;   in Loop: Header=BB250_5 Depth=1
	v_add_u32_e32 v11, v19, v20
	v_ashrrev_i32_e32 v12, 31, v11
	v_lshlrev_b64 v[11:12], 3, v[11:12]
	v_mov_b32_e32 v1, s7
	v_add_co_u32_e32 v11, vcc, s6, v11
	v_addc_co_u32_e32 v12, vcc, v1, v12, vcc
	global_load_dwordx2 v[11:12], v[11:12], off
.LBB250_11:                             ;   in Loop: Header=BB250_5 Depth=1
	s_or_b64 exec, exec, s[2:3]
	v_cmp_gt_u32_e64 s[2:3], s26, v20
	v_mov_b32_e32 v13, 0
	v_mov_b32_e32 v14, 0
	s_and_saveexec_b64 s[4:5], s[2:3]
	s_cbranch_execz .LBB250_13
; %bb.12:                               ;   in Loop: Header=BB250_5 Depth=1
	v_add_u32_e32 v13, v21, v20
	v_ashrrev_i32_e32 v14, 31, v13
	v_lshlrev_b64 v[13:14], 3, v[13:14]
	v_mov_b32_e32 v1, s13
	v_add_co_u32_e32 v13, vcc, s12, v13
	v_addc_co_u32_e32 v14, vcc, v1, v14, vcc
	global_load_dwordx2 v[13:14], v[13:14], off
.LBB250_13:                             ;   in Loop: Header=BB250_5 Depth=1
	s_or_b64 exec, exec, s[4:5]
	v_lshlrev_b64 v[16:17], 2, v[15:16]
	v_mov_b32_e32 v1, s17
	v_add_co_u32_e32 v16, vcc, s16, v16
	v_addc_co_u32_e32 v17, vcc, v1, v17, vcc
	global_load_dword v18, v[16:17], off
	v_cmp_ne_u32_e32 vcc, s25, v20
	s_waitcnt vmcnt(1)
	v_mul_f32_e64 v24, v8, -v4
	v_mul_f32_e32 v23, v3, v8
	v_add_u32_e32 v1, s28, v15
	v_add_u32_e32 v17, s29, v15
	;; [unrolled: 1-line block ×4, first 2 shown]
	s_waitcnt vmcnt(0)
	v_cmp_ne_u32_e64 s[4:5], 1, v18
	s_and_b64 s[4:5], vcc, s[4:5]
	s_and_saveexec_b64 s[20:21], s[4:5]
	s_xor_b64 s[20:21], exec, s[20:21]
	s_cbranch_execz .LBB250_17
; %bb.14:                               ;   in Loop: Header=BB250_5 Depth=1
	v_lshlrev_b64 v[25:26], 3, v[1:2]
	v_mov_b32_e32 v18, v2
	v_mov_b32_e32 v1, s9
	v_add_co_u32_e32 v25, vcc, s8, v25
	v_lshlrev_b64 v[17:18], 3, v[17:18]
	v_addc_co_u32_e32 v26, vcc, v1, v26, vcc
	v_add_co_u32_e32 v36, vcc, s8, v17
	v_mov_b32_e32 v17, v2
	v_lshlrev_b64 v[16:17], 3, v[16:17]
	v_addc_co_u32_e32 v37, vcc, v1, v18, vcc
	v_add_co_u32_e32 v38, vcc, s8, v16
	v_add_u32_e32 v33, v19, v20
	v_addc_co_u32_e32 v39, vcc, v1, v17, vcc
	v_add_u32_e32 v1, s28, v33
	v_lshlrev_b64 v[16:17], 3, v[1:2]
	v_mov_b32_e32 v1, s9
	v_add_co_u32_e32 v40, vcc, s8, v16
	v_addc_co_u32_e32 v41, vcc, v1, v17, vcc
	v_add_u32_e32 v1, s29, v33
	v_lshlrev_b64 v[29:30], 3, v[1:2]
	v_mul_f32_e32 v35, v5, v10
	v_mul_f32_e64 v31, v10, -v6
	v_fmac_f32_e32 v35, v6, v9
	v_fmac_f32_e32 v23, v4, v7
	v_mov_b32_e32 v1, s9
	v_fmac_f32_e32 v31, v5, v9
	v_fmac_f32_e32 v24, v3, v7
	v_add_co_u32_e32 v42, vcc, s8, v29
	v_sub_f32_e32 v29, v35, v23
	v_sub_f32_e32 v60, v31, v24
	v_addc_co_u32_e32 v43, vcc, v1, v30, vcc
	v_mul_f32_e32 v30, v29, v29
	v_fmac_f32_e32 v30, v60, v60
	v_div_scale_f32 v35, s[4:5], v30, v30, 1.0
	v_div_scale_f32 v54, vcc, 1.0, v30, 1.0
	global_load_dwordx2 v[27:28], v[25:26], off
	global_load_dwordx2 v[17:18], v[40:41], off
	;; [unrolled: 1-line block ×4, first 2 shown]
	v_add_u32_e32 v1, s30, v33
	v_lshlrev_b64 v[23:24], 3, v[1:2]
	v_mov_b32_e32 v1, s9
	v_add_co_u32_e64 v46, s[4:5], s8, v23
	v_mov_b32_e32 v16, v2
	v_addc_co_u32_e64 v47, s[4:5], v1, v24, s[4:5]
	v_rcp_f32_e32 v23, v35
	v_lshlrev_b64 v[15:16], 3, v[15:16]
	global_load_dwordx2 v[48:49], v[38:39], off
	global_load_dwordx2 v[50:51], v[46:47], off
	v_mov_b32_e32 v34, s9
	v_fma_f32 v24, -v35, v23, 1.0
	v_fmac_f32_e32 v23, v24, v23
	v_mul_f32_e32 v24, v54, v23
	v_add_co_u32_e64 v52, s[4:5], s8, v15
	v_add_u32_e32 v1, s31, v33
	v_fma_f32 v33, -v35, v24, v54
	v_addc_co_u32_e64 v53, s[4:5], v34, v16, s[4:5]
	v_lshlrev_b64 v[15:16], 3, v[1:2]
	v_fmac_f32_e32 v24, v33, v23
	v_fma_f32 v33, -v35, v24, v54
	v_mov_b32_e32 v1, s9
	v_div_fmas_f32 v23, v33, v23, v24
	global_load_dwordx2 v[54:55], v[52:53], off
	v_add_co_u32_e32 v56, vcc, s8, v15
	v_addc_co_u32_e32 v57, vcc, v1, v16, vcc
	global_load_dwordx2 v[58:59], v[56:57], off
	v_fma_f32 v16, v60, 0, -v29
	v_fma_f32 v15, 0, v29, v60
	v_div_fixup_f32 v1, v23, v30, 1.0
	v_mul_f32_e32 v16, v16, v1
	v_mul_f32_e32 v15, v15, v1
	s_waitcnt vmcnt(7)
	v_mul_f32_e64 v23, v16, -v28
	v_fmac_f32_e32 v23, v27, v15
	v_mul_f32_e32 v27, v16, v27
	v_fmac_f32_e32 v27, v28, v15
	s_waitcnt vmcnt(6)
	v_mul_f32_e32 v28, v16, v17
	v_mul_f32_e64 v24, v16, -v18
	v_fmac_f32_e32 v28, v18, v15
	v_fmac_f32_e32 v24, v17, v15
	v_mul_f32_e64 v1, v27, -v10
	v_mul_f32_e32 v18, v9, v27
	v_mul_f32_e64 v17, v28, -v8
	v_mul_f32_e32 v29, v28, v7
	v_fmac_f32_e32 v1, v9, v23
	v_fmac_f32_e32 v18, v10, v23
	;; [unrolled: 1-line block ×4, first 2 shown]
	s_waitcnt vmcnt(4)
	v_mul_f32_e32 v33, v16, v31
	v_mul_f32_e32 v35, v16, v44
	v_sub_f32_e32 v17, v1, v17
	v_sub_f32_e32 v18, v18, v29
	v_mul_f32_e64 v30, v16, -v32
	v_fmac_f32_e32 v33, v32, v15
	v_mul_f32_e64 v32, v16, -v45
	v_fmac_f32_e32 v35, v45, v15
	global_store_dwordx2 v[25:26], v[17:18], off
	v_fmac_f32_e32 v30, v31, v15
	v_fmac_f32_e32 v32, v44, v15
	v_mul_f32_e64 v1, v33, -v10
	v_mul_f32_e32 v18, v9, v33
	v_mul_f32_e64 v17, v35, -v8
	v_mul_f32_e32 v25, v35, v7
	v_fmac_f32_e32 v1, v9, v30
	v_fmac_f32_e32 v18, v10, v30
	v_fmac_f32_e32 v17, v7, v32
	v_fmac_f32_e32 v25, v8, v32
	v_sub_f32_e32 v17, v1, v17
	v_sub_f32_e32 v18, v18, v25
	s_waitcnt vmcnt(4)
	v_mul_f32_e32 v25, v16, v48
	s_waitcnt vmcnt(3)
	v_mul_f32_e32 v26, v16, v50
	global_store_dwordx2 v[36:37], v[17:18], off
	v_mul_f32_e64 v17, v16, -v49
	v_fmac_f32_e32 v25, v49, v15
	v_mul_f32_e64 v18, v16, -v51
	v_fmac_f32_e32 v26, v51, v15
	v_fmac_f32_e32 v17, v48, v15
	;; [unrolled: 1-line block ×3, first 2 shown]
	v_mul_f32_e32 v29, v9, v25
	v_mul_f32_e32 v34, v26, v7
	v_mul_f32_e64 v1, v25, -v10
	v_fmac_f32_e32 v29, v10, v17
	v_mul_f32_e64 v31, v26, -v8
	v_fmac_f32_e32 v34, v8, v18
	v_fmac_f32_e32 v1, v9, v17
	;; [unrolled: 1-line block ×3, first 2 shown]
	v_sub_f32_e32 v37, v29, v34
	s_waitcnt vmcnt(3)
	v_mul_f32_e32 v34, v16, v54
	v_sub_f32_e32 v36, v1, v31
	v_mul_f32_e64 v29, v16, -v55
	v_fmac_f32_e32 v34, v55, v15
	global_store_dwordx2 v[38:39], v[36:37], off
	v_fmac_f32_e32 v29, v54, v15
	s_waitcnt vmcnt(3)
	v_mul_f32_e32 v36, v16, v58
	v_mul_f32_e64 v1, v34, -v10
	v_mul_f32_e64 v31, v16, -v59
	v_fmac_f32_e32 v36, v59, v15
	v_fmac_f32_e32 v1, v9, v29
	v_mul_f32_e32 v9, v9, v34
	v_fmac_f32_e32 v31, v58, v15
	v_fmac_f32_e32 v9, v10, v29
	v_mul_f32_e64 v10, v36, -v8
	v_mul_f32_e32 v37, v36, v7
	v_fmac_f32_e32 v10, v7, v31
	v_fmac_f32_e32 v37, v8, v31
	v_sub_f32_e32 v7, v1, v10
	v_sub_f32_e32 v8, v9, v37
	global_store_dwordx2 v[52:53], v[7:8], off
	v_mul_f32_e64 v7, v27, -v3
	v_mul_f32_e32 v1, v4, v27
	v_fma_f32 v8, -v4, v23, v7
	v_mul_f32_e64 v7, v28, -v6
	v_mul_f32_e32 v9, v5, v28
	v_fma_f32 v1, -v3, v23, v1
	v_fmac_f32_e32 v7, v5, v24
	v_fmac_f32_e32 v9, v6, v24
	v_add_f32_e32 v7, v1, v7
	v_add_f32_e32 v8, v8, v9
	global_store_dwordx2 v[40:41], v[7:8], off
	v_mul_f32_e64 v7, v33, -v3
	v_mul_f32_e32 v1, v4, v33
	v_fma_f32 v8, -v4, v30, v7
	v_mul_f32_e64 v7, v35, -v6
	v_mul_f32_e32 v9, v5, v35
	v_fma_f32 v1, -v3, v30, v1
	v_fmac_f32_e32 v7, v5, v32
	v_fmac_f32_e32 v9, v6, v32
	v_add_f32_e32 v7, v1, v7
	v_add_f32_e32 v8, v8, v9
	;; [unrolled: 11-line block ×3, first 2 shown]
	global_store_dwordx2 v[46:47], v[7:8], off
	v_mul_f32_e32 v1, v4, v34
	v_mul_f32_e64 v7, v34, -v3
	v_mul_f32_e64 v8, v36, -v6
	v_mul_f32_e32 v9, v5, v36
	v_fma_f32 v1, -v3, v29, v1
	v_fma_f32 v7, -v4, v29, v7
	v_fmac_f32_e32 v8, v5, v31
	v_fmac_f32_e32 v9, v6, v31
	v_add_f32_e32 v8, v1, v8
	v_add_f32_e32 v9, v7, v9
	v_mov_b32_e32 v7, 0
	v_mov_b32_e32 v1, 0
	global_store_dwordx2 v[56:57], v[8:9], off
	s_and_saveexec_b64 s[4:5], s[2:3]
	s_cbranch_execz .LBB250_16
; %bb.15:                               ;   in Loop: Header=BB250_5 Depth=1
	v_add_u32_e32 v7, v21, v20
	v_add_u32_e32 v1, s28, v7
	v_lshlrev_b64 v[8:9], 3, v[1:2]
	v_mov_b32_e32 v1, s9
	v_add_co_u32_e32 v37, vcc, s8, v8
	v_addc_co_u32_e32 v38, vcc, v1, v9, vcc
	v_add_u32_e32 v1, s29, v7
	v_lshlrev_b64 v[39:40], 3, v[1:2]
	global_load_dwordx2 v[9:10], v[37:38], off
	v_mov_b32_e32 v1, s9
	v_add_co_u32_e32 v39, vcc, s8, v39
	v_addc_co_u32_e32 v40, vcc, v1, v40, vcc
	global_load_dwordx2 v[41:42], v[39:40], off
	v_mul_f32_e32 v1, v4, v14
	v_mul_f32_e64 v8, v14, -v3
	v_mul_f32_e64 v43, v14, -v6
	v_mul_f32_e32 v44, v5, v14
	v_fma_f32 v48, -v3, v13, v1
	v_fma_f32 v49, -v4, v13, v8
	v_fmac_f32_e32 v43, v5, v13
	v_fmac_f32_e32 v44, v6, v13
	v_ashrrev_i32_e32 v8, 31, v7
	v_mul_f32_e32 v1, v49, v27
	v_mul_f32_e64 v27, v27, -v48
	v_mul_f32_e64 v50, v28, -v44
	v_mul_f32_e32 v28, v43, v28
	v_mul_f32_e32 v51, v49, v33
	v_mul_f32_e64 v52, v35, -v44
	v_lshlrev_b64 v[3:4], 3, v[7:8]
	v_mul_f32_e32 v35, v43, v35
	v_fma_f32 v8, -v48, v23, v1
	v_fma_f32 v23, -v49, v23, v27
	v_fmac_f32_e32 v50, v43, v24
	v_fmac_f32_e32 v28, v44, v24
	v_fma_f32 v24, -v48, v30, v51
	v_fmac_f32_e32 v52, v43, v32
	v_add_u32_e32 v1, s30, v7
	v_mov_b32_e32 v47, s15
	v_mul_f32_e64 v33, v33, -v48
	v_fmac_f32_e32 v35, v44, v32
	v_sub_f32_e32 v28, v23, v28
	v_sub_f32_e32 v32, v24, v52
	v_lshlrev_b64 v[23:24], 3, v[1:2]
	v_add_co_u32_e32 v3, vcc, s14, v3
	v_fma_f32 v27, -v49, v30, v33
	v_sub_f32_e32 v30, v8, v50
	v_add_u32_e32 v1, s31, v7
	v_addc_co_u32_e32 v4, vcc, v47, v4, vcc
	v_mov_b32_e32 v45, s9
	v_lshlrev_b64 v[7:8], 3, v[1:2]
	v_add_co_u32_e32 v23, vcc, s8, v23
	v_sub_f32_e32 v33, v27, v35
	v_addc_co_u32_e32 v24, vcc, v45, v24, vcc
	v_mov_b32_e32 v46, s9
	v_add_co_u32_e32 v7, vcc, s8, v7
	v_addc_co_u32_e32 v8, vcc, v46, v8, vcc
	global_load_dwordx2 v[3:4], v[3:4], off
	v_mul_f32_e64 v1, v6, -v14
	v_mul_f32_e32 v6, v6, v13
	v_fmac_f32_e32 v1, v13, v5
	v_fmac_f32_e32 v6, v14, v5
	v_mul_f32_e32 v5, v49, v25
	v_mul_f32_e64 v13, v25, -v48
	v_mul_f32_e64 v14, v26, -v44
	v_mul_f32_e32 v25, v43, v26
	v_mul_f32_e32 v26, v49, v34
	v_fma_f32 v5, -v48, v17, v5
	v_fma_f32 v13, -v49, v17, v13
	v_fmac_f32_e32 v14, v43, v18
	v_fmac_f32_e32 v25, v44, v18
	v_fma_f32 v17, -v48, v29, v26
	v_sub_f32_e32 v5, v5, v14
	s_waitcnt vmcnt(2)
	v_add_f32_e32 v9, v30, v9
	v_add_f32_e32 v10, v28, v10
	global_store_dwordx2 v[37:38], v[9:10], off
	global_load_dwordx2 v[27:28], v[23:24], off
	v_mul_f32_e64 v30, v34, -v48
	v_mul_f32_e64 v34, v12, -v6
	s_waitcnt vmcnt(3)
	v_add_f32_e32 v9, v32, v41
	v_add_f32_e32 v10, v33, v42
	global_store_dwordx2 v[39:40], v[9:10], off
	global_load_dwordx2 v[9:10], v[7:8], off
	v_mul_f32_e64 v32, v36, -v44
	v_mul_f32_e32 v33, v43, v36
	v_mul_f32_e32 v12, v12, v1
	v_fma_f32 v18, -v49, v29, v30
	v_fmac_f32_e32 v32, v43, v31
	v_fmac_f32_e32 v33, v44, v31
	;; [unrolled: 1-line block ×4, first 2 shown]
	v_sub_f32_e32 v6, v13, v25
	v_sub_f32_e32 v11, v17, v32
	;; [unrolled: 1-line block ×3, first 2 shown]
	v_mul_f32_e64 v1, v16, -v12
	v_mul_f32_e32 v14, v16, v34
	v_fmac_f32_e32 v1, v34, v15
	v_fmac_f32_e32 v14, v12, v15
	s_waitcnt vmcnt(4)
	v_sub_f32_e32 v1, v3, v1
	s_waitcnt vmcnt(2)
	v_add_f32_e32 v5, v5, v27
	v_add_f32_e32 v6, v6, v28
	global_store_dwordx2 v[23:24], v[5:6], off
	s_waitcnt vmcnt(1)
	v_add_f32_e32 v5, v11, v9
	v_add_f32_e32 v6, v13, v10
	global_store_dwordx2 v[7:8], v[5:6], off
	v_sub_f32_e32 v7, v4, v14
.LBB250_16:                             ;   in Loop: Header=BB250_5 Depth=1
	s_or_b64 exec, exec, s[4:5]
	v_mov_b32_e32 v6, v7
	v_mov_b32_e32 v5, v1
                                        ; implicit-def: $vgpr7_vgpr8
                                        ; implicit-def: $vgpr3
                                        ; implicit-def: $vgpr9
                                        ; implicit-def: $vgpr24
                                        ; implicit-def: $vgpr23
                                        ; implicit-def: $vgpr17
                                        ; implicit-def: $vgpr16
                                        ; implicit-def: $vgpr15
.LBB250_17:                             ;   in Loop: Header=BB250_5 Depth=1
	s_or_saveexec_b64 s[2:3], s[20:21]
	v_mov_b32_e32 v8, s27
	s_xor_b64 exec, exec, s[2:3]
	s_cbranch_execz .LBB250_4
; %bb.18:                               ;   in Loop: Header=BB250_5 Depth=1
	v_lshlrev_b64 v[11:12], 3, v[1:2]
	v_mov_b32_e32 v18, v2
	v_mov_b32_e32 v1, s9
	v_lshlrev_b64 v[13:14], 3, v[17:18]
	v_add_co_u32_e32 v25, vcc, s8, v11
	v_addc_co_u32_e32 v26, vcc, v1, v12, vcc
	v_mov_b32_e32 v8, s9
	v_add_co_u32_e32 v27, vcc, s8, v13
	v_mov_b32_e32 v17, v2
	v_addc_co_u32_e32 v28, vcc, v8, v14, vcc
	v_lshlrev_b64 v[13:14], 3, v[16:17]
	v_mov_b32_e32 v16, v2
	v_add_co_u32_e32 v29, vcc, s8, v13
	v_addc_co_u32_e32 v30, vcc, v1, v14, vcc
	v_lshlrev_b64 v[13:14], 3, v[15:16]
	global_load_dwordx2 v[11:12], v[25:26], off
	v_add_co_u32_e32 v35, vcc, s8, v13
	v_addc_co_u32_e32 v36, vcc, v1, v14, vcc
	global_load_dwordx2 v[31:32], v[27:28], off
	global_load_dwordx2 v[33:34], v[29:30], off
	;; [unrolled: 1-line block ×3, first 2 shown]
	v_mul_f32_e32 v1, v6, v6
	v_fmac_f32_e32 v1, v5, v5
	v_div_scale_f32 v8, s[4:5], v1, v1, 1.0
	v_div_scale_f32 v13, vcc, 1.0, v1, 1.0
	v_rcp_f32_e32 v14, v8
	v_fma_f32 v15, -v8, v14, 1.0
	v_fmac_f32_e32 v14, v15, v14
	v_mul_f32_e32 v15, v13, v14
	v_fma_f32 v16, -v8, v15, v13
	v_fmac_f32_e32 v15, v16, v14
	v_fma_f32 v8, -v8, v15, v13
	v_div_fmas_f32 v8, v8, v14, v15
	v_fma_f32 v13, 0, v6, v5
	v_fma_f32 v5, v5, 0, -v6
	v_div_fixup_f32 v1, v8, v1, 1.0
	v_mul_f32_e32 v17, v5, v1
	v_mul_f32_e32 v8, v13, v1
	s_waitcnt vmcnt(3)
	v_mul_f32_e64 v15, v17, -v12
	v_mul_f32_e32 v16, v17, v11
	v_fmac_f32_e32 v15, v11, v8
	v_fmac_f32_e32 v16, v12, v8
	s_waitcnt vmcnt(2)
	v_mul_f32_e64 v13, v17, -v32
	v_mul_f32_e32 v14, v17, v31
	s_waitcnt vmcnt(1)
	v_mul_f32_e64 v11, v17, -v34
	v_mul_f32_e32 v12, v17, v33
	;; [unrolled: 3-line block ×3, first 2 shown]
	v_fmac_f32_e32 v13, v31, v8
	v_fmac_f32_e32 v14, v32, v8
	;; [unrolled: 1-line block ×6, first 2 shown]
	global_store_dwordx2 v[25:26], v[15:16], off
	global_store_dwordx2 v[27:28], v[13:14], off
	;; [unrolled: 1-line block ×4, first 2 shown]
	s_and_saveexec_b64 s[4:5], s[0:1]
	s_cbranch_execz .LBB250_3
; %bb.19:                               ;   in Loop: Header=BB250_5 Depth=1
	v_add_u32_e32 v18, v19, v20
	v_add_u32_e32 v1, s28, v18
	v_lshlrev_b64 v[25:26], 3, v[1:2]
	v_mov_b32_e32 v1, s9
	v_add_co_u32_e32 v25, vcc, s8, v25
	v_addc_co_u32_e32 v26, vcc, v1, v26, vcc
	global_load_dwordx2 v[27:28], v[25:26], off
	s_waitcnt vmcnt(0)
	v_fma_f32 v1, -v4, v15, v28
	v_fma_f32 v27, -v3, v15, v27
	v_fma_f32 v28, -v3, v16, v1
	v_add_u32_e32 v1, s29, v18
	v_fmac_f32_e32 v27, v4, v16
	v_lshlrev_b64 v[15:16], 3, v[1:2]
	v_mov_b32_e32 v1, s9
	v_add_co_u32_e32 v15, vcc, s8, v15
	v_addc_co_u32_e32 v16, vcc, v1, v16, vcc
	global_store_dwordx2 v[25:26], v[27:28], off
	global_load_dwordx2 v[25:26], v[15:16], off
	s_waitcnt vmcnt(0)
	v_fma_f32 v1, -v4, v13, v26
	v_fma_f32 v25, -v3, v13, v25
	v_fma_f32 v26, -v3, v14, v1
	v_add_u32_e32 v1, s30, v18
	v_fmac_f32_e32 v25, v4, v14
	v_lshlrev_b64 v[13:14], 3, v[1:2]
	v_mov_b32_e32 v1, s9
	v_add_co_u32_e32 v13, vcc, s8, v13
	v_addc_co_u32_e32 v14, vcc, v1, v14, vcc
	global_store_dwordx2 v[15:16], v[25:26], off
	;; [unrolled: 12-line block ×3, first 2 shown]
	global_load_dwordx2 v[13:14], v[11:12], off
	s_waitcnt vmcnt(0)
	v_fma_f32 v13, -v3, v5, v13
	v_fma_f32 v1, -v4, v5, v14
	v_fmac_f32_e32 v13, v4, v6
	v_fma_f32 v14, -v3, v6, v1
	global_store_dwordx2 v[11:12], v[13:14], off
	s_branch .LBB250_3
.LBB250_20:
	s_or_b64 exec, exec, s[18:19]
	s_branch .LBB250_22
.LBB250_21:
	v_mov_b32_e32 v20, 0
.LBB250_22:
	v_subrev_u32_e32 v3, s22, v20
	v_add_u32_e32 v1, v3, v0
	v_ashrrev_i32_e32 v2, 31, v1
	v_lshlrev_b64 v[1:2], 2, v[1:2]
	s_waitcnt lgkmcnt(0)
	v_mov_b32_e32 v4, s17
	v_add_co_u32_e32 v1, vcc, s16, v1
	v_addc_co_u32_e32 v2, vcc, v4, v2, vcc
	s_waitcnt vmcnt(0)
	buffer_wbinvl1_vol
	global_load_dword v1, v[1:2], off
	s_waitcnt vmcnt(0)
	v_mul_lo_u32 v1, v1, s22
	v_sub_u32_e32 v7, v3, v1
	v_cmp_lt_i32_e32 vcc, -1, v7
	s_and_b64 exec, exec, vcc
	s_cbranch_execz .LBB250_29
; %bb.23:
	s_lshl_b32 s4, s24, 2
	s_add_i32 s5, s4, s23
	s_add_i32 s6, s5, s23
	;; [unrolled: 1-line block ×3, first 2 shown]
	s_lshl_b32 s12, s22, 1
	s_mov_b64 s[0:1], 0
	v_mov_b32_e32 v8, s17
	v_mov_b32_e32 v9, s11
	;; [unrolled: 1-line block ×3, first 2 shown]
	s_branch .LBB250_25
.LBB250_24:                             ;   in Loop: Header=BB250_25 Depth=1
	s_or_b64 exec, exec, s[2:3]
	v_sub_u32_e32 v7, v7, v1
	v_cmp_gt_i32_e32 vcc, 0, v7
	s_or_b64 s[0:1], vcc, s[0:1]
	s_andn2_b64 exec, exec, s[0:1]
	s_cbranch_execz .LBB250_29
.LBB250_25:                             ; =>This Inner Loop Header: Depth=1
	v_add_u32_e32 v5, v7, v0
	v_ashrrev_i32_e32 v6, 31, v5
	s_waitcnt vmcnt(0)
	v_lshlrev_b64 v[3:4], 2, v[5:6]
	v_add_co_u32_e32 v3, vcc, s16, v3
	v_addc_co_u32_e32 v4, vcc, v8, v4, vcc
	global_load_dword v1, v[3:4], off
	v_lshlrev_b64 v[3:4], 3, v[5:6]
	v_add_co_u32_e32 v3, vcc, s10, v3
	v_addc_co_u32_e32 v4, vcc, v9, v4, vcc
	global_load_dwordx2 v[3:4], v[3:4], off
	s_waitcnt vmcnt(1)
	v_cmp_ne_u32_e32 vcc, 1, v1
	s_and_saveexec_b64 s[2:3], vcc
	s_xor_b64 s[2:3], exec, s[2:3]
	s_cbranch_execz .LBB250_27
; %bb.26:                               ;   in Loop: Header=BB250_25 Depth=1
	v_add_u32_e32 v6, v19, v7
	v_add_u32_e32 v1, s4, v6
	v_lshlrev_b64 v[10:11], 3, v[1:2]
	v_mov_b32_e32 v1, s9
	v_add_co_u32_e32 v10, vcc, s8, v10
	v_addc_co_u32_e32 v11, vcc, v1, v11, vcc
	v_add_u32_e32 v1, s5, v6
	v_lshlrev_b64 v[12:13], 3, v[1:2]
	v_add_u32_e32 v1, s6, v6
	v_lshlrev_b64 v[14:15], 3, v[1:2]
	;; [unrolled: 2-line block ×4, first 2 shown]
	v_mov_b32_e32 v1, s9
	v_add_co_u32_e32 v20, vcc, s8, v20
	v_addc_co_u32_e32 v21, vcc, v1, v21, vcc
	global_load_dwordx2 v[10:11], v[10:11], off
	v_add_co_u32_e32 v12, vcc, s8, v12
	global_load_dwordx2 v[22:23], v[20:21], off
	v_addc_co_u32_e32 v13, vcc, v1, v13, vcc
	v_mov_b32_e32 v6, s9
	v_add_co_u32_e32 v14, vcc, s8, v14
	v_addc_co_u32_e32 v15, vcc, v6, v15, vcc
	v_add_u32_e32 v1, s5, v5
	v_mov_b32_e32 v18, s9
	v_add_co_u32_e32 v16, vcc, s8, v16
	v_lshlrev_b64 v[24:25], 3, v[1:2]
	v_addc_co_u32_e32 v17, vcc, v18, v17, vcc
	global_load_dwordx2 v[26:27], v[12:13], off
	global_load_dwordx2 v[28:29], v[14:15], off
	;; [unrolled: 1-line block ×3, first 2 shown]
	v_mov_b32_e32 v32, s9
	v_add_co_u32_e32 v12, vcc, s8, v24
	v_addc_co_u32_e32 v13, vcc, v32, v25, vcc
	s_waitcnt vmcnt(3)
	v_fma_f32 v14, -v3, v10, v22
	v_fma_f32 v1, -v4, v10, v23
	v_fmac_f32_e32 v14, v4, v11
	v_fma_f32 v15, -v3, v11, v1
	global_store_dwordx2 v[20:21], v[14:15], off
	global_load_dwordx2 v[14:15], v[12:13], off
	v_add_u32_e32 v1, s6, v5
	v_lshlrev_b64 v[16:17], 3, v[1:2]
	v_mov_b32_e32 v20, s9
	v_add_co_u32_e32 v16, vcc, s8, v16
	v_addc_co_u32_e32 v17, vcc, v6, v17, vcc
	s_waitcnt vmcnt(0)
	v_fma_f32 v14, -v3, v26, v14
	v_fma_f32 v1, -v4, v26, v15
	v_fmac_f32_e32 v14, v4, v27
	v_fma_f32 v15, -v3, v27, v1
	global_store_dwordx2 v[12:13], v[14:15], off
	global_load_dwordx2 v[12:13], v[16:17], off
	v_add_u32_e32 v1, s7, v5
	v_lshlrev_b64 v[5:6], 3, v[1:2]
	v_mov_b32_e32 v14, s9
	v_add_co_u32_e32 v5, vcc, s8, v5
	v_addc_co_u32_e32 v6, vcc, v14, v6, vcc
	s_waitcnt vmcnt(0)
	v_fma_f32 v12, -v3, v28, v12
	v_fma_f32 v1, -v4, v28, v13
	v_fmac_f32_e32 v12, v4, v29
	v_fma_f32 v13, -v3, v29, v1
	global_store_dwordx2 v[16:17], v[12:13], off
	global_load_dwordx2 v[12:13], v[5:6], off
	v_subrev_u32_e32 v1, s22, v7
	v_add_u32_e32 v14, v1, v0
	v_ashrrev_i32_e32 v15, 31, v14
	v_lshlrev_b64 v[15:16], 3, v[14:15]
	v_mov_b32_e32 v17, s11
	v_add_co_u32_e32 v15, vcc, s10, v15
	v_add_u32_e32 v1, s4, v14
	v_addc_co_u32_e32 v16, vcc, v17, v16, vcc
	v_lshlrev_b64 v[17:18], 3, v[1:2]
	global_load_dwordx2 v[15:16], v[15:16], off
	v_add_co_u32_e32 v17, vcc, s8, v17
	v_addc_co_u32_e32 v18, vcc, v20, v18, vcc
	s_waitcnt vmcnt(1)
	v_fma_f32 v12, -v3, v30, v12
	v_fma_f32 v1, -v4, v30, v13
	v_fmac_f32_e32 v12, v4, v31
	v_fma_f32 v13, -v3, v31, v1
	global_store_dwordx2 v[5:6], v[12:13], off
	global_load_dwordx2 v[3:4], v[17:18], off
	v_add_u32_e32 v1, s5, v14
	v_lshlrev_b64 v[5:6], 3, v[1:2]
	v_mov_b32_e32 v12, s9
	v_add_co_u32_e32 v5, vcc, s8, v5
	v_addc_co_u32_e32 v6, vcc, v12, v6, vcc
	s_waitcnt vmcnt(0)
	v_fma_f32 v3, -v15, v10, v3
	v_fma_f32 v1, -v16, v10, v4
	v_fmac_f32_e32 v3, v16, v11
	v_fma_f32 v4, -v15, v11, v1
	global_store_dwordx2 v[17:18], v[3:4], off
	global_load_dwordx2 v[3:4], v[5:6], off
	v_add_u32_e32 v1, s6, v14
	v_lshlrev_b64 v[10:11], 3, v[1:2]
	v_add_co_u32_e32 v10, vcc, s8, v10
	v_addc_co_u32_e32 v11, vcc, v12, v11, vcc
	s_waitcnt vmcnt(0)
	v_fma_f32 v3, -v15, v26, v3
	v_fma_f32 v1, -v16, v26, v4
	v_fmac_f32_e32 v3, v16, v27
	v_fma_f32 v4, -v15, v27, v1
	global_store_dwordx2 v[5:6], v[3:4], off
	global_load_dwordx2 v[3:4], v[10:11], off
	v_add_u32_e32 v1, s7, v14
	v_lshlrev_b64 v[5:6], 3, v[1:2]
	v_add_co_u32_e32 v5, vcc, s8, v5
	v_addc_co_u32_e32 v6, vcc, v12, v6, vcc
	s_waitcnt vmcnt(0)
	v_fma_f32 v3, -v15, v28, v3
	v_fma_f32 v1, -v16, v28, v4
	v_fmac_f32_e32 v3, v16, v29
	v_fma_f32 v4, -v15, v29, v1
	global_store_dwordx2 v[10:11], v[3:4], off
	global_load_dwordx2 v[3:4], v[5:6], off
	s_waitcnt vmcnt(0)
	v_fma_f32 v3, -v15, v30, v3
	v_fma_f32 v1, -v16, v30, v4
	v_fmac_f32_e32 v3, v16, v31
	v_fma_f32 v4, -v15, v31, v1
	global_store_dwordx2 v[5:6], v[3:4], off
                                        ; implicit-def: $vgpr5
                                        ; implicit-def: $vgpr3_vgpr4
.LBB250_27:                             ;   in Loop: Header=BB250_25 Depth=1
	s_or_saveexec_b64 s[2:3], s[2:3]
	v_mov_b32_e32 v1, s12
	s_xor_b64 exec, exec, s[2:3]
	s_cbranch_execz .LBB250_24
; %bb.28:                               ;   in Loop: Header=BB250_25 Depth=1
	v_add_u32_e32 v6, v19, v7
	v_add_u32_e32 v1, s4, v6
	v_lshlrev_b64 v[10:11], 3, v[1:2]
	v_mov_b32_e32 v1, s9
	v_add_co_u32_e32 v10, vcc, s8, v10
	v_addc_co_u32_e32 v11, vcc, v1, v11, vcc
	v_add_u32_e32 v1, s4, v5
	v_lshlrev_b64 v[12:13], 3, v[1:2]
	v_mov_b32_e32 v1, s9
	v_add_co_u32_e32 v12, vcc, s8, v12
	v_addc_co_u32_e32 v13, vcc, v1, v13, vcc
	global_load_dwordx2 v[14:15], v[10:11], off
	global_load_dwordx2 v[16:17], v[12:13], off
	v_add_u32_e32 v1, s5, v6
	v_lshlrev_b64 v[10:11], 3, v[1:2]
	v_add_u32_e32 v1, s5, v5
	v_mov_b32_e32 v18, s9
	v_lshlrev_b64 v[20:21], 3, v[1:2]
	v_add_co_u32_e32 v10, vcc, s8, v10
	v_addc_co_u32_e32 v11, vcc, v18, v11, vcc
	v_mov_b32_e32 v22, s9
	v_add_co_u32_e32 v20, vcc, s8, v20
	v_addc_co_u32_e32 v21, vcc, v22, v21, vcc
	s_waitcnt vmcnt(0)
	v_fma_f32 v16, -v3, v14, v16
	v_fma_f32 v1, -v4, v14, v17
	v_fmac_f32_e32 v16, v4, v15
	v_fma_f32 v17, -v3, v15, v1
	global_store_dwordx2 v[12:13], v[16:17], off
	global_load_dwordx2 v[12:13], v[10:11], off
	s_nop 0
	global_load_dwordx2 v[14:15], v[20:21], off
	v_add_u32_e32 v1, s6, v6
	v_lshlrev_b64 v[10:11], 3, v[1:2]
	v_add_u32_e32 v1, s6, v5
	v_lshlrev_b64 v[16:17], 3, v[1:2]
	v_add_co_u32_e32 v10, vcc, s8, v10
	v_addc_co_u32_e32 v11, vcc, v18, v11, vcc
	v_add_co_u32_e32 v16, vcc, s8, v16
	v_addc_co_u32_e32 v17, vcc, v22, v17, vcc
	s_waitcnt vmcnt(0)
	v_fma_f32 v14, -v3, v12, v14
	v_fma_f32 v1, -v4, v12, v15
	v_fmac_f32_e32 v14, v4, v13
	v_fma_f32 v15, -v3, v13, v1
	global_store_dwordx2 v[20:21], v[14:15], off
	global_load_dwordx2 v[12:13], v[10:11], off
	s_nop 0
	global_load_dwordx2 v[14:15], v[16:17], off
	v_add_u32_e32 v1, s7, v6
	v_lshlrev_b64 v[10:11], 3, v[1:2]
	v_add_u32_e32 v1, s7, v5
	v_lshlrev_b64 v[5:6], 3, v[1:2]
	v_add_co_u32_e32 v10, vcc, s8, v10
	v_addc_co_u32_e32 v11, vcc, v18, v11, vcc
	v_mov_b32_e32 v20, s9
	v_add_co_u32_e32 v5, vcc, s8, v5
	v_addc_co_u32_e32 v6, vcc, v20, v6, vcc
	s_waitcnt vmcnt(0)
	v_fma_f32 v14, -v3, v12, v14
	v_fma_f32 v1, -v4, v12, v15
	v_fmac_f32_e32 v14, v4, v13
	v_fma_f32 v15, -v3, v13, v1
	global_store_dwordx2 v[16:17], v[14:15], off
	global_load_dwordx2 v[12:13], v[10:11], off
	s_nop 0
	global_load_dwordx2 v[14:15], v[5:6], off
	s_waitcnt vmcnt(0)
	v_fma_f32 v10, -v3, v12, v14
	v_fma_f32 v1, -v4, v12, v15
	v_fmac_f32_e32 v10, v4, v13
	v_fma_f32 v11, -v3, v13, v1
	v_mov_b32_e32 v1, s22
	global_store_dwordx2 v[5:6], v[10:11], off
	s_branch .LBB250_24
.LBB250_29:
	s_endpgm
	.section	.rodata,"a",@progbits
	.p2align	6, 0x0
	.amdhsa_kernel _ZN9rocsparseL19gtsv_LBM_rhs_kernelILj256ELj128ELj4E21rocsparse_complex_numIfEEEviiiPKT2_S5_S5_PS3_S5_PKi
		.amdhsa_group_segment_fixed_size 0
		.amdhsa_private_segment_fixed_size 0
		.amdhsa_kernarg_size 64
		.amdhsa_user_sgpr_count 6
		.amdhsa_user_sgpr_private_segment_buffer 1
		.amdhsa_user_sgpr_dispatch_ptr 0
		.amdhsa_user_sgpr_queue_ptr 0
		.amdhsa_user_sgpr_kernarg_segment_ptr 1
		.amdhsa_user_sgpr_dispatch_id 0
		.amdhsa_user_sgpr_flat_scratch_init 0
		.amdhsa_user_sgpr_private_segment_size 0
		.amdhsa_uses_dynamic_stack 0
		.amdhsa_system_sgpr_private_segment_wavefront_offset 0
		.amdhsa_system_sgpr_workgroup_id_x 1
		.amdhsa_system_sgpr_workgroup_id_y 1
		.amdhsa_system_sgpr_workgroup_id_z 0
		.amdhsa_system_sgpr_workgroup_info 0
		.amdhsa_system_vgpr_workitem_id 0
		.amdhsa_next_free_vgpr 61
		.amdhsa_next_free_sgpr 32
		.amdhsa_reserve_vcc 1
		.amdhsa_reserve_flat_scratch 0
		.amdhsa_float_round_mode_32 0
		.amdhsa_float_round_mode_16_64 0
		.amdhsa_float_denorm_mode_32 3
		.amdhsa_float_denorm_mode_16_64 3
		.amdhsa_dx10_clamp 1
		.amdhsa_ieee_mode 1
		.amdhsa_fp16_overflow 0
		.amdhsa_exception_fp_ieee_invalid_op 0
		.amdhsa_exception_fp_denorm_src 0
		.amdhsa_exception_fp_ieee_div_zero 0
		.amdhsa_exception_fp_ieee_overflow 0
		.amdhsa_exception_fp_ieee_underflow 0
		.amdhsa_exception_fp_ieee_inexact 0
		.amdhsa_exception_int_div_zero 0
	.end_amdhsa_kernel
	.section	.text._ZN9rocsparseL19gtsv_LBM_rhs_kernelILj256ELj128ELj4E21rocsparse_complex_numIfEEEviiiPKT2_S5_S5_PS3_S5_PKi,"axG",@progbits,_ZN9rocsparseL19gtsv_LBM_rhs_kernelILj256ELj128ELj4E21rocsparse_complex_numIfEEEviiiPKT2_S5_S5_PS3_S5_PKi,comdat
.Lfunc_end250:
	.size	_ZN9rocsparseL19gtsv_LBM_rhs_kernelILj256ELj128ELj4E21rocsparse_complex_numIfEEEviiiPKT2_S5_S5_PS3_S5_PKi, .Lfunc_end250-_ZN9rocsparseL19gtsv_LBM_rhs_kernelILj256ELj128ELj4E21rocsparse_complex_numIfEEEviiiPKT2_S5_S5_PS3_S5_PKi
                                        ; -- End function
	.set _ZN9rocsparseL19gtsv_LBM_rhs_kernelILj256ELj128ELj4E21rocsparse_complex_numIfEEEviiiPKT2_S5_S5_PS3_S5_PKi.num_vgpr, 61
	.set _ZN9rocsparseL19gtsv_LBM_rhs_kernelILj256ELj128ELj4E21rocsparse_complex_numIfEEEviiiPKT2_S5_S5_PS3_S5_PKi.num_agpr, 0
	.set _ZN9rocsparseL19gtsv_LBM_rhs_kernelILj256ELj128ELj4E21rocsparse_complex_numIfEEEviiiPKT2_S5_S5_PS3_S5_PKi.numbered_sgpr, 32
	.set _ZN9rocsparseL19gtsv_LBM_rhs_kernelILj256ELj128ELj4E21rocsparse_complex_numIfEEEviiiPKT2_S5_S5_PS3_S5_PKi.num_named_barrier, 0
	.set _ZN9rocsparseL19gtsv_LBM_rhs_kernelILj256ELj128ELj4E21rocsparse_complex_numIfEEEviiiPKT2_S5_S5_PS3_S5_PKi.private_seg_size, 0
	.set _ZN9rocsparseL19gtsv_LBM_rhs_kernelILj256ELj128ELj4E21rocsparse_complex_numIfEEEviiiPKT2_S5_S5_PS3_S5_PKi.uses_vcc, 1
	.set _ZN9rocsparseL19gtsv_LBM_rhs_kernelILj256ELj128ELj4E21rocsparse_complex_numIfEEEviiiPKT2_S5_S5_PS3_S5_PKi.uses_flat_scratch, 0
	.set _ZN9rocsparseL19gtsv_LBM_rhs_kernelILj256ELj128ELj4E21rocsparse_complex_numIfEEEviiiPKT2_S5_S5_PS3_S5_PKi.has_dyn_sized_stack, 0
	.set _ZN9rocsparseL19gtsv_LBM_rhs_kernelILj256ELj128ELj4E21rocsparse_complex_numIfEEEviiiPKT2_S5_S5_PS3_S5_PKi.has_recursion, 0
	.set _ZN9rocsparseL19gtsv_LBM_rhs_kernelILj256ELj128ELj4E21rocsparse_complex_numIfEEEviiiPKT2_S5_S5_PS3_S5_PKi.has_indirect_call, 0
	.section	.AMDGPU.csdata,"",@progbits
; Kernel info:
; codeLenInByte = 4388
; TotalNumSgprs: 36
; NumVgprs: 61
; ScratchSize: 0
; MemoryBound: 0
; FloatMode: 240
; IeeeMode: 1
; LDSByteSize: 0 bytes/workgroup (compile time only)
; SGPRBlocks: 4
; VGPRBlocks: 15
; NumSGPRsForWavesPerEU: 36
; NumVGPRsForWavesPerEU: 61
; Occupancy: 4
; WaveLimiterHint : 0
; COMPUTE_PGM_RSRC2:SCRATCH_EN: 0
; COMPUTE_PGM_RSRC2:USER_SGPR: 6
; COMPUTE_PGM_RSRC2:TRAP_HANDLER: 0
; COMPUTE_PGM_RSRC2:TGID_X_EN: 1
; COMPUTE_PGM_RSRC2:TGID_Y_EN: 1
; COMPUTE_PGM_RSRC2:TGID_Z_EN: 0
; COMPUTE_PGM_RSRC2:TIDIG_COMP_CNT: 0
	.section	.text._ZN9rocsparseL19gtsv_LBM_rhs_kernelILj256ELj128ELj2E21rocsparse_complex_numIfEEEviiiPKT2_S5_S5_PS3_S5_PKi,"axG",@progbits,_ZN9rocsparseL19gtsv_LBM_rhs_kernelILj256ELj128ELj2E21rocsparse_complex_numIfEEEviiiPKT2_S5_S5_PS3_S5_PKi,comdat
	.globl	_ZN9rocsparseL19gtsv_LBM_rhs_kernelILj256ELj128ELj2E21rocsparse_complex_numIfEEEviiiPKT2_S5_S5_PS3_S5_PKi ; -- Begin function _ZN9rocsparseL19gtsv_LBM_rhs_kernelILj256ELj128ELj2E21rocsparse_complex_numIfEEEviiiPKT2_S5_S5_PS3_S5_PKi
	.p2align	8
	.type	_ZN9rocsparseL19gtsv_LBM_rhs_kernelILj256ELj128ELj2E21rocsparse_complex_numIfEEEviiiPKT2_S5_S5_PS3_S5_PKi,@function
_ZN9rocsparseL19gtsv_LBM_rhs_kernelILj256ELj128ELj2E21rocsparse_complex_numIfEEEviiiPKT2_S5_S5_PS3_S5_PKi: ; @_ZN9rocsparseL19gtsv_LBM_rhs_kernelILj256ELj128ELj2E21rocsparse_complex_numIfEEEviiiPKT2_S5_S5_PS3_S5_PKi
; %bb.0:
	s_load_dword s23, s[4:5], 0x0
	v_lshl_or_b32 v0, s6, 8, v0
	s_waitcnt lgkmcnt(0)
	s_lshr_b32 s22, s23, 7
	v_cmp_gt_i32_e32 vcc, s22, v0
	s_and_saveexec_b64 s[0:1], vcc
	s_cbranch_execz .LBB251_29
; %bb.1:
	s_load_dwordx4 s[8:11], s[4:5], 0x28
	s_load_dwordx2 s[16:17], s[4:5], 0x38
	s_cmp_lt_i32 s23, 1
	v_add_u32_e32 v17, s22, v0
	s_mul_i32 s24, s7, s23
	s_cbranch_scc1 .LBB251_21
; %bb.2:
	s_load_dwordx4 s[12:15], s[4:5], 0x10
	s_load_dwordx2 s[6:7], s[4:5], 0x20
	v_ashrrev_i32_e32 v1, 31, v0
	v_lshlrev_b64 v[1:2], 3, v[0:1]
	s_lshl_b32 s28, s24, 1
	s_waitcnt lgkmcnt(0)
	v_mov_b32_e32 v3, s15
	v_add_co_u32_e32 v1, vcc, s14, v1
	v_addc_co_u32_e32 v2, vcc, v3, v2, vcc
	global_load_dwordx2 v[5:6], v[1:2], off
	s_mul_i32 s25, s22, 0x7f
	s_mul_i32 s26, s22, 0x7e
	s_lshl_b32 s27, s22, 1
	v_add_u32_e32 v19, s22, v17
	s_add_i32 s29, s28, s23
	v_mov_b32_e32 v2, 0
	s_mov_b64 s[18:19], 0
	v_mov_b32_e32 v20, s7
	v_mov_b32_e32 v18, 0
	s_branch .LBB251_5
.LBB251_3:                              ;   in Loop: Header=BB251_5 Depth=1
	s_or_b64 exec, exec, s[4:5]
	v_fmac_f32_e32 v22, v3, v7
	v_fmac_f32_e32 v21, v4, v7
	v_mul_f32_e64 v1, v13, -v21
	v_mul_f32_e32 v3, v13, v22
	v_fmac_f32_e32 v1, v22, v10
	v_fmac_f32_e32 v3, v21, v10
	v_sub_f32_e32 v5, v11, v1
	v_sub_f32_e32 v6, v12, v3
	v_mov_b32_e32 v8, s22
.LBB251_4:                              ;   in Loop: Header=BB251_5 Depth=1
	s_or_b64 exec, exec, s[2:3]
	v_add_u32_e32 v18, v8, v18
	v_cmp_le_i32_e32 vcc, s23, v18
	s_or_b64 s[18:19], vcc, s[18:19]
	s_andn2_b64 exec, exec, s[18:19]
	s_cbranch_execz .LBB251_20
.LBB251_5:                              ; =>This Inner Loop Header: Depth=1
	v_add_u32_e32 v15, v18, v0
	v_ashrrev_i32_e32 v16, 31, v15
	v_lshlrev_b64 v[3:4], 3, v[15:16]
	v_cmp_gt_u32_e64 s[0:1], s25, v18
	v_add_co_u32_e32 v3, vcc, s6, v3
	v_addc_co_u32_e32 v4, vcc, v20, v4, vcc
	global_load_dwordx2 v[7:8], v[3:4], off
	v_mov_b32_e32 v3, 0
	v_mov_b32_e32 v4, 0
	s_and_saveexec_b64 s[2:3], s[0:1]
	s_cbranch_execz .LBB251_7
; %bb.6:                                ;   in Loop: Header=BB251_5 Depth=1
	v_add_u32_e32 v3, v17, v18
	v_ashrrev_i32_e32 v4, 31, v3
	v_lshlrev_b64 v[3:4], 3, v[3:4]
	v_mov_b32_e32 v1, s13
	v_add_co_u32_e32 v3, vcc, s12, v3
	v_addc_co_u32_e32 v4, vcc, v1, v4, vcc
	global_load_dwordx2 v[3:4], v[3:4], off
.LBB251_7:                              ;   in Loop: Header=BB251_5 Depth=1
	s_or_b64 exec, exec, s[2:3]
	v_mov_b32_e32 v9, 0
	v_mov_b32_e32 v11, 0
	;; [unrolled: 1-line block ×3, first 2 shown]
	s_and_saveexec_b64 s[2:3], s[0:1]
	s_cbranch_execz .LBB251_9
; %bb.8:                                ;   in Loop: Header=BB251_5 Depth=1
	v_add_u32_e32 v10, v17, v18
	v_ashrrev_i32_e32 v11, 31, v10
	v_lshlrev_b64 v[10:11], 3, v[10:11]
	v_mov_b32_e32 v1, s15
	v_add_co_u32_e32 v10, vcc, s14, v10
	v_addc_co_u32_e32 v11, vcc, v1, v11, vcc
	global_load_dwordx2 v[11:12], v[10:11], off
.LBB251_9:                              ;   in Loop: Header=BB251_5 Depth=1
	s_or_b64 exec, exec, s[2:3]
	v_mov_b32_e32 v10, 0
	s_and_saveexec_b64 s[2:3], s[0:1]
	s_cbranch_execz .LBB251_11
; %bb.10:                               ;   in Loop: Header=BB251_5 Depth=1
	v_add_u32_e32 v9, v17, v18
	v_ashrrev_i32_e32 v10, 31, v9
	v_lshlrev_b64 v[9:10], 3, v[9:10]
	v_mov_b32_e32 v1, s7
	v_add_co_u32_e32 v9, vcc, s6, v9
	v_addc_co_u32_e32 v10, vcc, v1, v10, vcc
	global_load_dwordx2 v[9:10], v[9:10], off
.LBB251_11:                             ;   in Loop: Header=BB251_5 Depth=1
	s_or_b64 exec, exec, s[2:3]
	v_cmp_gt_u32_e64 s[2:3], s26, v18
	v_mov_b32_e32 v13, 0
	v_mov_b32_e32 v14, 0
	s_and_saveexec_b64 s[4:5], s[2:3]
	s_cbranch_execz .LBB251_13
; %bb.12:                               ;   in Loop: Header=BB251_5 Depth=1
	v_add_u32_e32 v13, v19, v18
	v_ashrrev_i32_e32 v14, 31, v13
	v_lshlrev_b64 v[13:14], 3, v[13:14]
	v_mov_b32_e32 v1, s13
	v_add_co_u32_e32 v13, vcc, s12, v13
	v_addc_co_u32_e32 v14, vcc, v1, v14, vcc
	global_load_dwordx2 v[13:14], v[13:14], off
.LBB251_13:                             ;   in Loop: Header=BB251_5 Depth=1
	s_or_b64 exec, exec, s[4:5]
	v_lshlrev_b64 v[21:22], 2, v[15:16]
	v_mov_b32_e32 v1, s17
	v_add_co_u32_e32 v21, vcc, s16, v21
	v_addc_co_u32_e32 v22, vcc, v1, v22, vcc
	global_load_dword v16, v[21:22], off
	v_cmp_ne_u32_e32 vcc, s25, v18
	s_waitcnt vmcnt(1)
	v_mul_f32_e64 v22, v8, -v4
	v_mul_f32_e32 v21, v3, v8
	v_add_u32_e32 v1, s28, v15
	v_add_u32_e32 v15, s29, v15
	s_waitcnt vmcnt(0)
	v_cmp_ne_u32_e64 s[4:5], 1, v16
	s_and_b64 s[4:5], vcc, s[4:5]
	s_and_saveexec_b64 s[20:21], s[4:5]
	s_xor_b64 s[20:21], exec, s[20:21]
	s_cbranch_execz .LBB251_17
; %bb.14:                               ;   in Loop: Header=BB251_5 Depth=1
	v_lshlrev_b64 v[23:24], 3, v[1:2]
	v_mov_b32_e32 v16, v2
	v_mov_b32_e32 v1, s9
	v_add_co_u32_e32 v25, vcc, s8, v23
	v_lshlrev_b64 v[15:16], 3, v[15:16]
	v_addc_co_u32_e32 v26, vcc, v1, v24, vcc
	v_mul_f32_e32 v23, v5, v12
	v_add_co_u32_e32 v29, vcc, s8, v15
	v_mul_f32_e64 v15, v12, -v6
	v_fmac_f32_e32 v23, v6, v11
	v_fmac_f32_e32 v21, v4, v7
	;; [unrolled: 1-line block ×4, first 2 shown]
	v_sub_f32_e32 v21, v23, v21
	v_sub_f32_e32 v22, v15, v22
	v_mul_f32_e32 v23, v21, v21
	v_fmac_f32_e32 v23, v22, v22
	v_div_scale_f32 v24, s[4:5], v23, v23, 1.0
	v_addc_co_u32_e32 v30, vcc, v1, v16, vcc
	v_div_scale_f32 v35, vcc, 1.0, v23, 1.0
	v_add_u32_e32 v27, v17, v18
	v_add_u32_e32 v1, s28, v27
	v_lshlrev_b64 v[15:16], 3, v[1:2]
	v_mov_b32_e32 v1, s9
	v_add_co_u32_e64 v31, s[4:5], s8, v15
	v_addc_co_u32_e64 v32, s[4:5], v1, v16, s[4:5]
	v_add_u32_e32 v1, s29, v27
	v_lshlrev_b64 v[15:16], 3, v[1:2]
	v_rcp_f32_e32 v36, v24
	v_mov_b32_e32 v1, s9
	v_add_co_u32_e64 v33, s[4:5], s8, v15
	v_addc_co_u32_e64 v34, s[4:5], v1, v16, s[4:5]
	v_fma_f32 v1, -v24, v36, 1.0
	v_fmac_f32_e32 v36, v1, v36
	v_mul_f32_e32 v1, v35, v36
	v_fma_f32 v15, -v24, v1, v35
	v_fmac_f32_e32 v1, v15, v36
	v_fma_f32 v15, -v24, v1, v35
	global_load_dwordx2 v[27:28], v[25:26], off
	v_div_fmas_f32 v1, v15, v36, v1
	global_load_dwordx2 v[35:36], v[31:32], off
	v_fma_f32 v16, v22, 0, -v21
	v_fma_f32 v15, 0, v21, v22
	v_div_fixup_f32 v1, v1, v23, 1.0
	v_mul_f32_e32 v16, v16, v1
	v_mul_f32_e32 v15, v15, v1
	s_waitcnt vmcnt(1)
	v_mul_f32_e32 v23, v16, v27
	v_mul_f32_e64 v22, v16, -v28
	s_waitcnt vmcnt(0)
	v_mul_f32_e32 v24, v16, v35
	v_fmac_f32_e32 v23, v28, v15
	v_mul_f32_e64 v21, v16, -v36
	v_fmac_f32_e32 v24, v36, v15
	v_fmac_f32_e32 v22, v27, v15
	;; [unrolled: 1-line block ×3, first 2 shown]
	v_mul_f32_e32 v28, v11, v23
	v_mul_f32_e32 v35, v24, v7
	v_fmac_f32_e32 v28, v12, v22
	v_fmac_f32_e32 v35, v8, v21
	v_sub_f32_e32 v28, v28, v35
	global_load_dwordx2 v[35:36], v[29:30], off
	global_load_dwordx2 v[37:38], v[33:34], off
	v_mul_f32_e64 v1, v23, -v12
	v_mul_f32_e64 v27, v24, -v8
	v_fmac_f32_e32 v1, v11, v22
	v_fmac_f32_e32 v27, v7, v21
	v_sub_f32_e32 v27, v1, v27
	global_store_dwordx2 v[25:26], v[27:28], off
	s_waitcnt vmcnt(2)
	v_mul_f32_e32 v27, v16, v35
	v_mul_f32_e64 v25, v16, -v36
	v_fmac_f32_e32 v27, v36, v15
	v_fmac_f32_e32 v25, v35, v15
	s_waitcnt vmcnt(1)
	v_mul_f32_e32 v28, v16, v37
	v_mul_f32_e64 v1, v27, -v12
	v_mul_f32_e64 v26, v16, -v38
	v_fmac_f32_e32 v28, v38, v15
	v_fmac_f32_e32 v1, v11, v25
	v_mul_f32_e32 v11, v11, v27
	v_fmac_f32_e32 v26, v37, v15
	v_fmac_f32_e32 v11, v12, v25
	v_mul_f32_e64 v12, v28, -v8
	v_mul_f32_e32 v35, v28, v7
	v_fmac_f32_e32 v12, v7, v26
	v_fmac_f32_e32 v35, v8, v26
	v_sub_f32_e32 v7, v1, v12
	v_sub_f32_e32 v8, v11, v35
	global_store_dwordx2 v[29:30], v[7:8], off
	v_mul_f32_e64 v7, v23, -v3
	v_mul_f32_e32 v1, v4, v23
	v_fma_f32 v8, -v4, v22, v7
	v_mul_f32_e64 v7, v24, -v6
	v_mul_f32_e32 v11, v5, v24
	v_fma_f32 v1, -v3, v22, v1
	v_fmac_f32_e32 v7, v5, v21
	v_fmac_f32_e32 v11, v6, v21
	v_add_f32_e32 v7, v1, v7
	v_add_f32_e32 v8, v8, v11
	global_store_dwordx2 v[31:32], v[7:8], off
	v_mul_f32_e32 v1, v4, v27
	v_mul_f32_e64 v7, v27, -v3
	v_mul_f32_e64 v8, v28, -v6
	v_mul_f32_e32 v12, v5, v28
	v_fma_f32 v1, -v3, v25, v1
	v_fma_f32 v7, -v4, v25, v7
	v_fmac_f32_e32 v8, v5, v26
	v_fmac_f32_e32 v12, v6, v26
	v_add_f32_e32 v11, v1, v8
	v_add_f32_e32 v12, v7, v12
	v_mov_b32_e32 v7, 0
	v_mov_b32_e32 v1, 0
	global_store_dwordx2 v[33:34], v[11:12], off
	s_and_saveexec_b64 s[4:5], s[2:3]
	s_cbranch_execz .LBB251_16
; %bb.15:                               ;   in Loop: Header=BB251_5 Depth=1
	v_add_u32_e32 v7, v19, v18
	v_add_u32_e32 v1, s28, v7
	v_lshlrev_b64 v[11:12], 3, v[1:2]
	v_mov_b32_e32 v1, s9
	v_add_co_u32_e32 v11, vcc, s8, v11
	v_ashrrev_i32_e32 v8, 31, v7
	v_addc_co_u32_e32 v12, vcc, v1, v12, vcc
	v_add_u32_e32 v1, s29, v7
	v_lshlrev_b64 v[7:8], 3, v[7:8]
	v_mov_b32_e32 v29, s15
	v_add_co_u32_e32 v7, vcc, s14, v7
	v_addc_co_u32_e32 v8, vcc, v29, v8, vcc
	v_lshlrev_b64 v[29:30], 3, v[1:2]
	v_mov_b32_e32 v1, s9
	global_load_dwordx2 v[31:32], v[11:12], off
	global_load_dwordx2 v[33:34], v[7:8], off
	v_add_co_u32_e32 v7, vcc, s8, v29
	v_addc_co_u32_e32 v8, vcc, v1, v30, vcc
	global_load_dwordx2 v[29:30], v[7:8], off
	v_mul_f32_e32 v1, v4, v14
	v_mul_f32_e64 v35, v14, -v3
	v_mul_f32_e64 v36, v14, -v6
	v_mul_f32_e32 v37, v5, v14
	v_fma_f32 v1, -v3, v13, v1
	v_fma_f32 v3, -v4, v13, v35
	v_mul_f32_e64 v4, v6, -v14
	v_mul_f32_e32 v35, v6, v13
	v_fmac_f32_e32 v36, v5, v13
	v_fmac_f32_e32 v37, v6, v13
	;; [unrolled: 1-line block ×4, first 2 shown]
	v_mul_f32_e32 v5, v3, v23
	v_mul_f32_e64 v6, v23, -v1
	v_mul_f32_e64 v23, v24, -v37
	v_mul_f32_e32 v24, v36, v24
	v_mul_f32_e32 v13, v3, v27
	v_mul_f32_e64 v14, v27, -v1
	v_mul_f32_e64 v27, v28, -v37
	v_mul_f32_e32 v28, v36, v28
	v_fma_f32 v5, -v1, v22, v5
	v_fma_f32 v6, -v3, v22, v6
	v_mul_f32_e64 v22, v10, -v35
	v_mul_f32_e32 v10, v10, v4
	v_fmac_f32_e32 v23, v36, v21
	v_fmac_f32_e32 v24, v37, v21
	v_fma_f32 v1, -v1, v25, v13
	v_fma_f32 v3, -v3, v25, v14
	v_fmac_f32_e32 v27, v36, v26
	v_fmac_f32_e32 v28, v37, v26
	;; [unrolled: 1-line block ×4, first 2 shown]
	v_sub_f32_e32 v4, v5, v23
	v_sub_f32_e32 v5, v6, v24
	;; [unrolled: 1-line block ×4, first 2 shown]
	v_mul_f32_e64 v1, v16, -v10
	v_mul_f32_e32 v13, v16, v22
	v_fmac_f32_e32 v1, v22, v15
	v_fmac_f32_e32 v13, v10, v15
	s_waitcnt vmcnt(2)
	v_add_f32_e32 v3, v4, v31
	v_add_f32_e32 v4, v5, v32
	global_store_dwordx2 v[11:12], v[3:4], off
	s_waitcnt vmcnt(2)
	v_sub_f32_e32 v1, v33, v1
	s_waitcnt vmcnt(1)
	v_add_f32_e32 v3, v6, v29
	v_add_f32_e32 v4, v9, v30
	global_store_dwordx2 v[7:8], v[3:4], off
	v_sub_f32_e32 v7, v34, v13
.LBB251_16:                             ;   in Loop: Header=BB251_5 Depth=1
	s_or_b64 exec, exec, s[4:5]
	v_mov_b32_e32 v6, v7
	v_mov_b32_e32 v5, v1
                                        ; implicit-def: $vgpr7_vgpr8
                                        ; implicit-def: $vgpr3
                                        ; implicit-def: $vgpr11
                                        ; implicit-def: $vgpr22
                                        ; implicit-def: $vgpr21
                                        ; implicit-def: $vgpr15
.LBB251_17:                             ;   in Loop: Header=BB251_5 Depth=1
	s_or_saveexec_b64 s[2:3], s[20:21]
	v_mov_b32_e32 v8, s27
	s_xor_b64 exec, exec, s[2:3]
	s_cbranch_execz .LBB251_4
; %bb.18:                               ;   in Loop: Header=BB251_5 Depth=1
	v_mul_f32_e32 v8, v6, v6
	v_fmac_f32_e32 v8, v5, v5
	v_div_scale_f32 v9, s[4:5], v8, v8, 1.0
	v_rcp_f32_e32 v10, v9
	v_fma_f32 v13, -v9, v10, 1.0
	v_fmac_f32_e32 v10, v13, v10
	v_div_scale_f32 v13, vcc, 1.0, v8, 1.0
	v_mul_f32_e32 v14, v13, v10
	v_fma_f32 v16, -v9, v14, v13
	v_fmac_f32_e32 v14, v16, v10
	v_fma_f32 v9, -v9, v14, v13
	v_div_fmas_f32 v9, v9, v10, v14
	v_mov_b32_e32 v16, v2
	v_div_fixup_f32 v8, v9, v8, 1.0
	v_fma_f32 v9, 0, v6, v5
	v_fma_f32 v5, v5, 0, -v6
	v_mul_f32_e32 v13, v5, v8
	v_lshlrev_b64 v[5:6], 3, v[1:2]
	v_mov_b32_e32 v1, s9
	v_add_co_u32_e32 v23, vcc, s8, v5
	v_addc_co_u32_e32 v24, vcc, v1, v6, vcc
	v_mul_f32_e32 v10, v9, v8
	global_load_dwordx2 v[8:9], v[23:24], off
	s_waitcnt vmcnt(0)
	v_mul_f32_e64 v5, v13, -v9
	v_mul_f32_e32 v6, v13, v8
	v_fmac_f32_e32 v5, v8, v10
	v_fmac_f32_e32 v6, v9, v10
	v_lshlrev_b64 v[8:9], 3, v[15:16]
	v_add_co_u32_e32 v14, vcc, s8, v8
	v_addc_co_u32_e32 v15, vcc, v1, v9, vcc
	global_load_dwordx2 v[25:26], v[14:15], off
	s_waitcnt vmcnt(0)
	v_mul_f32_e64 v8, v13, -v26
	v_mul_f32_e32 v9, v13, v25
	v_fmac_f32_e32 v8, v25, v10
	v_fmac_f32_e32 v9, v26, v10
	global_store_dwordx2 v[23:24], v[5:6], off
	global_store_dwordx2 v[14:15], v[8:9], off
	s_and_saveexec_b64 s[4:5], s[0:1]
	s_cbranch_execz .LBB251_3
; %bb.19:                               ;   in Loop: Header=BB251_5 Depth=1
	v_add_u32_e32 v16, v17, v18
	v_add_u32_e32 v1, s28, v16
	v_lshlrev_b64 v[14:15], 3, v[1:2]
	v_mov_b32_e32 v1, s9
	v_add_co_u32_e32 v14, vcc, s8, v14
	v_addc_co_u32_e32 v15, vcc, v1, v15, vcc
	v_add_u32_e32 v1, s29, v16
	v_lshlrev_b64 v[25:26], 3, v[1:2]
	v_mov_b32_e32 v1, s9
	v_add_co_u32_e32 v25, vcc, s8, v25
	global_load_dwordx2 v[23:24], v[14:15], off
	v_addc_co_u32_e32 v26, vcc, v1, v26, vcc
	global_load_dwordx2 v[27:28], v[25:26], off
	s_waitcnt vmcnt(1)
	v_fma_f32 v1, -v4, v5, v24
	v_fma_f32 v23, -v3, v5, v23
	;; [unrolled: 1-line block ×3, first 2 shown]
	s_waitcnt vmcnt(0)
	v_fma_f32 v5, -v3, v8, v27
	v_fma_f32 v1, -v4, v8, v28
	v_fmac_f32_e32 v23, v4, v6
	v_fmac_f32_e32 v5, v4, v9
	v_fma_f32 v6, -v3, v9, v1
	global_store_dwordx2 v[14:15], v[23:24], off
	global_store_dwordx2 v[25:26], v[5:6], off
	s_branch .LBB251_3
.LBB251_20:
	s_or_b64 exec, exec, s[18:19]
	s_branch .LBB251_22
.LBB251_21:
	v_mov_b32_e32 v18, 0
.LBB251_22:
	v_subrev_u32_e32 v3, s22, v18
	v_add_u32_e32 v1, v3, v0
	v_ashrrev_i32_e32 v2, 31, v1
	v_lshlrev_b64 v[1:2], 2, v[1:2]
	s_waitcnt lgkmcnt(0)
	v_mov_b32_e32 v4, s17
	v_add_co_u32_e32 v1, vcc, s16, v1
	v_addc_co_u32_e32 v2, vcc, v4, v2, vcc
	s_waitcnt vmcnt(0)
	buffer_wbinvl1_vol
	global_load_dword v1, v[1:2], off
	s_waitcnt vmcnt(0)
	v_mul_lo_u32 v1, v1, s22
	v_sub_u32_e32 v7, v3, v1
	v_cmp_lt_i32_e32 vcc, -1, v7
	s_and_b64 exec, exec, vcc
	s_cbranch_execz .LBB251_29
; %bb.23:
	s_lshl_b32 s4, s24, 1
	s_add_i32 s5, s4, s23
	s_lshl_b32 s6, s22, 1
	s_mov_b64 s[0:1], 0
	v_mov_b32_e32 v8, s17
	v_mov_b32_e32 v9, s11
	;; [unrolled: 1-line block ×3, first 2 shown]
	s_branch .LBB251_25
.LBB251_24:                             ;   in Loop: Header=BB251_25 Depth=1
	s_or_b64 exec, exec, s[2:3]
	v_sub_u32_e32 v7, v7, v1
	v_cmp_gt_i32_e32 vcc, 0, v7
	s_or_b64 s[0:1], vcc, s[0:1]
	s_andn2_b64 exec, exec, s[0:1]
	s_cbranch_execz .LBB251_29
.LBB251_25:                             ; =>This Inner Loop Header: Depth=1
	v_add_u32_e32 v5, v7, v0
	v_ashrrev_i32_e32 v6, 31, v5
	s_waitcnt vmcnt(0)
	v_lshlrev_b64 v[3:4], 2, v[5:6]
	v_add_co_u32_e32 v3, vcc, s16, v3
	v_addc_co_u32_e32 v4, vcc, v8, v4, vcc
	global_load_dword v1, v[3:4], off
	v_lshlrev_b64 v[3:4], 3, v[5:6]
	v_add_co_u32_e32 v3, vcc, s10, v3
	v_addc_co_u32_e32 v4, vcc, v9, v4, vcc
	global_load_dwordx2 v[3:4], v[3:4], off
	s_waitcnt vmcnt(1)
	v_cmp_ne_u32_e32 vcc, 1, v1
	s_and_saveexec_b64 s[2:3], vcc
	s_xor_b64 s[2:3], exec, s[2:3]
	s_cbranch_execz .LBB251_27
; %bb.26:                               ;   in Loop: Header=BB251_25 Depth=1
	v_add_u32_e32 v6, v17, v7
	v_add_u32_e32 v1, s4, v6
	v_lshlrev_b64 v[10:11], 3, v[1:2]
	v_mov_b32_e32 v1, s9
	v_add_co_u32_e32 v10, vcc, s8, v10
	v_addc_co_u32_e32 v11, vcc, v1, v11, vcc
	v_add_u32_e32 v1, s5, v6
	v_lshlrev_b64 v[12:13], 3, v[1:2]
	v_add_u32_e32 v1, s4, v5
	v_lshlrev_b64 v[14:15], 3, v[1:2]
	v_mov_b32_e32 v1, s9
	v_add_co_u32_e32 v14, vcc, s8, v14
	v_addc_co_u32_e32 v15, vcc, v1, v15, vcc
	global_load_dwordx2 v[18:19], v[10:11], off
	global_load_dwordx2 v[20:21], v[14:15], off
	v_add_co_u32_e32 v10, vcc, s8, v12
	v_addc_co_u32_e32 v11, vcc, v1, v13, vcc
	v_add_u32_e32 v1, s5, v5
	v_lshlrev_b64 v[5:6], 3, v[1:2]
	v_mov_b32_e32 v12, s9
	v_add_co_u32_e32 v5, vcc, s8, v5
	v_addc_co_u32_e32 v6, vcc, v12, v6, vcc
	global_load_dwordx2 v[10:11], v[10:11], off
	v_mov_b32_e32 v22, s9
	s_waitcnt vmcnt(1)
	v_fma_f32 v12, -v3, v18, v20
	v_fma_f32 v1, -v4, v18, v21
	v_fmac_f32_e32 v12, v4, v19
	v_fma_f32 v13, -v3, v19, v1
	global_store_dwordx2 v[14:15], v[12:13], off
	global_load_dwordx2 v[12:13], v[5:6], off
	v_subrev_u32_e32 v1, s22, v7
	v_add_u32_e32 v14, v1, v0
	v_ashrrev_i32_e32 v15, 31, v14
	v_lshlrev_b64 v[15:16], 3, v[14:15]
	v_mov_b32_e32 v20, s11
	v_add_co_u32_e32 v15, vcc, s10, v15
	v_add_u32_e32 v1, s4, v14
	v_addc_co_u32_e32 v16, vcc, v20, v16, vcc
	v_lshlrev_b64 v[20:21], 3, v[1:2]
	global_load_dwordx2 v[15:16], v[15:16], off
	v_add_co_u32_e32 v20, vcc, s8, v20
	v_addc_co_u32_e32 v21, vcc, v22, v21, vcc
	s_waitcnt vmcnt(1)
	v_fma_f32 v12, -v3, v10, v12
	v_fma_f32 v1, -v4, v10, v13
	v_fmac_f32_e32 v12, v4, v11
	v_fma_f32 v13, -v3, v11, v1
	global_store_dwordx2 v[5:6], v[12:13], off
	global_load_dwordx2 v[3:4], v[20:21], off
	v_add_u32_e32 v1, s5, v14
	v_lshlrev_b64 v[5:6], 3, v[1:2]
	v_mov_b32_e32 v12, s9
	v_add_co_u32_e32 v5, vcc, s8, v5
	v_addc_co_u32_e32 v6, vcc, v12, v6, vcc
	s_waitcnt vmcnt(0)
	v_fma_f32 v3, -v15, v18, v3
	v_fma_f32 v1, -v16, v18, v4
	v_fmac_f32_e32 v3, v16, v19
	v_fma_f32 v4, -v15, v19, v1
	global_store_dwordx2 v[20:21], v[3:4], off
	global_load_dwordx2 v[3:4], v[5:6], off
	s_waitcnt vmcnt(0)
	v_fma_f32 v3, -v15, v10, v3
	v_fma_f32 v1, -v16, v10, v4
	v_fmac_f32_e32 v3, v16, v11
	v_fma_f32 v4, -v15, v11, v1
	global_store_dwordx2 v[5:6], v[3:4], off
                                        ; implicit-def: $vgpr5
                                        ; implicit-def: $vgpr3_vgpr4
.LBB251_27:                             ;   in Loop: Header=BB251_25 Depth=1
	s_or_saveexec_b64 s[2:3], s[2:3]
	v_mov_b32_e32 v1, s6
	s_xor_b64 exec, exec, s[2:3]
	s_cbranch_execz .LBB251_24
; %bb.28:                               ;   in Loop: Header=BB251_25 Depth=1
	v_add_u32_e32 v6, v17, v7
	v_add_u32_e32 v1, s4, v6
	v_lshlrev_b64 v[10:11], 3, v[1:2]
	v_mov_b32_e32 v1, s9
	v_add_co_u32_e32 v10, vcc, s8, v10
	v_addc_co_u32_e32 v11, vcc, v1, v11, vcc
	v_add_u32_e32 v1, s4, v5
	v_lshlrev_b64 v[12:13], 3, v[1:2]
	v_mov_b32_e32 v1, s9
	v_add_co_u32_e32 v12, vcc, s8, v12
	v_addc_co_u32_e32 v13, vcc, v1, v13, vcc
	global_load_dwordx2 v[14:15], v[10:11], off
	global_load_dwordx2 v[18:19], v[12:13], off
	v_add_u32_e32 v1, s5, v6
	v_lshlrev_b64 v[10:11], 3, v[1:2]
	v_add_u32_e32 v1, s5, v5
	v_mov_b32_e32 v16, s9
	v_lshlrev_b64 v[5:6], 3, v[1:2]
	v_add_co_u32_e32 v10, vcc, s8, v10
	v_addc_co_u32_e32 v11, vcc, v16, v11, vcc
	v_mov_b32_e32 v20, s9
	v_add_co_u32_e32 v5, vcc, s8, v5
	v_addc_co_u32_e32 v6, vcc, v20, v6, vcc
	s_waitcnt vmcnt(0)
	v_fma_f32 v18, -v3, v14, v18
	v_fma_f32 v1, -v4, v14, v19
	v_fmac_f32_e32 v18, v4, v15
	v_fma_f32 v19, -v3, v15, v1
	global_store_dwordx2 v[12:13], v[18:19], off
	global_load_dwordx2 v[12:13], v[10:11], off
	s_nop 0
	global_load_dwordx2 v[14:15], v[5:6], off
	s_waitcnt vmcnt(0)
	v_fma_f32 v10, -v3, v12, v14
	v_fma_f32 v1, -v4, v12, v15
	v_fmac_f32_e32 v10, v4, v13
	v_fma_f32 v11, -v3, v13, v1
	v_mov_b32_e32 v1, s22
	global_store_dwordx2 v[5:6], v[10:11], off
	s_branch .LBB251_24
.LBB251_29:
	s_endpgm
	.section	.rodata,"a",@progbits
	.p2align	6, 0x0
	.amdhsa_kernel _ZN9rocsparseL19gtsv_LBM_rhs_kernelILj256ELj128ELj2E21rocsparse_complex_numIfEEEviiiPKT2_S5_S5_PS3_S5_PKi
		.amdhsa_group_segment_fixed_size 0
		.amdhsa_private_segment_fixed_size 0
		.amdhsa_kernarg_size 64
		.amdhsa_user_sgpr_count 6
		.amdhsa_user_sgpr_private_segment_buffer 1
		.amdhsa_user_sgpr_dispatch_ptr 0
		.amdhsa_user_sgpr_queue_ptr 0
		.amdhsa_user_sgpr_kernarg_segment_ptr 1
		.amdhsa_user_sgpr_dispatch_id 0
		.amdhsa_user_sgpr_flat_scratch_init 0
		.amdhsa_user_sgpr_private_segment_size 0
		.amdhsa_uses_dynamic_stack 0
		.amdhsa_system_sgpr_private_segment_wavefront_offset 0
		.amdhsa_system_sgpr_workgroup_id_x 1
		.amdhsa_system_sgpr_workgroup_id_y 1
		.amdhsa_system_sgpr_workgroup_id_z 0
		.amdhsa_system_sgpr_workgroup_info 0
		.amdhsa_system_vgpr_workitem_id 0
		.amdhsa_next_free_vgpr 39
		.amdhsa_next_free_sgpr 30
		.amdhsa_reserve_vcc 1
		.amdhsa_reserve_flat_scratch 0
		.amdhsa_float_round_mode_32 0
		.amdhsa_float_round_mode_16_64 0
		.amdhsa_float_denorm_mode_32 3
		.amdhsa_float_denorm_mode_16_64 3
		.amdhsa_dx10_clamp 1
		.amdhsa_ieee_mode 1
		.amdhsa_fp16_overflow 0
		.amdhsa_exception_fp_ieee_invalid_op 0
		.amdhsa_exception_fp_denorm_src 0
		.amdhsa_exception_fp_ieee_div_zero 0
		.amdhsa_exception_fp_ieee_overflow 0
		.amdhsa_exception_fp_ieee_underflow 0
		.amdhsa_exception_fp_ieee_inexact 0
		.amdhsa_exception_int_div_zero 0
	.end_amdhsa_kernel
	.section	.text._ZN9rocsparseL19gtsv_LBM_rhs_kernelILj256ELj128ELj2E21rocsparse_complex_numIfEEEviiiPKT2_S5_S5_PS3_S5_PKi,"axG",@progbits,_ZN9rocsparseL19gtsv_LBM_rhs_kernelILj256ELj128ELj2E21rocsparse_complex_numIfEEEviiiPKT2_S5_S5_PS3_S5_PKi,comdat
.Lfunc_end251:
	.size	_ZN9rocsparseL19gtsv_LBM_rhs_kernelILj256ELj128ELj2E21rocsparse_complex_numIfEEEviiiPKT2_S5_S5_PS3_S5_PKi, .Lfunc_end251-_ZN9rocsparseL19gtsv_LBM_rhs_kernelILj256ELj128ELj2E21rocsparse_complex_numIfEEEviiiPKT2_S5_S5_PS3_S5_PKi
                                        ; -- End function
	.set _ZN9rocsparseL19gtsv_LBM_rhs_kernelILj256ELj128ELj2E21rocsparse_complex_numIfEEEviiiPKT2_S5_S5_PS3_S5_PKi.num_vgpr, 39
	.set _ZN9rocsparseL19gtsv_LBM_rhs_kernelILj256ELj128ELj2E21rocsparse_complex_numIfEEEviiiPKT2_S5_S5_PS3_S5_PKi.num_agpr, 0
	.set _ZN9rocsparseL19gtsv_LBM_rhs_kernelILj256ELj128ELj2E21rocsparse_complex_numIfEEEviiiPKT2_S5_S5_PS3_S5_PKi.numbered_sgpr, 30
	.set _ZN9rocsparseL19gtsv_LBM_rhs_kernelILj256ELj128ELj2E21rocsparse_complex_numIfEEEviiiPKT2_S5_S5_PS3_S5_PKi.num_named_barrier, 0
	.set _ZN9rocsparseL19gtsv_LBM_rhs_kernelILj256ELj128ELj2E21rocsparse_complex_numIfEEEviiiPKT2_S5_S5_PS3_S5_PKi.private_seg_size, 0
	.set _ZN9rocsparseL19gtsv_LBM_rhs_kernelILj256ELj128ELj2E21rocsparse_complex_numIfEEEviiiPKT2_S5_S5_PS3_S5_PKi.uses_vcc, 1
	.set _ZN9rocsparseL19gtsv_LBM_rhs_kernelILj256ELj128ELj2E21rocsparse_complex_numIfEEEviiiPKT2_S5_S5_PS3_S5_PKi.uses_flat_scratch, 0
	.set _ZN9rocsparseL19gtsv_LBM_rhs_kernelILj256ELj128ELj2E21rocsparse_complex_numIfEEEviiiPKT2_S5_S5_PS3_S5_PKi.has_dyn_sized_stack, 0
	.set _ZN9rocsparseL19gtsv_LBM_rhs_kernelILj256ELj128ELj2E21rocsparse_complex_numIfEEEviiiPKT2_S5_S5_PS3_S5_PKi.has_recursion, 0
	.set _ZN9rocsparseL19gtsv_LBM_rhs_kernelILj256ELj128ELj2E21rocsparse_complex_numIfEEEviiiPKT2_S5_S5_PS3_S5_PKi.has_indirect_call, 0
	.section	.AMDGPU.csdata,"",@progbits
; Kernel info:
; codeLenInByte = 2880
; TotalNumSgprs: 34
; NumVgprs: 39
; ScratchSize: 0
; MemoryBound: 0
; FloatMode: 240
; IeeeMode: 1
; LDSByteSize: 0 bytes/workgroup (compile time only)
; SGPRBlocks: 4
; VGPRBlocks: 9
; NumSGPRsForWavesPerEU: 34
; NumVGPRsForWavesPerEU: 39
; Occupancy: 6
; WaveLimiterHint : 0
; COMPUTE_PGM_RSRC2:SCRATCH_EN: 0
; COMPUTE_PGM_RSRC2:USER_SGPR: 6
; COMPUTE_PGM_RSRC2:TRAP_HANDLER: 0
; COMPUTE_PGM_RSRC2:TGID_X_EN: 1
; COMPUTE_PGM_RSRC2:TGID_Y_EN: 1
; COMPUTE_PGM_RSRC2:TGID_Z_EN: 0
; COMPUTE_PGM_RSRC2:TIDIG_COMP_CNT: 0
	.section	.text._ZN9rocsparseL19gtsv_LBM_rhs_kernelILj256ELj128ELj1E21rocsparse_complex_numIfEEEviiiPKT2_S5_S5_PS3_S5_PKi,"axG",@progbits,_ZN9rocsparseL19gtsv_LBM_rhs_kernelILj256ELj128ELj1E21rocsparse_complex_numIfEEEviiiPKT2_S5_S5_PS3_S5_PKi,comdat
	.globl	_ZN9rocsparseL19gtsv_LBM_rhs_kernelILj256ELj128ELj1E21rocsparse_complex_numIfEEEviiiPKT2_S5_S5_PS3_S5_PKi ; -- Begin function _ZN9rocsparseL19gtsv_LBM_rhs_kernelILj256ELj128ELj1E21rocsparse_complex_numIfEEEviiiPKT2_S5_S5_PS3_S5_PKi
	.p2align	8
	.type	_ZN9rocsparseL19gtsv_LBM_rhs_kernelILj256ELj128ELj1E21rocsparse_complex_numIfEEEviiiPKT2_S5_S5_PS3_S5_PKi,@function
_ZN9rocsparseL19gtsv_LBM_rhs_kernelILj256ELj128ELj1E21rocsparse_complex_numIfEEEviiiPKT2_S5_S5_PS3_S5_PKi: ; @_ZN9rocsparseL19gtsv_LBM_rhs_kernelILj256ELj128ELj1E21rocsparse_complex_numIfEEEviiiPKT2_S5_S5_PS3_S5_PKi
; %bb.0:
	s_load_dword s24, s[4:5], 0x0
	v_lshl_or_b32 v0, s6, 8, v0
	s_waitcnt lgkmcnt(0)
	s_lshr_b32 s22, s24, 7
	v_cmp_gt_i32_e32 vcc, s22, v0
	s_and_saveexec_b64 s[0:1], vcc
	s_cbranch_execz .LBB252_29
; %bb.1:
	s_load_dwordx4 s[8:11], s[4:5], 0x28
	s_load_dwordx2 s[16:17], s[4:5], 0x38
	s_cmp_lt_i32 s24, 1
	s_mul_i32 s23, s24, s7
	s_cbranch_scc1 .LBB252_21
; %bb.2:
	s_load_dwordx4 s[12:15], s[4:5], 0x10
	s_load_dwordx2 s[6:7], s[4:5], 0x20
	v_ashrrev_i32_e32 v1, 31, v0
	v_lshlrev_b64 v[1:2], 3, v[0:1]
	v_add_u32_e32 v18, s22, v0
	s_waitcnt lgkmcnt(0)
	v_mov_b32_e32 v3, s15
	v_add_co_u32_e32 v1, vcc, s14, v1
	v_addc_co_u32_e32 v2, vcc, v3, v2, vcc
	global_load_dwordx2 v[5:6], v[1:2], off
	s_mul_i32 s25, s22, 0x7f
	s_mul_i32 s26, s22, 0x7e
	s_lshl_b32 s27, s22, 1
	v_add_u32_e32 v19, s22, v18
	v_add_u32_e32 v20, s23, v18
	v_mov_b32_e32 v2, 0
	s_mov_b64 s[18:19], 0
	v_mov_b32_e32 v21, s7
	v_mov_b32_e32 v17, 0
	s_branch .LBB252_5
.LBB252_3:                              ;   in Loop: Header=BB252_5 Depth=1
	s_or_b64 exec, exec, s[4:5]
	v_fmac_f32_e32 v22, v3, v9
	v_fmac_f32_e32 v16, v4, v9
	v_mul_f32_e64 v1, v8, -v16
	v_mul_f32_e32 v3, v8, v22
	v_fmac_f32_e32 v1, v22, v7
	v_fmac_f32_e32 v3, v16, v7
	v_sub_f32_e32 v5, v11, v1
	v_sub_f32_e32 v6, v12, v3
	v_mov_b32_e32 v7, s22
.LBB252_4:                              ;   in Loop: Header=BB252_5 Depth=1
	s_or_b64 exec, exec, s[2:3]
	v_add_u32_e32 v17, v7, v17
	v_cmp_le_i32_e32 vcc, s24, v17
	s_or_b64 s[18:19], vcc, s[18:19]
	s_andn2_b64 exec, exec, s[18:19]
	s_cbranch_execz .LBB252_20
.LBB252_5:                              ; =>This Inner Loop Header: Depth=1
	v_add_u32_e32 v15, v17, v0
	v_ashrrev_i32_e32 v16, 31, v15
	v_lshlrev_b64 v[3:4], 3, v[15:16]
	v_cmp_gt_u32_e64 s[0:1], s25, v17
	v_add_co_u32_e32 v3, vcc, s6, v3
	v_addc_co_u32_e32 v4, vcc, v21, v4, vcc
	global_load_dwordx2 v[9:10], v[3:4], off
	v_add_u32_e32 v13, v18, v17
	v_mov_b32_e32 v3, 0
	v_mov_b32_e32 v4, 0
	s_and_saveexec_b64 s[2:3], s[0:1]
	s_cbranch_execz .LBB252_7
; %bb.6:                                ;   in Loop: Header=BB252_5 Depth=1
	v_ashrrev_i32_e32 v14, 31, v13
	v_lshlrev_b64 v[3:4], 3, v[13:14]
	v_mov_b32_e32 v1, s13
	v_add_co_u32_e32 v3, vcc, s12, v3
	v_addc_co_u32_e32 v4, vcc, v1, v4, vcc
	global_load_dwordx2 v[3:4], v[3:4], off
.LBB252_7:                              ;   in Loop: Header=BB252_5 Depth=1
	s_or_b64 exec, exec, s[2:3]
	v_mov_b32_e32 v7, 0
	v_mov_b32_e32 v11, 0
	;; [unrolled: 1-line block ×3, first 2 shown]
	s_and_saveexec_b64 s[2:3], s[0:1]
	s_cbranch_execz .LBB252_9
; %bb.8:                                ;   in Loop: Header=BB252_5 Depth=1
	v_ashrrev_i32_e32 v14, 31, v13
	v_lshlrev_b64 v[11:12], 3, v[13:14]
	v_mov_b32_e32 v1, s15
	v_add_co_u32_e32 v11, vcc, s14, v11
	v_addc_co_u32_e32 v12, vcc, v1, v12, vcc
	global_load_dwordx2 v[11:12], v[11:12], off
.LBB252_9:                              ;   in Loop: Header=BB252_5 Depth=1
	s_or_b64 exec, exec, s[2:3]
	v_mov_b32_e32 v8, 0
	s_and_saveexec_b64 s[2:3], s[0:1]
	s_cbranch_execz .LBB252_11
; %bb.10:                               ;   in Loop: Header=BB252_5 Depth=1
	v_ashrrev_i32_e32 v14, 31, v13
	v_lshlrev_b64 v[7:8], 3, v[13:14]
	v_mov_b32_e32 v1, s7
	v_add_co_u32_e32 v7, vcc, s6, v7
	v_addc_co_u32_e32 v8, vcc, v1, v8, vcc
	global_load_dwordx2 v[7:8], v[7:8], off
.LBB252_11:                             ;   in Loop: Header=BB252_5 Depth=1
	s_or_b64 exec, exec, s[2:3]
	v_cmp_gt_u32_e64 s[2:3], s26, v17
	v_mov_b32_e32 v13, 0
	v_mov_b32_e32 v14, 0
	s_and_saveexec_b64 s[4:5], s[2:3]
	s_cbranch_execz .LBB252_13
; %bb.12:                               ;   in Loop: Header=BB252_5 Depth=1
	v_add_u32_e32 v13, v19, v17
	v_ashrrev_i32_e32 v14, 31, v13
	v_lshlrev_b64 v[13:14], 3, v[13:14]
	v_mov_b32_e32 v1, s13
	v_add_co_u32_e32 v13, vcc, s12, v13
	v_addc_co_u32_e32 v14, vcc, v1, v14, vcc
	global_load_dwordx2 v[13:14], v[13:14], off
.LBB252_13:                             ;   in Loop: Header=BB252_5 Depth=1
	s_or_b64 exec, exec, s[4:5]
	v_lshlrev_b64 v[22:23], 2, v[15:16]
	v_mov_b32_e32 v1, s17
	v_add_co_u32_e32 v22, vcc, s16, v22
	v_addc_co_u32_e32 v23, vcc, v1, v23, vcc
	global_load_dword v1, v[22:23], off
	v_cmp_ne_u32_e32 vcc, s25, v17
	s_waitcnt vmcnt(1)
	v_mul_f32_e64 v22, v10, -v4
	v_mul_f32_e32 v16, v3, v10
	s_waitcnt vmcnt(0)
	v_cmp_ne_u32_e64 s[4:5], 1, v1
	s_and_b64 s[4:5], vcc, s[4:5]
	v_add_u32_e32 v1, s23, v15
	s_and_saveexec_b64 s[20:21], s[4:5]
	s_xor_b64 s[4:5], exec, s[20:21]
	s_cbranch_execz .LBB252_17
; %bb.14:                               ;   in Loop: Header=BB252_5 Depth=1
	v_lshlrev_b64 v[23:24], 3, v[1:2]
	v_mov_b32_e32 v1, s9
	v_add_co_u32_e32 v26, vcc, s8, v23
	v_addc_co_u32_e32 v27, vcc, v1, v24, vcc
	v_add_u32_e32 v1, v20, v17
	v_lshlrev_b64 v[23:24], 3, v[1:2]
	v_mov_b32_e32 v15, s9
	v_add_co_u32_e32 v28, vcc, s8, v23
	v_addc_co_u32_e32 v29, vcc, v15, v24, vcc
	v_mul_f32_e32 v15, v5, v12
	v_mul_f32_e64 v1, v12, -v6
	v_fmac_f32_e32 v15, v6, v11
	v_fmac_f32_e32 v16, v4, v9
	;; [unrolled: 1-line block ×4, first 2 shown]
	v_sub_f32_e32 v15, v15, v16
	v_sub_f32_e32 v1, v1, v22
	v_mul_f32_e32 v16, v15, v15
	v_fmac_f32_e32 v16, v1, v1
	v_div_scale_f32 v22, s[20:21], v16, v16, 1.0
	v_rcp_f32_e32 v23, v22
	v_fma_f32 v24, -v22, v23, 1.0
	v_fmac_f32_e32 v23, v24, v23
	v_div_scale_f32 v24, vcc, 1.0, v16, 1.0
	v_mul_f32_e32 v25, v24, v23
	v_fma_f32 v30, -v22, v25, v24
	v_fmac_f32_e32 v25, v30, v23
	v_fma_f32 v22, -v22, v25, v24
	v_div_fmas_f32 v22, v22, v23, v25
	v_fma_f32 v23, 0, v15, v1
	v_fma_f32 v1, v1, 0, -v15
	global_load_dwordx2 v[30:31], v[28:29], off
	v_div_fixup_f32 v16, v22, v16, 1.0
	v_mul_f32_e32 v15, v23, v16
	global_load_dwordx2 v[23:24], v[26:27], off
	v_mul_f32_e32 v16, v1, v16
	s_waitcnt vmcnt(1)
	v_mul_f32_e32 v25, v16, v30
	v_fmac_f32_e32 v25, v31, v15
	s_waitcnt vmcnt(0)
	v_mul_f32_e64 v22, v16, -v24
	v_fmac_f32_e32 v22, v23, v15
	v_mul_f32_e32 v23, v16, v23
	v_fmac_f32_e32 v23, v24, v15
	v_mul_f32_e64 v1, v23, -v12
	v_mul_f32_e64 v24, v16, -v31
	v_fmac_f32_e32 v1, v11, v22
	v_mul_f32_e32 v11, v11, v23
	v_fmac_f32_e32 v24, v30, v15
	v_fmac_f32_e32 v11, v12, v22
	v_mul_f32_e64 v12, v25, -v10
	v_mul_f32_e32 v30, v25, v9
	v_fmac_f32_e32 v12, v9, v24
	v_fmac_f32_e32 v30, v10, v24
	v_sub_f32_e32 v9, v1, v12
	v_sub_f32_e32 v10, v11, v30
	global_store_dwordx2 v[26:27], v[9:10], off
	v_mul_f32_e64 v9, v23, -v3
	v_mul_f32_e32 v1, v4, v23
	v_fma_f32 v10, -v4, v22, v9
	v_mul_f32_e64 v9, v25, -v6
	v_mul_f32_e32 v11, v5, v25
	v_fma_f32 v1, -v3, v22, v1
	v_fmac_f32_e32 v9, v5, v24
	v_fmac_f32_e32 v11, v6, v24
	v_add_f32_e32 v9, v1, v9
	v_add_f32_e32 v10, v10, v11
	global_store_dwordx2 v[28:29], v[9:10], off
	v_mov_b32_e32 v1, 0
	v_mov_b32_e32 v9, 0
	s_and_saveexec_b64 s[20:21], s[2:3]
	s_cbranch_execz .LBB252_16
; %bb.15:                               ;   in Loop: Header=BB252_5 Depth=1
	v_add_u32_e32 v9, v19, v17
	v_add_u32_e32 v1, s23, v9
	v_lshlrev_b64 v[10:11], 3, v[1:2]
	v_mov_b32_e32 v1, s9
	v_add_co_u32_e32 v26, vcc, s8, v10
	v_ashrrev_i32_e32 v10, 31, v9
	v_lshlrev_b64 v[9:10], 3, v[9:10]
	v_addc_co_u32_e32 v27, vcc, v1, v11, vcc
	v_mov_b32_e32 v1, s15
	v_add_co_u32_e32 v9, vcc, s14, v9
	v_addc_co_u32_e32 v10, vcc, v1, v10, vcc
	global_load_dwordx2 v[11:12], v[26:27], off
	v_mul_f32_e32 v1, v4, v14
	global_load_dwordx2 v[9:10], v[9:10], off
	v_mul_f32_e64 v28, v14, -v3
	v_fma_f32 v1, -v3, v13, v1
	v_fma_f32 v3, -v4, v13, v28
	v_mul_f32_e64 v4, v6, -v14
	v_mul_f32_e32 v28, v6, v13
	v_mul_f32_e64 v29, v14, -v6
	v_mul_f32_e32 v30, v5, v14
	v_fmac_f32_e32 v4, v13, v5
	v_fmac_f32_e32 v28, v14, v5
	;; [unrolled: 1-line block ×4, first 2 shown]
	v_mul_f32_e32 v5, v3, v23
	v_mul_f32_e64 v6, v23, -v1
	v_mul_f32_e64 v23, v8, -v28
	v_mul_f32_e32 v8, v8, v4
	v_mul_f32_e64 v13, v25, -v30
	v_mul_f32_e32 v14, v29, v25
	v_fmac_f32_e32 v23, v4, v7
	v_fmac_f32_e32 v8, v28, v7
	v_fma_f32 v1, -v1, v22, v5
	v_fma_f32 v3, -v3, v22, v6
	v_fmac_f32_e32 v13, v29, v24
	v_fmac_f32_e32 v14, v30, v24
	v_mul_f32_e64 v5, v16, -v8
	v_mul_f32_e32 v6, v16, v23
	v_sub_f32_e32 v1, v1, v13
	v_sub_f32_e32 v4, v3, v14
	v_fmac_f32_e32 v5, v23, v15
	v_fmac_f32_e32 v6, v8, v15
	s_waitcnt vmcnt(1)
	v_add_f32_e32 v3, v1, v11
	v_add_f32_e32 v4, v4, v12
	s_waitcnt vmcnt(0)
	v_sub_f32_e32 v9, v9, v5
	v_sub_f32_e32 v1, v10, v6
	global_store_dwordx2 v[26:27], v[3:4], off
.LBB252_16:                             ;   in Loop: Header=BB252_5 Depth=1
	s_or_b64 exec, exec, s[20:21]
	v_mov_b32_e32 v6, v1
	v_mov_b32_e32 v5, v9
                                        ; implicit-def: $vgpr9_vgpr10
                                        ; implicit-def: $vgpr3
                                        ; implicit-def: $vgpr11
                                        ; implicit-def: $vgpr22
                                        ; implicit-def: $vgpr16
.LBB252_17:                             ;   in Loop: Header=BB252_5 Depth=1
	s_or_saveexec_b64 s[2:3], s[4:5]
	v_mov_b32_e32 v7, s27
	s_xor_b64 exec, exec, s[2:3]
	s_cbranch_execz .LBB252_4
; %bb.18:                               ;   in Loop: Header=BB252_5 Depth=1
	v_mul_f32_e32 v7, v6, v6
	v_fmac_f32_e32 v7, v5, v5
	v_div_scale_f32 v8, s[4:5], v7, v7, 1.0
	v_rcp_f32_e32 v10, v8
	v_fma_f32 v13, -v8, v10, 1.0
	v_fmac_f32_e32 v10, v13, v10
	v_div_scale_f32 v13, vcc, 1.0, v7, 1.0
	v_mul_f32_e32 v14, v13, v10
	v_fma_f32 v15, -v8, v14, v13
	v_fmac_f32_e32 v14, v15, v10
	v_fma_f32 v8, -v8, v14, v13
	v_div_fmas_f32 v8, v8, v10, v14
	v_div_fixup_f32 v8, v8, v7, 1.0
	v_fma_f32 v7, 0, v6, v5
	v_fma_f32 v5, v5, 0, -v6
	v_mul_f32_e32 v7, v7, v8
	v_mul_f32_e32 v8, v5, v8
	v_lshlrev_b64 v[5:6], 3, v[1:2]
	v_mov_b32_e32 v1, s9
	v_add_co_u32_e32 v13, vcc, s8, v5
	v_addc_co_u32_e32 v14, vcc, v1, v6, vcc
	global_load_dwordx2 v[23:24], v[13:14], off
	s_waitcnt vmcnt(0)
	v_mul_f32_e64 v5, v8, -v24
	v_mul_f32_e32 v6, v8, v23
	v_fmac_f32_e32 v5, v23, v7
	v_fmac_f32_e32 v6, v24, v7
	global_store_dwordx2 v[13:14], v[5:6], off
	s_and_saveexec_b64 s[4:5], s[0:1]
	s_cbranch_execz .LBB252_3
; %bb.19:                               ;   in Loop: Header=BB252_5 Depth=1
	v_add_u32_e32 v1, v20, v17
	v_lshlrev_b64 v[13:14], 3, v[1:2]
	v_mov_b32_e32 v1, s9
	v_add_co_u32_e32 v13, vcc, s8, v13
	v_addc_co_u32_e32 v14, vcc, v1, v14, vcc
	global_load_dwordx2 v[23:24], v[13:14], off
	s_waitcnt vmcnt(0)
	v_fma_f32 v23, -v3, v5, v23
	v_fma_f32 v1, -v4, v5, v24
	v_fmac_f32_e32 v23, v4, v6
	v_fma_f32 v24, -v3, v6, v1
	global_store_dwordx2 v[13:14], v[23:24], off
	s_branch .LBB252_3
.LBB252_20:
	s_or_b64 exec, exec, s[18:19]
	s_branch .LBB252_22
.LBB252_21:
	v_mov_b32_e32 v17, 0
.LBB252_22:
	v_subrev_u32_e32 v3, s22, v17
	v_add_u32_e32 v1, v3, v0
	v_ashrrev_i32_e32 v2, 31, v1
	v_lshlrev_b64 v[1:2], 2, v[1:2]
	s_waitcnt lgkmcnt(0)
	v_mov_b32_e32 v4, s17
	v_add_co_u32_e32 v1, vcc, s16, v1
	v_addc_co_u32_e32 v2, vcc, v4, v2, vcc
	s_waitcnt vmcnt(0)
	buffer_wbinvl1_vol
	global_load_dword v1, v[1:2], off
	s_waitcnt vmcnt(0)
	v_mul_lo_u32 v1, v1, s22
	v_sub_u32_e32 v7, v3, v1
	v_cmp_lt_i32_e32 vcc, -1, v7
	s_and_b64 exec, exec, vcc
	s_cbranch_execz .LBB252_29
; %bb.23:
	s_add_i32 s0, s23, s22
	v_add_u32_e32 v8, s0, v0
	s_lshl_b32 s4, s22, 1
	s_mov_b64 s[0:1], 0
	v_mov_b32_e32 v9, s17
	v_mov_b32_e32 v10, s11
	;; [unrolled: 1-line block ×3, first 2 shown]
	s_branch .LBB252_25
.LBB252_24:                             ;   in Loop: Header=BB252_25 Depth=1
	s_or_b64 exec, exec, s[2:3]
	v_sub_u32_e32 v7, v7, v1
	v_cmp_gt_i32_e32 vcc, 0, v7
	s_or_b64 s[0:1], vcc, s[0:1]
	s_andn2_b64 exec, exec, s[0:1]
	s_cbranch_execz .LBB252_29
.LBB252_25:                             ; =>This Inner Loop Header: Depth=1
	v_add_u32_e32 v5, v7, v0
	v_ashrrev_i32_e32 v6, 31, v5
	s_waitcnt vmcnt(0)
	v_lshlrev_b64 v[3:4], 2, v[5:6]
	v_add_co_u32_e32 v3, vcc, s16, v3
	v_addc_co_u32_e32 v4, vcc, v9, v4, vcc
	global_load_dword v1, v[3:4], off
	v_lshlrev_b64 v[3:4], 3, v[5:6]
	v_add_co_u32_e32 v3, vcc, s10, v3
	v_addc_co_u32_e32 v4, vcc, v10, v4, vcc
	global_load_dwordx2 v[3:4], v[3:4], off
	s_waitcnt vmcnt(1)
	v_cmp_ne_u32_e32 vcc, 1, v1
	s_and_saveexec_b64 s[2:3], vcc
	s_xor_b64 s[2:3], exec, s[2:3]
	s_cbranch_execz .LBB252_27
; %bb.26:                               ;   in Loop: Header=BB252_25 Depth=1
	v_add_u32_e32 v1, v8, v7
	v_lshlrev_b64 v[11:12], 3, v[1:2]
	v_mov_b32_e32 v1, s9
	v_add_co_u32_e32 v11, vcc, s8, v11
	v_addc_co_u32_e32 v12, vcc, v1, v12, vcc
	v_add_u32_e32 v1, s23, v5
	v_lshlrev_b64 v[5:6], 3, v[1:2]
	v_mov_b32_e32 v1, s9
	v_add_co_u32_e32 v5, vcc, s8, v5
	v_addc_co_u32_e32 v6, vcc, v1, v6, vcc
	global_load_dwordx2 v[13:14], v[11:12], off
	global_load_dwordx2 v[15:16], v[5:6], off
	v_subrev_u32_e32 v1, s22, v7
	v_add_u32_e32 v11, v1, v0
	v_ashrrev_i32_e32 v12, 31, v11
	v_add_u32_e32 v1, s23, v11
	v_lshlrev_b64 v[11:12], 3, v[11:12]
	v_mov_b32_e32 v19, s11
	v_lshlrev_b64 v[17:18], 3, v[1:2]
	v_add_co_u32_e32 v11, vcc, s10, v11
	v_addc_co_u32_e32 v12, vcc, v19, v12, vcc
	v_mov_b32_e32 v20, s9
	v_add_co_u32_e32 v17, vcc, s8, v17
	v_addc_co_u32_e32 v18, vcc, v20, v18, vcc
	global_load_dwordx2 v[11:12], v[11:12], off
	s_waitcnt vmcnt(1)
	v_fma_f32 v15, -v3, v13, v15
	v_fma_f32 v1, -v4, v13, v16
	v_fmac_f32_e32 v15, v4, v14
	v_fma_f32 v16, -v3, v14, v1
	global_store_dwordx2 v[5:6], v[15:16], off
	global_load_dwordx2 v[3:4], v[17:18], off
                                        ; implicit-def: $vgpr5
	s_waitcnt vmcnt(0)
	v_fma_f32 v3, -v11, v13, v3
	v_fma_f32 v1, -v12, v13, v4
	v_fmac_f32_e32 v3, v12, v14
	v_fma_f32 v4, -v11, v14, v1
	global_store_dwordx2 v[17:18], v[3:4], off
                                        ; implicit-def: $vgpr3_vgpr4
.LBB252_27:                             ;   in Loop: Header=BB252_25 Depth=1
	s_or_saveexec_b64 s[2:3], s[2:3]
	v_mov_b32_e32 v1, s4
	s_xor_b64 exec, exec, s[2:3]
	s_cbranch_execz .LBB252_24
; %bb.28:                               ;   in Loop: Header=BB252_25 Depth=1
	v_add_u32_e32 v1, v8, v7
	v_lshlrev_b64 v[11:12], 3, v[1:2]
	v_mov_b32_e32 v1, s9
	v_add_co_u32_e32 v11, vcc, s8, v11
	v_addc_co_u32_e32 v12, vcc, v1, v12, vcc
	v_add_u32_e32 v1, s23, v5
	v_lshlrev_b64 v[5:6], 3, v[1:2]
	v_mov_b32_e32 v1, s9
	v_add_co_u32_e32 v5, vcc, s8, v5
	v_addc_co_u32_e32 v6, vcc, v1, v6, vcc
	global_load_dwordx2 v[13:14], v[11:12], off
	global_load_dwordx2 v[15:16], v[5:6], off
	s_waitcnt vmcnt(0)
	v_fma_f32 v11, -v3, v13, v15
	v_fma_f32 v1, -v4, v13, v16
	v_fmac_f32_e32 v11, v4, v14
	v_fma_f32 v12, -v3, v14, v1
	v_mov_b32_e32 v1, s22
	global_store_dwordx2 v[5:6], v[11:12], off
	s_branch .LBB252_24
.LBB252_29:
	s_endpgm
	.section	.rodata,"a",@progbits
	.p2align	6, 0x0
	.amdhsa_kernel _ZN9rocsparseL19gtsv_LBM_rhs_kernelILj256ELj128ELj1E21rocsparse_complex_numIfEEEviiiPKT2_S5_S5_PS3_S5_PKi
		.amdhsa_group_segment_fixed_size 0
		.amdhsa_private_segment_fixed_size 0
		.amdhsa_kernarg_size 64
		.amdhsa_user_sgpr_count 6
		.amdhsa_user_sgpr_private_segment_buffer 1
		.amdhsa_user_sgpr_dispatch_ptr 0
		.amdhsa_user_sgpr_queue_ptr 0
		.amdhsa_user_sgpr_kernarg_segment_ptr 1
		.amdhsa_user_sgpr_dispatch_id 0
		.amdhsa_user_sgpr_flat_scratch_init 0
		.amdhsa_user_sgpr_private_segment_size 0
		.amdhsa_uses_dynamic_stack 0
		.amdhsa_system_sgpr_private_segment_wavefront_offset 0
		.amdhsa_system_sgpr_workgroup_id_x 1
		.amdhsa_system_sgpr_workgroup_id_y 1
		.amdhsa_system_sgpr_workgroup_id_z 0
		.amdhsa_system_sgpr_workgroup_info 0
		.amdhsa_system_vgpr_workitem_id 0
		.amdhsa_next_free_vgpr 32
		.amdhsa_next_free_sgpr 28
		.amdhsa_reserve_vcc 1
		.amdhsa_reserve_flat_scratch 0
		.amdhsa_float_round_mode_32 0
		.amdhsa_float_round_mode_16_64 0
		.amdhsa_float_denorm_mode_32 3
		.amdhsa_float_denorm_mode_16_64 3
		.amdhsa_dx10_clamp 1
		.amdhsa_ieee_mode 1
		.amdhsa_fp16_overflow 0
		.amdhsa_exception_fp_ieee_invalid_op 0
		.amdhsa_exception_fp_denorm_src 0
		.amdhsa_exception_fp_ieee_div_zero 0
		.amdhsa_exception_fp_ieee_overflow 0
		.amdhsa_exception_fp_ieee_underflow 0
		.amdhsa_exception_fp_ieee_inexact 0
		.amdhsa_exception_int_div_zero 0
	.end_amdhsa_kernel
	.section	.text._ZN9rocsparseL19gtsv_LBM_rhs_kernelILj256ELj128ELj1E21rocsparse_complex_numIfEEEviiiPKT2_S5_S5_PS3_S5_PKi,"axG",@progbits,_ZN9rocsparseL19gtsv_LBM_rhs_kernelILj256ELj128ELj1E21rocsparse_complex_numIfEEEviiiPKT2_S5_S5_PS3_S5_PKi,comdat
.Lfunc_end252:
	.size	_ZN9rocsparseL19gtsv_LBM_rhs_kernelILj256ELj128ELj1E21rocsparse_complex_numIfEEEviiiPKT2_S5_S5_PS3_S5_PKi, .Lfunc_end252-_ZN9rocsparseL19gtsv_LBM_rhs_kernelILj256ELj128ELj1E21rocsparse_complex_numIfEEEviiiPKT2_S5_S5_PS3_S5_PKi
                                        ; -- End function
	.set _ZN9rocsparseL19gtsv_LBM_rhs_kernelILj256ELj128ELj1E21rocsparse_complex_numIfEEEviiiPKT2_S5_S5_PS3_S5_PKi.num_vgpr, 32
	.set _ZN9rocsparseL19gtsv_LBM_rhs_kernelILj256ELj128ELj1E21rocsparse_complex_numIfEEEviiiPKT2_S5_S5_PS3_S5_PKi.num_agpr, 0
	.set _ZN9rocsparseL19gtsv_LBM_rhs_kernelILj256ELj128ELj1E21rocsparse_complex_numIfEEEviiiPKT2_S5_S5_PS3_S5_PKi.numbered_sgpr, 28
	.set _ZN9rocsparseL19gtsv_LBM_rhs_kernelILj256ELj128ELj1E21rocsparse_complex_numIfEEEviiiPKT2_S5_S5_PS3_S5_PKi.num_named_barrier, 0
	.set _ZN9rocsparseL19gtsv_LBM_rhs_kernelILj256ELj128ELj1E21rocsparse_complex_numIfEEEviiiPKT2_S5_S5_PS3_S5_PKi.private_seg_size, 0
	.set _ZN9rocsparseL19gtsv_LBM_rhs_kernelILj256ELj128ELj1E21rocsparse_complex_numIfEEEviiiPKT2_S5_S5_PS3_S5_PKi.uses_vcc, 1
	.set _ZN9rocsparseL19gtsv_LBM_rhs_kernelILj256ELj128ELj1E21rocsparse_complex_numIfEEEviiiPKT2_S5_S5_PS3_S5_PKi.uses_flat_scratch, 0
	.set _ZN9rocsparseL19gtsv_LBM_rhs_kernelILj256ELj128ELj1E21rocsparse_complex_numIfEEEviiiPKT2_S5_S5_PS3_S5_PKi.has_dyn_sized_stack, 0
	.set _ZN9rocsparseL19gtsv_LBM_rhs_kernelILj256ELj128ELj1E21rocsparse_complex_numIfEEEviiiPKT2_S5_S5_PS3_S5_PKi.has_recursion, 0
	.set _ZN9rocsparseL19gtsv_LBM_rhs_kernelILj256ELj128ELj1E21rocsparse_complex_numIfEEEviiiPKT2_S5_S5_PS3_S5_PKi.has_indirect_call, 0
	.section	.AMDGPU.csdata,"",@progbits
; Kernel info:
; codeLenInByte = 2084
; TotalNumSgprs: 32
; NumVgprs: 32
; ScratchSize: 0
; MemoryBound: 0
; FloatMode: 240
; IeeeMode: 1
; LDSByteSize: 0 bytes/workgroup (compile time only)
; SGPRBlocks: 3
; VGPRBlocks: 7
; NumSGPRsForWavesPerEU: 32
; NumVGPRsForWavesPerEU: 32
; Occupancy: 8
; WaveLimiterHint : 0
; COMPUTE_PGM_RSRC2:SCRATCH_EN: 0
; COMPUTE_PGM_RSRC2:USER_SGPR: 6
; COMPUTE_PGM_RSRC2:TRAP_HANDLER: 0
; COMPUTE_PGM_RSRC2:TGID_X_EN: 1
; COMPUTE_PGM_RSRC2:TGID_Y_EN: 1
; COMPUTE_PGM_RSRC2:TGID_Z_EN: 0
; COMPUTE_PGM_RSRC2:TIDIG_COMP_CNT: 0
	.section	.text._ZN9rocsparseL29gtsv_spike_block_level_kernelILj256ELj128E21rocsparse_complex_numIfEEEviiiPT1_PKS3_S6_S4_S4_S4_S4_S4_,"axG",@progbits,_ZN9rocsparseL29gtsv_spike_block_level_kernelILj256ELj128E21rocsparse_complex_numIfEEEviiiPT1_PKS3_S6_S4_S4_S4_S4_S4_,comdat
	.globl	_ZN9rocsparseL29gtsv_spike_block_level_kernelILj256ELj128E21rocsparse_complex_numIfEEEviiiPT1_PKS3_S6_S4_S4_S4_S4_S4_ ; -- Begin function _ZN9rocsparseL29gtsv_spike_block_level_kernelILj256ELj128E21rocsparse_complex_numIfEEEviiiPT1_PKS3_S6_S4_S4_S4_S4_S4_
	.p2align	8
	.type	_ZN9rocsparseL29gtsv_spike_block_level_kernelILj256ELj128E21rocsparse_complex_numIfEEEviiiPT1_PKS3_S6_S4_S4_S4_S4_S4_,@function
_ZN9rocsparseL29gtsv_spike_block_level_kernelILj256ELj128E21rocsparse_complex_numIfEEEviiiPT1_PKS3_S6_S4_S4_S4_S4_S4_: ; @_ZN9rocsparseL29gtsv_spike_block_level_kernelILj256ELj128E21rocsparse_complex_numIfEEEviiiPT1_PKS3_S6_S4_S4_S4_S4_S4_
; %bb.0:
	s_load_dword s12, s[4:5], 0x0
	s_load_dwordx2 s[8:9], s[4:5], 0x18
	v_lshl_or_b32 v1, s6, 8, v0
	v_mov_b32_e32 v3, 0
	v_mov_b32_e32 v4, 0
	s_waitcnt lgkmcnt(0)
	s_lshr_b32 s21, s12, 7
	v_cmp_gt_i32_e64 s[0:1], s21, v1
	v_mov_b32_e32 v5, 0
	s_and_saveexec_b64 s[2:3], s[0:1]
	s_cbranch_execz .LBB253_2
; %bb.1:
	v_ashrrev_i32_e32 v2, 31, v1
	v_lshlrev_b64 v[4:5], 3, v[1:2]
	v_mov_b32_e32 v2, s9
	v_add_co_u32_e32 v4, vcc, s8, v4
	v_addc_co_u32_e32 v5, vcc, v2, v5, vcc
	global_load_dwordx2 v[4:5], v[4:5], off
.LBB253_2:
	s_or_b64 exec, exec, s[2:3]
	s_load_dwordx2 s[2:3], s[4:5], 0x20
	v_lshlrev_b32_e32 v8, 3, v0
	v_or_b32_e32 v9, 0x1000, v8
	s_waitcnt vmcnt(0)
	ds_write_b64 v8, v[4:5] offset:4096
	s_mul_i32 s20, s21, 0x7f
	v_mov_b32_e32 v4, 0
	s_and_saveexec_b64 s[10:11], s[0:1]
	s_cbranch_execz .LBB253_4
; %bb.3:
	s_mul_i32 s13, s21, 0x7f
	v_add_u32_e32 v2, s13, v1
	v_mov_b32_e32 v3, 0
	v_lshlrev_b64 v[2:3], 3, v[2:3]
	v_mov_b32_e32 v4, s9
	v_add_co_u32_e32 v2, vcc, s8, v2
	v_addc_co_u32_e32 v3, vcc, v4, v3, vcc
	global_load_dwordx2 v[3:4], v[2:3], off
.LBB253_4:
	s_or_b64 exec, exec, s[10:11]
	s_waitcnt vmcnt(0)
	ds_write_b64 v9, v[3:4] offset:2048
	v_mov_b32_e32 v3, 0
	v_mov_b32_e32 v4, 0
	;; [unrolled: 1-line block ×3, first 2 shown]
	s_and_saveexec_b64 s[8:9], s[0:1]
	s_cbranch_execz .LBB253_6
; %bb.5:
	v_ashrrev_i32_e32 v2, 31, v1
	v_lshlrev_b64 v[4:5], 3, v[1:2]
	s_waitcnt lgkmcnt(0)
	v_mov_b32_e32 v2, s3
	v_add_co_u32_e32 v4, vcc, s2, v4
	v_addc_co_u32_e32 v5, vcc, v2, v5, vcc
	global_load_dwordx2 v[4:5], v[4:5], off
.LBB253_6:
	s_or_b64 exec, exec, s[8:9]
	s_load_dwordx2 s[16:17], s[4:5], 0x10
	s_waitcnt vmcnt(0)
	ds_write_b64 v8, v[4:5]
	v_mov_b32_e32 v4, 0
	s_and_saveexec_b64 s[8:9], s[0:1]
	s_cbranch_execz .LBB253_8
; %bb.7:
	s_mul_i32 s10, s21, 0x7f
	v_add_u32_e32 v2, s10, v1
	v_mov_b32_e32 v3, 0
	v_lshlrev_b64 v[2:3], 3, v[2:3]
	s_waitcnt lgkmcnt(0)
	v_mov_b32_e32 v4, s3
	v_add_co_u32_e32 v2, vcc, s2, v2
	v_addc_co_u32_e32 v3, vcc, v4, v3, vcc
	global_load_dwordx2 v[3:4], v[2:3], off
.LBB253_8:
	s_or_b64 exec, exec, s[8:9]
	s_mul_i32 s22, s12, s7
	s_waitcnt vmcnt(0)
	ds_write_b64 v8, v[3:4] offset:2048
	v_mov_b32_e32 v5, 0
	v_add_u32_e32 v3, s22, v1
	v_mov_b32_e32 v6, 0
	v_mov_b32_e32 v7, 0
	s_waitcnt lgkmcnt(0)
	s_and_saveexec_b64 s[2:3], s[0:1]
	s_cbranch_execz .LBB253_10
; %bb.9:
	v_ashrrev_i32_e32 v4, 31, v3
	v_lshlrev_b64 v[6:7], 3, v[3:4]
	v_mov_b32_e32 v2, s17
	v_add_co_u32_e32 v6, vcc, s16, v6
	v_addc_co_u32_e32 v7, vcc, v2, v7, vcc
	global_load_dwordx2 v[6:7], v[6:7], off
.LBB253_10:
	s_or_b64 exec, exec, s[2:3]
	s_load_dwordx2 s[2:3], s[4:5], 0x48
	s_load_dwordx8 s[8:15], s[4:5], 0x28
	v_or_b32_e32 v10, 0x2000, v8
	s_waitcnt vmcnt(0)
	ds_write_b64 v8, v[6:7] offset:8192
	v_mov_b32_e32 v6, 0
	s_and_saveexec_b64 s[18:19], s[0:1]
	s_cbranch_execz .LBB253_12
; %bb.11:
	s_mul_i32 s23, s21, 0x7f
	s_add_i32 s23, s23, s22
	v_add_u32_e32 v4, s23, v1
	v_mov_b32_e32 v5, 0
	v_lshlrev_b64 v[4:5], 3, v[4:5]
	v_mov_b32_e32 v2, s17
	v_add_co_u32_e32 v4, vcc, s16, v4
	v_addc_co_u32_e32 v5, vcc, v2, v5, vcc
	global_load_dwordx2 v[5:6], v[4:5], off
.LBB253_12:
	s_or_b64 exec, exec, s[18:19]
	s_mov_b32 s22, 2
	s_waitcnt vmcnt(0)
	ds_write_b64 v10, v[5:6] offset:2048
	s_waitcnt lgkmcnt(0)
	s_barrier
	s_branch .LBB253_14
.LBB253_13:                             ;   in Loop: Header=BB253_14 Depth=1
	s_or_b64 exec, exec, s[18:19]
	s_lshl_b32 s18, s22, 1
	s_cmpk_lt_u32 s22, 0x81
	s_mov_b32 s22, s18
	s_waitcnt lgkmcnt(0)
	s_barrier
	s_cbranch_scc0 .LBB253_16
.LBB253_14:                             ; =>This Inner Loop Header: Depth=1
	s_ff1_i32_b32 s18, s22
	s_lshr_b32 s18, 0x100, s18
	v_cmp_gt_u32_e32 vcc, s18, v0
	s_and_saveexec_b64 s[18:19], vcc
	s_cbranch_execz .LBB253_13
; %bb.15:                               ;   in Loop: Header=BB253_14 Depth=1
	v_mul_lo_u32 v2, s22, v0
	s_lshr_b32 s23, s22, 1
	v_add_u32_e32 v15, s23, v2
	v_lshlrev_b32_e32 v23, 3, v15
	v_add_u32_e32 v24, 0x1000, v23
	ds_read2_b64 v[4:7], v23 offset1:255
	ds_read2_b64 v[11:14], v24 offset1:255
	v_add_u32_e32 v30, 0x2000, v23
	v_add_lshl_u32 v29, v15, s23, 3
	v_lshlrev_b32_e32 v2, 3, v2
	ds_read_b64 v[19:20], v2
	s_waitcnt lgkmcnt(1)
	v_mul_f32_e64 v16, v7, -v12
	v_mul_f32_e32 v21, v7, v11
	v_fmac_f32_e32 v16, v11, v6
	v_fmac_f32_e32 v21, v12, v6
	v_sub_f32_e32 v22, 1.0, v16
	v_mul_f32_e64 v25, -v21, -v21
	v_fmac_f32_e32 v25, v22, v22
	v_div_scale_f32 v26, s[24:25], v25, v25, 1.0
	v_div_scale_f32 v27, vcc, 1.0, v25, 1.0
	ds_read2_b64 v[15:18], v30 offset1:255
	v_sub_f32_e32 v21, 0, v21
	v_rcp_f32_e32 v28, v26
	v_fma_f32 v31, -v26, v28, 1.0
	v_fmac_f32_e32 v28, v31, v28
	v_mul_f32_e32 v31, v27, v28
	v_fma_f32 v32, -v26, v31, v27
	v_fmac_f32_e32 v31, v32, v28
	v_fma_f32 v26, -v26, v31, v27
	v_div_fmas_f32 v26, v26, v28, v31
	s_waitcnt lgkmcnt(0)
	v_mul_f32_e64 v27, v16, -v7
	v_mul_f32_e32 v32, v12, v17
	v_mul_f32_e32 v28, v16, v6
	v_mul_f32_e64 v31, v12, -v18
	v_fmac_f32_e32 v27, v6, v15
	v_fmac_f32_e32 v32, v18, v11
	;; [unrolled: 1-line block ×4, first 2 shown]
	v_sub_f32_e32 v27, v17, v27
	v_sub_f32_e32 v32, v16, v32
	v_fma_f32 v16, v22, 0, -v21
	v_sub_f32_e32 v28, v18, v28
	v_sub_f32_e32 v31, v15, v31
	v_fma_f32 v15, 0, v21, v22
	v_div_fixup_f32 v17, v26, v25, 1.0
	v_mul_f32_e32 v26, v16, v17
	v_mul_f32_e32 v25, v15, v17
	v_mul_f32_e64 v15, v26, -v28
	v_mul_f32_e32 v16, v26, v27
	v_mul_f32_e64 v17, v26, -v32
	v_mul_f32_e32 v18, v26, v31
	v_fmac_f32_e32 v15, v27, v25
	v_fmac_f32_e32 v16, v28, v25
	;; [unrolled: 1-line block ×4, first 2 shown]
	ds_write2_b64 v30, v[17:18], v[15:16] offset1:255
	v_mul_f32_e64 v27, v18, -v20
	v_mul_f32_e32 v28, v18, v19
	v_mul_f32_e32 v18, v5, v6
	v_fmac_f32_e32 v27, v19, v17
	v_fmac_f32_e32 v28, v20, v17
	v_mul_f32_e64 v17, v5, -v7
	v_fmac_f32_e32 v18, v7, v4
	v_fmac_f32_e32 v17, v6, v4
	v_mul_f32_e32 v6, v26, v18
	v_mul_f32_e64 v7, v18, -v25
	v_fma_f32 v6, -v25, v17, v6
	v_fma_f32 v7, -v26, v17, v7
	v_mul_f32_e64 v17, v5, -v26
	v_mul_f32_e32 v18, v25, v5
	v_mul_f32_e32 v5, v12, v13
	v_fmac_f32_e32 v17, v25, v4
	v_fmac_f32_e32 v18, v26, v4
	v_mul_f32_e64 v4, v12, -v14
	v_fmac_f32_e32 v5, v14, v11
	ds_read_b64 v[15:16], v2 offset:8192
	ds_read_b64 v[21:22], v29 offset:6136
	ds_write2_b64 v23, v[17:18], v[6:7] offset1:255
	v_fmac_f32_e32 v4, v13, v11
	v_mul_f32_e32 v6, v26, v5
	v_mul_f32_e64 v5, v5, -v25
	v_fma_f32 v11, -v25, v4, v6
	v_fma_f32 v12, -v26, v4, v5
	v_mul_f32_e64 v4, v14, -v26
	v_mul_f32_e32 v5, v25, v14
	v_fmac_f32_e32 v4, v25, v13
	v_fmac_f32_e32 v5, v26, v13
	ds_write2_b64 v24, v[11:12], v[4:5] offset1:255
	ds_read2st64_b64 v[4:7], v2 offset1:8
	s_waitcnt lgkmcnt(4)
	v_sub_f32_e32 v13, v15, v27
	v_sub_f32_e32 v14, v16, v28
	ds_write_b64 v2, v[13:14] offset:8192
	ds_read_b64 v[13:14], v23 offset:10232
	s_waitcnt lgkmcnt(2)
	v_mul_f32_e64 v15, v12, -v5
	v_mul_f32_e32 v12, v12, v4
	v_fmac_f32_e32 v15, v4, v11
	v_fmac_f32_e32 v12, v5, v11
	v_mul_f32_e32 v11, v18, v5
	v_fma_f32 v11, -v4, v17, v11
	v_mul_f32_e64 v4, v18, -v4
	v_sub_f32_e32 v6, v6, v15
	v_sub_f32_e32 v7, v7, v12
	v_fma_f32 v12, -v5, v17, v4
	ds_write2st64_b64 v2, v[11:12], v[6:7] offset1:8
	ds_read_b64 v[4:5], v23 offset:2040
	ds_read_b64 v[6:7], v29 offset:2040
	;; [unrolled: 1-line block ×5, first 2 shown]
	s_waitcnt lgkmcnt(6)
	v_mul_f32_e64 v2, v14, -v22
	v_fmac_f32_e32 v2, v21, v13
	v_mul_f32_e32 v14, v14, v21
	v_fmac_f32_e32 v14, v22, v13
	s_waitcnt lgkmcnt(1)
	v_sub_f32_e32 v13, v15, v2
	s_waitcnt lgkmcnt(0)
	v_mul_f32_e64 v2, v18, -v5
	v_sub_f32_e32 v14, v16, v14
	v_fmac_f32_e32 v2, v4, v17
	ds_write_b64 v29, v[13:14] offset:10232
	v_mul_f32_e32 v13, v18, v4
	v_sub_f32_e32 v4, v6, v2
	v_mul_f32_e32 v2, v18, v12
	v_fmac_f32_e32 v13, v5, v17
	v_fma_f32 v6, -v17, v11, v2
	v_mul_f32_e64 v2, v12, -v17
	v_sub_f32_e32 v5, v7, v13
	v_fma_f32 v7, -v18, v11, v2
	v_add_u32_e32 v2, 0x1f8, v29
	ds_write2st64_b64 v2, v[4:5], v[6:7] offset0:3 offset1:11
	s_branch .LBB253_13
.LBB253_16:
	s_and_saveexec_b64 s[18:19], s[0:1]
	s_cbranch_execnz .LBB253_19
; %bb.17:
	s_or_b64 exec, exec, s[18:19]
	v_cmp_eq_u32_e32 vcc, 0, v0
	s_and_saveexec_b64 s[0:1], vcc
	s_cbranch_execnz .LBB253_23
.LBB253_18:
	s_endpgm
.LBB253_19:
	s_cmp_eq_u32 s7, 0
	s_cbranch_scc1 .LBB253_27
; %bb.20:
	s_mulk_i32 s21, 0x7f
	s_cbranch_execnz .LBB253_22
.LBB253_21:
	v_ashrrev_i32_e32 v2, 31, v1
	v_lshlrev_b64 v[11:12], 3, v[1:2]
	ds_read2st64_b64 v[4:7], v9 offset1:4
	v_mov_b32_e32 v2, s9
	v_add_co_u32_e32 v13, vcc, s8, v11
	v_addc_co_u32_e32 v14, vcc, v2, v12, vcc
	v_add_u32_e32 v1, s20, v1
	v_mov_b32_e32 v2, 0
	v_lshlrev_b64 v[1:2], 3, v[1:2]
	s_waitcnt lgkmcnt(0)
	global_store_dwordx2 v[13:14], v[4:5], off
	v_mov_b32_e32 v5, s9
	v_add_co_u32_e32 v4, vcc, s8, v1
	v_addc_co_u32_e32 v5, vcc, v5, v2, vcc
	global_store_dwordx2 v[4:5], v[6:7], off
	ds_read2st64_b64 v[4:7], v8 offset1:4
	v_mov_b32_e32 v9, s11
	v_add_co_u32_e32 v8, vcc, s10, v11
	v_addc_co_u32_e32 v9, vcc, v9, v12, vcc
	s_waitcnt lgkmcnt(0)
	global_store_dwordx2 v[8:9], v[4:5], off
	v_mov_b32_e32 v4, s11
	v_add_co_u32_e32 v1, vcc, s10, v1
	v_addc_co_u32_e32 v2, vcc, v4, v2, vcc
	s_mov_b32 s21, s20
	global_store_dwordx2 v[1:2], v[6:7], off
.LBB253_22:
	v_ashrrev_i32_e32 v4, 31, v3
	v_lshlrev_b64 v[1:2], 3, v[3:4]
	ds_read2st64_b64 v[4:7], v10 offset1:4
	v_mov_b32_e32 v8, s17
	v_add_co_u32_e32 v1, vcc, s16, v1
	v_addc_co_u32_e32 v2, vcc, v8, v2, vcc
	s_waitcnt lgkmcnt(0)
	global_store_dwordx2 v[1:2], v[4:5], off
	v_add_u32_e32 v1, s21, v3
	v_mov_b32_e32 v2, 0
	v_lshlrev_b64 v[1:2], 3, v[1:2]
	v_mov_b32_e32 v3, s17
	v_add_co_u32_e32 v1, vcc, s16, v1
	v_addc_co_u32_e32 v2, vcc, v3, v2, vcc
	global_store_dwordx2 v[1:2], v[6:7], off
	s_or_b64 exec, exec, s[18:19]
	v_cmp_eq_u32_e32 vcc, 0, v0
	s_and_saveexec_b64 s[0:1], vcc
	s_cbranch_execz .LBB253_18
.LBB253_23:
	s_cmp_eq_u32 s7, 0
	s_cbranch_scc1 .LBB253_28
; %bb.24:
	s_load_dword s8, s[4:5], 0x50
	s_cbranch_execnz .LBB253_26
.LBB253_25:
	v_mov_b32_e32 v0, 0xff8
	ds_read2_b64 v[0:3], v0 offset1:1
	s_mov_b32 s0, s7
	s_ashr_i32 s7, s6, 31
	s_waitcnt lgkmcnt(0)
	s_load_dword s8, s[4:5], 0x50
	s_lshl_b64 s[10:11], s[6:7], 3
	s_mov_b32 s7, s0
	s_add_u32 s0, s14, s10
	s_addc_u32 s1, s15, s11
	v_mov_b32_e32 v6, 0
	ds_read_b64 v[4:5], v6
	global_store_dwordx2 v6, v[2:3], s[0:1]
	ds_read_b64 v[2:3], v6 offset:8184
	s_waitcnt lgkmcnt(0)
	s_add_i32 s0, s8, s6
	s_mov_b32 s1, 0
	s_lshl_b64 s[0:1], s[0:1], 3
	s_add_u32 s4, s14, s0
	s_addc_u32 s5, s15, s1
	global_store_dwordx2 v6, v[2:3], s[4:5]
	s_add_u32 s4, s2, s10
	s_addc_u32 s5, s3, s11
	s_add_u32 s0, s2, s0
	s_addc_u32 s1, s3, s1
	global_store_dwordx2 v6, v[4:5], s[4:5]
	global_store_dwordx2 v6, v[0:1], s[0:1]
.LBB253_26:
	s_waitcnt lgkmcnt(0)
	s_mul_i32 s0, s8, s7
	s_lshl_b32 s0, s0, 1
	s_add_i32 s0, s0, s6
	s_mov_b32 s1, 0
	v_mov_b32_e32 v4, 0
	s_lshl_b64 s[2:3], s[0:1], 3
	ds_read_b64 v[0:1], v4 offset:8192
	ds_read_b64 v[2:3], v4 offset:12280
	s_add_u32 s2, s12, s2
	s_addc_u32 s3, s13, s3
	s_add_i32 s0, s0, s8
	s_lshl_b64 s[0:1], s[0:1], 3
	s_add_u32 s0, s12, s0
	s_addc_u32 s1, s13, s1
	s_waitcnt lgkmcnt(1)
	global_store_dwordx2 v4, v[0:1], s[2:3]
	s_waitcnt lgkmcnt(0)
	global_store_dwordx2 v4, v[2:3], s[0:1]
	s_endpgm
.LBB253_27:
                                        ; implicit-def: $sgpr21
	s_branch .LBB253_21
.LBB253_28:
                                        ; implicit-def: $sgpr8
	s_branch .LBB253_25
	.section	.rodata,"a",@progbits
	.p2align	6, 0x0
	.amdhsa_kernel _ZN9rocsparseL29gtsv_spike_block_level_kernelILj256ELj128E21rocsparse_complex_numIfEEEviiiPT1_PKS3_S6_S4_S4_S4_S4_S4_
		.amdhsa_group_segment_fixed_size 12288
		.amdhsa_private_segment_fixed_size 0
		.amdhsa_kernarg_size 336
		.amdhsa_user_sgpr_count 6
		.amdhsa_user_sgpr_private_segment_buffer 1
		.amdhsa_user_sgpr_dispatch_ptr 0
		.amdhsa_user_sgpr_queue_ptr 0
		.amdhsa_user_sgpr_kernarg_segment_ptr 1
		.amdhsa_user_sgpr_dispatch_id 0
		.amdhsa_user_sgpr_flat_scratch_init 0
		.amdhsa_user_sgpr_private_segment_size 0
		.amdhsa_uses_dynamic_stack 0
		.amdhsa_system_sgpr_private_segment_wavefront_offset 0
		.amdhsa_system_sgpr_workgroup_id_x 1
		.amdhsa_system_sgpr_workgroup_id_y 1
		.amdhsa_system_sgpr_workgroup_id_z 0
		.amdhsa_system_sgpr_workgroup_info 0
		.amdhsa_system_vgpr_workitem_id 0
		.amdhsa_next_free_vgpr 41
		.amdhsa_next_free_sgpr 98
		.amdhsa_reserve_vcc 1
		.amdhsa_reserve_flat_scratch 0
		.amdhsa_float_round_mode_32 0
		.amdhsa_float_round_mode_16_64 0
		.amdhsa_float_denorm_mode_32 3
		.amdhsa_float_denorm_mode_16_64 3
		.amdhsa_dx10_clamp 1
		.amdhsa_ieee_mode 1
		.amdhsa_fp16_overflow 0
		.amdhsa_exception_fp_ieee_invalid_op 0
		.amdhsa_exception_fp_denorm_src 0
		.amdhsa_exception_fp_ieee_div_zero 0
		.amdhsa_exception_fp_ieee_overflow 0
		.amdhsa_exception_fp_ieee_underflow 0
		.amdhsa_exception_fp_ieee_inexact 0
		.amdhsa_exception_int_div_zero 0
	.end_amdhsa_kernel
	.section	.text._ZN9rocsparseL29gtsv_spike_block_level_kernelILj256ELj128E21rocsparse_complex_numIfEEEviiiPT1_PKS3_S6_S4_S4_S4_S4_S4_,"axG",@progbits,_ZN9rocsparseL29gtsv_spike_block_level_kernelILj256ELj128E21rocsparse_complex_numIfEEEviiiPT1_PKS3_S6_S4_S4_S4_S4_S4_,comdat
.Lfunc_end253:
	.size	_ZN9rocsparseL29gtsv_spike_block_level_kernelILj256ELj128E21rocsparse_complex_numIfEEEviiiPT1_PKS3_S6_S4_S4_S4_S4_S4_, .Lfunc_end253-_ZN9rocsparseL29gtsv_spike_block_level_kernelILj256ELj128E21rocsparse_complex_numIfEEEviiiPT1_PKS3_S6_S4_S4_S4_S4_S4_
                                        ; -- End function
	.set _ZN9rocsparseL29gtsv_spike_block_level_kernelILj256ELj128E21rocsparse_complex_numIfEEEviiiPT1_PKS3_S6_S4_S4_S4_S4_S4_.num_vgpr, 33
	.set _ZN9rocsparseL29gtsv_spike_block_level_kernelILj256ELj128E21rocsparse_complex_numIfEEEviiiPT1_PKS3_S6_S4_S4_S4_S4_S4_.num_agpr, 0
	.set _ZN9rocsparseL29gtsv_spike_block_level_kernelILj256ELj128E21rocsparse_complex_numIfEEEviiiPT1_PKS3_S6_S4_S4_S4_S4_S4_.numbered_sgpr, 26
	.set _ZN9rocsparseL29gtsv_spike_block_level_kernelILj256ELj128E21rocsparse_complex_numIfEEEviiiPT1_PKS3_S6_S4_S4_S4_S4_S4_.num_named_barrier, 0
	.set _ZN9rocsparseL29gtsv_spike_block_level_kernelILj256ELj128E21rocsparse_complex_numIfEEEviiiPT1_PKS3_S6_S4_S4_S4_S4_S4_.private_seg_size, 0
	.set _ZN9rocsparseL29gtsv_spike_block_level_kernelILj256ELj128E21rocsparse_complex_numIfEEEviiiPT1_PKS3_S6_S4_S4_S4_S4_S4_.uses_vcc, 1
	.set _ZN9rocsparseL29gtsv_spike_block_level_kernelILj256ELj128E21rocsparse_complex_numIfEEEviiiPT1_PKS3_S6_S4_S4_S4_S4_S4_.uses_flat_scratch, 0
	.set _ZN9rocsparseL29gtsv_spike_block_level_kernelILj256ELj128E21rocsparse_complex_numIfEEEviiiPT1_PKS3_S6_S4_S4_S4_S4_S4_.has_dyn_sized_stack, 0
	.set _ZN9rocsparseL29gtsv_spike_block_level_kernelILj256ELj128E21rocsparse_complex_numIfEEEviiiPT1_PKS3_S6_S4_S4_S4_S4_S4_.has_recursion, 0
	.set _ZN9rocsparseL29gtsv_spike_block_level_kernelILj256ELj128E21rocsparse_complex_numIfEEEviiiPT1_PKS3_S6_S4_S4_S4_S4_S4_.has_indirect_call, 0
	.section	.AMDGPU.csdata,"",@progbits
; Kernel info:
; codeLenInByte = 1940
; TotalNumSgprs: 30
; NumVgprs: 33
; ScratchSize: 0
; MemoryBound: 0
; FloatMode: 240
; IeeeMode: 1
; LDSByteSize: 12288 bytes/workgroup (compile time only)
; SGPRBlocks: 12
; VGPRBlocks: 10
; NumSGPRsForWavesPerEU: 102
; NumVGPRsForWavesPerEU: 41
; Occupancy: 5
; WaveLimiterHint : 0
; COMPUTE_PGM_RSRC2:SCRATCH_EN: 0
; COMPUTE_PGM_RSRC2:USER_SGPR: 6
; COMPUTE_PGM_RSRC2:TRAP_HANDLER: 0
; COMPUTE_PGM_RSRC2:TGID_X_EN: 1
; COMPUTE_PGM_RSRC2:TGID_Y_EN: 1
; COMPUTE_PGM_RSRC2:TGID_Z_EN: 0
; COMPUTE_PGM_RSRC2:TIDIG_COMP_CNT: 0
	.section	.text._ZN9rocsparseL33gtsv_solve_spike_propagate_kernelILj256ELj128E21rocsparse_complex_numIfEEEviiiPT1_PKS3_S6_S6_,"axG",@progbits,_ZN9rocsparseL33gtsv_solve_spike_propagate_kernelILj256ELj128E21rocsparse_complex_numIfEEEviiiPT1_PKS3_S6_S6_,comdat
	.globl	_ZN9rocsparseL33gtsv_solve_spike_propagate_kernelILj256ELj128E21rocsparse_complex_numIfEEEviiiPT1_PKS3_S6_S6_ ; -- Begin function _ZN9rocsparseL33gtsv_solve_spike_propagate_kernelILj256ELj128E21rocsparse_complex_numIfEEEviiiPT1_PKS3_S6_S6_
	.p2align	8
	.type	_ZN9rocsparseL33gtsv_solve_spike_propagate_kernelILj256ELj128E21rocsparse_complex_numIfEEEviiiPT1_PKS3_S6_S6_,@function
_ZN9rocsparseL33gtsv_solve_spike_propagate_kernelILj256ELj128E21rocsparse_complex_numIfEEEviiiPT1_PKS3_S6_S6_: ; @_ZN9rocsparseL33gtsv_solve_spike_propagate_kernelILj256ELj128E21rocsparse_complex_numIfEEEviiiPT1_PKS3_S6_S6_
; %bb.0:
	s_load_dword s10, s[4:5], 0x0
	v_lshl_or_b32 v1, s6, 8, v0
	v_lshlrev_b32_e32 v6, 3, v0
	s_waitcnt lgkmcnt(0)
	s_lshr_b32 s14, s10, 7
	v_cmp_gt_i32_e32 vcc, s14, v1
	v_cmp_le_i32_e64 s[0:1], s14, v1
	s_and_saveexec_b64 s[2:3], s[0:1]
	s_xor_b64 s[2:3], exec, s[2:3]
; %bb.1:
	v_mov_b32_e32 v2, 0
	v_mov_b32_e32 v3, v2
	ds_write_b64 v6, v[2:3] offset:8208
; %bb.2:
	s_or_saveexec_b64 s[8:9], s[2:3]
	v_mov_b32_e32 v3, 0
	v_ashrrev_i32_e32 v2, 31, v1
	s_mulk_i32 s14, 0x7f
	v_mov_b32_e32 v4, 0
	s_xor_b64 exec, exec, s[8:9]
	s_cbranch_execz .LBB254_4
; %bb.3:
	s_load_dwordx2 s[12:13], s[4:5], 0x18
	v_lshlrev_b64 v[3:4], 3, v[1:2]
	s_waitcnt lgkmcnt(0)
	v_mov_b32_e32 v5, s13
	v_add_co_u32_e64 v7, s[2:3], s12, v3
	v_addc_co_u32_e64 v8, s[2:3], v5, v4, s[2:3]
	v_add_u32_e32 v3, s14, v1
	v_mov_b32_e32 v4, 0
	v_lshlrev_b64 v[3:4], 3, v[3:4]
	v_add_co_u32_e64 v9, s[2:3], s12, v3
	v_addc_co_u32_e64 v10, s[2:3], v5, v4, s[2:3]
	global_load_dwordx2 v[11:12], v[7:8], off
	global_load_dwordx2 v[3:4], v[9:10], off
	s_waitcnt vmcnt(1)
	ds_write_b64 v6, v[11:12] offset:8208
.LBB254_4:
	s_or_b64 exec, exec, s[8:9]
	s_load_dwordx2 s[2:3], s[4:5], 0x10
	s_waitcnt vmcnt(0)
	ds_write_b64 v6, v[3:4] offset:10256
	s_and_saveexec_b64 s[8:9], s[0:1]
	s_xor_b64 s[0:1], exec, s[8:9]
	s_cbranch_execz .LBB254_6
; %bb.5:
	s_mov_b32 s8, 0
	s_mov_b32 s9, s8
	v_mov_b32_e32 v2, s8
	v_mov_b32_e32 v3, s9
	v_add_u32_e32 v4, 16, v6
	ds_write2st64_b64 v4, v[2:3], v[2:3] offset0:8 offset1:12
.LBB254_6:
	s_or_saveexec_b64 s[8:9], s[0:1]
	v_mov_b32_e32 v3, 0
	s_mul_i32 s10, s10, s7
	v_mov_b32_e32 v5, 0
	v_mov_b32_e32 v4, 0
	s_xor_b64 exec, exec, s[8:9]
	s_cbranch_execz .LBB254_8
; %bb.7:
	s_load_dwordx2 s[12:13], s[4:5], 0x20
	v_lshlrev_b64 v[4:5], 3, v[1:2]
	v_add_u32_e32 v7, s14, v1
	v_mov_b32_e32 v8, 0
	v_lshlrev_b64 v[9:10], 3, v[7:8]
	s_waitcnt lgkmcnt(0)
	v_mov_b32_e32 v2, s13
	v_add_co_u32_e64 v4, s[0:1], s12, v4
	v_addc_co_u32_e64 v5, s[0:1], v2, v5, s[0:1]
	v_add_co_u32_e64 v9, s[0:1], s12, v9
	v_add_u32_e32 v7, s10, v7
	v_addc_co_u32_e64 v10, s[0:1], v2, v10, s[0:1]
	global_load_dwordx2 v[11:12], v[4:5], off
	global_load_dwordx2 v[13:14], v[9:10], off
	v_lshlrev_b64 v[4:5], 3, v[7:8]
	v_mov_b32_e32 v2, s3
	v_add_co_u32_e64 v4, s[0:1], s2, v4
	v_addc_co_u32_e64 v5, s[0:1], v2, v5, s[0:1]
	global_load_dwordx2 v[4:5], v[4:5], off
	v_add_u32_e32 v2, 16, v6
	s_waitcnt vmcnt(1)
	ds_write2st64_b64 v2, v[11:12], v[13:14] offset0:8 offset1:12
.LBB254_8:
	s_or_b64 exec, exec, s[8:9]
	v_add_u32_e32 v1, s10, v1
	v_mov_b32_e32 v2, 0
	s_waitcnt vmcnt(0)
	ds_write_b64 v6, v[4:5] offset:8
	s_and_saveexec_b64 s[8:9], vcc
	s_cbranch_execz .LBB254_10
; %bb.9:
	v_ashrrev_i32_e32 v2, 31, v1
	v_lshlrev_b64 v[2:3], 3, v[1:2]
	s_waitcnt lgkmcnt(0)
	v_mov_b32_e32 v4, s3
	v_add_co_u32_e64 v2, s[0:1], s2, v2
	v_addc_co_u32_e64 v3, s[0:1], v4, v3, s[0:1]
	global_load_dwordx2 v[2:3], v[2:3], off
.LBB254_10:
	s_or_b64 exec, exec, s[8:9]
	s_mov_b32 s13, 0
	v_cmp_eq_u32_e64 s[0:1], 0, v0
	s_waitcnt vmcnt(0)
	ds_write_b64 v6, v[2:3] offset:2056
	s_waitcnt lgkmcnt(0)
	s_barrier
	s_and_saveexec_b64 s[8:9], s[0:1]
	s_cbranch_execz .LBB254_16
; %bb.11:
	s_load_dword s15, s[4:5], 0x30
	s_load_dwordx2 s[10:11], s[4:5], 0x28
	s_cmp_lt_i32 s6, 1
	s_mov_b32 s12, 0
	s_waitcnt lgkmcnt(0)
	s_mul_i32 s7, s7, s15
	s_cbranch_scc1 .LBB254_13
; %bb.12:
	s_lshl_b32 s4, s7, 1
	s_add_i32 s5, s6, s15
	s_add_i32 s4, s5, s4
	s_add_i32 s4, s4, -1
	s_mov_b32 s5, 0
	s_lshl_b64 s[4:5], s[4:5], 3
	s_add_u32 s4, s10, s4
	s_addc_u32 s5, s11, s5
	s_load_dwordx2 s[12:13], s[4:5], 0x0
.LBB254_13:
	s_add_i32 s4, s15, -1
	s_waitcnt lgkmcnt(0)
	v_mov_b32_e32 v3, s12
	v_mov_b32_e32 v4, s13
	;; [unrolled: 1-line block ×3, first 2 shown]
	s_mov_b32 s5, 0
	s_cmp_ge_u32 s6, s4
	s_mov_b32 s13, 0
	s_mov_b32 s12, 0
	ds_write_b64 v2, v[3:4]
	s_cbranch_scc1 .LBB254_15
; %bb.14:
	s_lshl_b32 s4, s7, 1
	s_add_i32 s4, s6, s4
	s_add_i32 s12, s4, 1
	s_lshl_b64 s[12:13], s[12:13], 3
	s_add_u32 s16, s10, s12
	s_addc_u32 s17, s11, s13
	s_load_dwordx2 s[12:13], s[16:17], 0x0
.LBB254_15:
	s_lshl_b32 s4, s7, 1
	s_add_i32 s4, s4, s6
	s_lshl_b64 s[6:7], s[4:5], 3
	s_add_u32 s6, s10, s6
	s_addc_u32 s7, s11, s7
	s_add_i32 s4, s4, s15
	s_lshl_b64 s[4:5], s[4:5], 3
	s_add_u32 s4, s10, s4
	s_addc_u32 s5, s11, s5
	s_load_dwordx2 s[10:11], s[4:5], 0x0
	s_load_dwordx2 s[16:17], s[6:7], 0x0
	s_waitcnt lgkmcnt(0)
	v_mov_b32_e32 v3, s12
	v_mov_b32_e32 v4, s13
	ds_write_b64 v2, v[3:4] offset:4104
	v_mov_b32_e32 v7, s10
	v_mov_b32_e32 v8, s11
	;; [unrolled: 1-line block ×4, first 2 shown]
	ds_write_b128 v2, v[7:10] offset:2048
.LBB254_16:
	s_or_b64 exec, exec, s[8:9]
	s_waitcnt lgkmcnt(0)
	s_barrier
	s_and_saveexec_b64 s[4:5], s[0:1]
	s_cbranch_execz .LBB254_18
; %bb.17:
	s_movk_i32 s0, 0x1410
	v_add_u32_e64 v7, s0, 0
	v_add_u32_e64 v2, 8, 0
	ds_read2st64_b64 v[2:5], v2 offset0:6 offset1:8
	ds_read2_b64 v[7:10], v7 offset1:255
	s_movk_i32 s0, 0x2410
	v_mov_b32_e32 v19, 0
	v_add_u32_e64 v15, s0, 0
	ds_read2st64_b64 v[11:14], v19 offset1:2
	ds_read2_b64 v[15:18], v15 offset1:255
	s_waitcnt lgkmcnt(2)
	v_mul_f32_e64 v20, v5, -v10
	v_fmac_f32_e32 v20, v9, v4
	v_mul_f32_e32 v9, v5, v9
	v_fmac_f32_e32 v9, v10, v4
	s_waitcnt lgkmcnt(1)
	v_sub_f32_e32 v10, v13, v20
	v_sub_f32_e32 v13, v14, v9
	s_waitcnt lgkmcnt(0)
	v_mul_f32_e64 v9, v12, -v18
	v_mul_f32_e32 v14, v12, v17
	v_fmac_f32_e32 v9, v17, v11
	v_fmac_f32_e32 v14, v18, v11
	v_sub_f32_e32 v9, v10, v9
	v_sub_f32_e32 v10, v13, v14
	ds_write_b64 v19, v[9:10] offset:1024
	v_mul_f32_e64 v9, v5, -v8
	v_mul_f32_e32 v5, v5, v7
	v_fmac_f32_e32 v5, v8, v4
	v_fmac_f32_e32 v9, v7, v4
	v_sub_f32_e32 v3, v3, v5
	v_mul_f32_e64 v4, v12, -v16
	v_mul_f32_e32 v5, v12, v15
	v_sub_f32_e32 v2, v2, v9
	v_fmac_f32_e32 v4, v15, v11
	v_fmac_f32_e32 v5, v16, v11
	v_sub_f32_e32 v2, v2, v4
	v_sub_f32_e32 v3, v3, v5
	ds_write_b64 v19, v[2:3] offset:3080
.LBB254_18:
	s_or_b64 exec, exec, s[4:5]
	v_cmp_gt_u32_e64 s[0:1], 2, v0
	s_waitcnt lgkmcnt(0)
	s_barrier
	s_and_saveexec_b64 s[4:5], s[0:1]
	s_cbranch_execz .LBB254_20
; %bb.19:
	v_lshlrev_b32_e32 v19, 10, v0
	v_add_u32_e32 v2, 0x1210, v19
	ds_read2_b64 v[2:5], v2 offset1:255
	v_add_u32_e32 v7, 8, v19
	ds_read2st64_b64 v[7:10], v7 offset0:5 offset1:6
	ds_read2st64_b64 v[11:14], v19 offset1:1
	v_add_u32_e32 v15, 0x2210, v19
	ds_read2_b64 v[15:18], v15 offset1:255
	s_waitcnt lgkmcnt(2)
	v_mul_f32_e64 v20, v10, -v5
	v_fmac_f32_e32 v20, v4, v9
	v_mul_f32_e32 v4, v10, v4
	v_fmac_f32_e32 v4, v5, v9
	s_waitcnt lgkmcnt(1)
	v_sub_f32_e32 v5, v13, v20
	v_sub_f32_e32 v13, v14, v4
	s_waitcnt lgkmcnt(0)
	v_mul_f32_e64 v4, v12, -v18
	v_mul_f32_e32 v14, v12, v17
	v_fmac_f32_e32 v4, v17, v11
	v_fmac_f32_e32 v14, v18, v11
	v_sub_f32_e32 v4, v5, v4
	v_sub_f32_e32 v5, v13, v14
	ds_write_b64 v19, v[4:5] offset:512
	v_mul_f32_e64 v4, v10, -v3
	v_fmac_f32_e32 v4, v2, v9
	v_mul_f32_e32 v2, v10, v2
	v_fmac_f32_e32 v2, v3, v9
	v_sub_f32_e32 v3, v7, v4
	v_sub_f32_e32 v4, v8, v2
	v_mul_f32_e64 v2, v12, -v16
	v_mul_f32_e32 v5, v12, v15
	v_fmac_f32_e32 v2, v15, v11
	v_fmac_f32_e32 v5, v16, v11
	v_sub_f32_e32 v2, v3, v2
	v_sub_f32_e32 v3, v4, v5
	ds_write_b64 v19, v[2:3] offset:2568
.LBB254_20:
	s_or_b64 exec, exec, s[4:5]
	v_cmp_gt_u32_e64 s[0:1], 4, v0
	s_waitcnt lgkmcnt(0)
	s_barrier
	s_and_saveexec_b64 s[4:5], s[0:1]
	s_cbranch_execz .LBB254_22
; %bb.21:
	v_lshlrev_b32_e32 v19, 9, v0
	v_add_u32_e32 v2, 0x1110, v19
	ds_read2_b64 v[2:5], v2 offset1:255
	v_add_u32_e32 v7, 0x800, v19
	ds_read2_b64 v[7:10], v7 offset0:33 offset1:65
	ds_read2_b64 v[11:14], v19 offset1:32
	v_add_u32_e32 v15, 0x2110, v19
	ds_read2_b64 v[15:18], v15 offset1:255
	s_waitcnt lgkmcnt(2)
	v_mul_f32_e64 v20, v10, -v5
	v_fmac_f32_e32 v20, v4, v9
	v_mul_f32_e32 v4, v10, v4
	v_fmac_f32_e32 v4, v5, v9
	s_waitcnt lgkmcnt(1)
	v_sub_f32_e32 v5, v13, v20
	v_sub_f32_e32 v13, v14, v4
	s_waitcnt lgkmcnt(0)
	v_mul_f32_e64 v4, v12, -v18
	v_mul_f32_e32 v14, v12, v17
	v_fmac_f32_e32 v4, v17, v11
	v_fmac_f32_e32 v14, v18, v11
	v_sub_f32_e32 v4, v5, v4
	v_sub_f32_e32 v5, v13, v14
	ds_write_b64 v19, v[4:5] offset:256
	v_mul_f32_e64 v4, v10, -v3
	v_fmac_f32_e32 v4, v2, v9
	v_mul_f32_e32 v2, v10, v2
	v_fmac_f32_e32 v2, v3, v9
	v_sub_f32_e32 v3, v7, v4
	v_sub_f32_e32 v4, v8, v2
	v_mul_f32_e64 v2, v12, -v16
	v_mul_f32_e32 v5, v12, v15
	v_fmac_f32_e32 v2, v15, v11
	v_fmac_f32_e32 v5, v16, v11
	v_sub_f32_e32 v2, v3, v2
	v_sub_f32_e32 v3, v4, v5
	ds_write_b64 v19, v[2:3] offset:2312
.LBB254_22:
	s_or_b64 exec, exec, s[4:5]
	v_cmp_gt_u32_e64 s[0:1], 8, v0
	s_waitcnt lgkmcnt(0)
	s_barrier
	s_and_saveexec_b64 s[4:5], s[0:1]
	s_cbranch_execz .LBB254_24
; %bb.23:
	v_lshlrev_b32_e32 v19, 8, v0
	v_add_u32_e32 v2, 0x1090, v19
	ds_read2_b64 v[2:5], v2 offset1:255
	v_add_u32_e32 v7, 0x800, v19
	ds_read2_b64 v[7:10], v7 offset0:17 offset1:33
	ds_read2_b64 v[11:14], v19 offset1:16
	v_add_u32_e32 v15, 0x2090, v19
	ds_read2_b64 v[15:18], v15 offset1:255
	s_waitcnt lgkmcnt(2)
	v_mul_f32_e64 v20, v10, -v5
	v_fmac_f32_e32 v20, v4, v9
	v_mul_f32_e32 v4, v10, v4
	v_fmac_f32_e32 v4, v5, v9
	s_waitcnt lgkmcnt(1)
	v_sub_f32_e32 v5, v13, v20
	v_sub_f32_e32 v13, v14, v4
	s_waitcnt lgkmcnt(0)
	v_mul_f32_e64 v4, v12, -v18
	v_mul_f32_e32 v14, v12, v17
	v_fmac_f32_e32 v4, v17, v11
	v_fmac_f32_e32 v14, v18, v11
	v_sub_f32_e32 v4, v5, v4
	v_sub_f32_e32 v5, v13, v14
	ds_write_b64 v19, v[4:5] offset:128
	v_mul_f32_e64 v4, v10, -v3
	v_fmac_f32_e32 v4, v2, v9
	v_mul_f32_e32 v2, v10, v2
	v_fmac_f32_e32 v2, v3, v9
	v_sub_f32_e32 v3, v7, v4
	v_sub_f32_e32 v4, v8, v2
	v_mul_f32_e64 v2, v12, -v16
	v_mul_f32_e32 v5, v12, v15
	v_fmac_f32_e32 v2, v15, v11
	v_fmac_f32_e32 v5, v16, v11
	v_sub_f32_e32 v2, v3, v2
	v_sub_f32_e32 v3, v4, v5
	ds_write_b64 v19, v[2:3] offset:2184
.LBB254_24:
	;; [unrolled: 45-line block ×5, first 2 shown]
	s_or_b64 exec, exec, s[4:5]
	s_movk_i32 s0, 0x80
	v_cmp_gt_u32_e64 s[0:1], s0, v0
	s_waitcnt lgkmcnt(0)
	s_barrier
	s_and_saveexec_b64 s[4:5], s[0:1]
	s_cbranch_execz .LBB254_32
; %bb.31:
	v_lshlrev_b32_e32 v0, 4, v0
	v_add_u32_e32 v2, 0x1018, v0
	ds_read2_b64 v[2:5], v2 offset1:255
	v_add_u32_e32 v7, 0x800, v0
	ds_read2_b64 v[7:10], v7 offset0:2 offset1:3
	ds_read2_b64 v[11:14], v0 offset1:1
	v_add_u32_e32 v15, 0x2018, v0
	ds_read2_b64 v[15:18], v15 offset1:255
	s_waitcnt lgkmcnt(2)
	v_mul_f32_e64 v19, v10, -v5
	v_fmac_f32_e32 v19, v4, v9
	v_mul_f32_e32 v4, v10, v4
	v_fmac_f32_e32 v4, v5, v9
	s_waitcnt lgkmcnt(1)
	v_sub_f32_e32 v5, v13, v19
	v_sub_f32_e32 v13, v14, v4
	s_waitcnt lgkmcnt(0)
	v_mul_f32_e64 v4, v12, -v18
	v_mul_f32_e32 v14, v12, v17
	v_fmac_f32_e32 v4, v17, v11
	v_fmac_f32_e32 v14, v18, v11
	v_sub_f32_e32 v4, v5, v4
	v_sub_f32_e32 v5, v13, v14
	ds_write_b64 v0, v[4:5] offset:8
	v_mul_f32_e64 v4, v10, -v3
	v_fmac_f32_e32 v4, v2, v9
	v_mul_f32_e32 v2, v10, v2
	v_fmac_f32_e32 v2, v3, v9
	v_sub_f32_e32 v3, v7, v4
	v_sub_f32_e32 v4, v8, v2
	v_mul_f32_e64 v2, v12, -v16
	v_mul_f32_e32 v5, v12, v15
	v_fmac_f32_e32 v2, v15, v11
	v_fmac_f32_e32 v5, v16, v11
	v_sub_f32_e32 v2, v3, v2
	v_sub_f32_e32 v3, v4, v5
	ds_write_b64 v0, v[2:3] offset:2064
.LBB254_32:
	s_or_b64 exec, exec, s[4:5]
	s_waitcnt lgkmcnt(0)
	s_barrier
	s_and_saveexec_b64 s[0:1], vcc
	s_cbranch_execz .LBB254_34
; %bb.33:
	v_ashrrev_i32_e32 v2, 31, v1
	v_lshlrev_b64 v[7:8], 3, v[1:2]
	v_add_u32_e32 v2, 8, v6
	ds_read2st64_b64 v[2:5], v2 offset1:4
	v_mov_b32_e32 v0, s3
	v_add_co_u32_e32 v6, vcc, s2, v7
	v_addc_co_u32_e32 v7, vcc, v0, v8, vcc
	v_add_u32_e32 v0, s14, v1
	v_mov_b32_e32 v1, 0
	v_lshlrev_b64 v[0:1], 3, v[0:1]
	s_waitcnt lgkmcnt(0)
	global_store_dwordx2 v[6:7], v[4:5], off
	v_mov_b32_e32 v4, s3
	v_add_co_u32_e32 v0, vcc, s2, v0
	v_addc_co_u32_e32 v1, vcc, v4, v1, vcc
	global_store_dwordx2 v[0:1], v[2:3], off
.LBB254_34:
	s_endpgm
	.section	.rodata,"a",@progbits
	.p2align	6, 0x0
	.amdhsa_kernel _ZN9rocsparseL33gtsv_solve_spike_propagate_kernelILj256ELj128E21rocsparse_complex_numIfEEEviiiPT1_PKS3_S6_S6_
		.amdhsa_group_segment_fixed_size 12304
		.amdhsa_private_segment_fixed_size 0
		.amdhsa_kernarg_size 304
		.amdhsa_user_sgpr_count 6
		.amdhsa_user_sgpr_private_segment_buffer 1
		.amdhsa_user_sgpr_dispatch_ptr 0
		.amdhsa_user_sgpr_queue_ptr 0
		.amdhsa_user_sgpr_kernarg_segment_ptr 1
		.amdhsa_user_sgpr_dispatch_id 0
		.amdhsa_user_sgpr_flat_scratch_init 0
		.amdhsa_user_sgpr_private_segment_size 0
		.amdhsa_uses_dynamic_stack 0
		.amdhsa_system_sgpr_private_segment_wavefront_offset 0
		.amdhsa_system_sgpr_workgroup_id_x 1
		.amdhsa_system_sgpr_workgroup_id_y 1
		.amdhsa_system_sgpr_workgroup_id_z 0
		.amdhsa_system_sgpr_workgroup_info 0
		.amdhsa_system_vgpr_workitem_id 0
		.amdhsa_next_free_vgpr 41
		.amdhsa_next_free_sgpr 98
		.amdhsa_reserve_vcc 1
		.amdhsa_reserve_flat_scratch 0
		.amdhsa_float_round_mode_32 0
		.amdhsa_float_round_mode_16_64 0
		.amdhsa_float_denorm_mode_32 3
		.amdhsa_float_denorm_mode_16_64 3
		.amdhsa_dx10_clamp 1
		.amdhsa_ieee_mode 1
		.amdhsa_fp16_overflow 0
		.amdhsa_exception_fp_ieee_invalid_op 0
		.amdhsa_exception_fp_denorm_src 0
		.amdhsa_exception_fp_ieee_div_zero 0
		.amdhsa_exception_fp_ieee_overflow 0
		.amdhsa_exception_fp_ieee_underflow 0
		.amdhsa_exception_fp_ieee_inexact 0
		.amdhsa_exception_int_div_zero 0
	.end_amdhsa_kernel
	.section	.text._ZN9rocsparseL33gtsv_solve_spike_propagate_kernelILj256ELj128E21rocsparse_complex_numIfEEEviiiPT1_PKS3_S6_S6_,"axG",@progbits,_ZN9rocsparseL33gtsv_solve_spike_propagate_kernelILj256ELj128E21rocsparse_complex_numIfEEEviiiPT1_PKS3_S6_S6_,comdat
.Lfunc_end254:
	.size	_ZN9rocsparseL33gtsv_solve_spike_propagate_kernelILj256ELj128E21rocsparse_complex_numIfEEEviiiPT1_PKS3_S6_S6_, .Lfunc_end254-_ZN9rocsparseL33gtsv_solve_spike_propagate_kernelILj256ELj128E21rocsparse_complex_numIfEEEviiiPT1_PKS3_S6_S6_
                                        ; -- End function
	.set _ZN9rocsparseL33gtsv_solve_spike_propagate_kernelILj256ELj128E21rocsparse_complex_numIfEEEviiiPT1_PKS3_S6_S6_.num_vgpr, 21
	.set _ZN9rocsparseL33gtsv_solve_spike_propagate_kernelILj256ELj128E21rocsparse_complex_numIfEEEviiiPT1_PKS3_S6_S6_.num_agpr, 0
	.set _ZN9rocsparseL33gtsv_solve_spike_propagate_kernelILj256ELj128E21rocsparse_complex_numIfEEEviiiPT1_PKS3_S6_S6_.numbered_sgpr, 18
	.set _ZN9rocsparseL33gtsv_solve_spike_propagate_kernelILj256ELj128E21rocsparse_complex_numIfEEEviiiPT1_PKS3_S6_S6_.num_named_barrier, 0
	.set _ZN9rocsparseL33gtsv_solve_spike_propagate_kernelILj256ELj128E21rocsparse_complex_numIfEEEviiiPT1_PKS3_S6_S6_.private_seg_size, 0
	.set _ZN9rocsparseL33gtsv_solve_spike_propagate_kernelILj256ELj128E21rocsparse_complex_numIfEEEviiiPT1_PKS3_S6_S6_.uses_vcc, 1
	.set _ZN9rocsparseL33gtsv_solve_spike_propagate_kernelILj256ELj128E21rocsparse_complex_numIfEEEviiiPT1_PKS3_S6_S6_.uses_flat_scratch, 0
	.set _ZN9rocsparseL33gtsv_solve_spike_propagate_kernelILj256ELj128E21rocsparse_complex_numIfEEEviiiPT1_PKS3_S6_S6_.has_dyn_sized_stack, 0
	.set _ZN9rocsparseL33gtsv_solve_spike_propagate_kernelILj256ELj128E21rocsparse_complex_numIfEEEviiiPT1_PKS3_S6_S6_.has_recursion, 0
	.set _ZN9rocsparseL33gtsv_solve_spike_propagate_kernelILj256ELj128E21rocsparse_complex_numIfEEEviiiPT1_PKS3_S6_S6_.has_indirect_call, 0
	.section	.AMDGPU.csdata,"",@progbits
; Kernel info:
; codeLenInByte = 2732
; TotalNumSgprs: 22
; NumVgprs: 21
; ScratchSize: 0
; MemoryBound: 0
; FloatMode: 240
; IeeeMode: 1
; LDSByteSize: 12304 bytes/workgroup (compile time only)
; SGPRBlocks: 12
; VGPRBlocks: 10
; NumSGPRsForWavesPerEU: 102
; NumVGPRsForWavesPerEU: 41
; Occupancy: 5
; WaveLimiterHint : 0
; COMPUTE_PGM_RSRC2:SCRATCH_EN: 0
; COMPUTE_PGM_RSRC2:USER_SGPR: 6
; COMPUTE_PGM_RSRC2:TRAP_HANDLER: 0
; COMPUTE_PGM_RSRC2:TGID_X_EN: 1
; COMPUTE_PGM_RSRC2:TGID_Y_EN: 1
; COMPUTE_PGM_RSRC2:TGID_Z_EN: 0
; COMPUTE_PGM_RSRC2:TIDIG_COMP_CNT: 0
	.section	.text._ZN9rocsparseL39gtsv_spike_backward_substitution_kernelILj256ELj128E21rocsparse_complex_numIfEEEviiiPT1_PKS3_S6_,"axG",@progbits,_ZN9rocsparseL39gtsv_spike_backward_substitution_kernelILj256ELj128E21rocsparse_complex_numIfEEEviiiPT1_PKS3_S6_,comdat
	.globl	_ZN9rocsparseL39gtsv_spike_backward_substitution_kernelILj256ELj128E21rocsparse_complex_numIfEEEviiiPT1_PKS3_S6_ ; -- Begin function _ZN9rocsparseL39gtsv_spike_backward_substitution_kernelILj256ELj128E21rocsparse_complex_numIfEEEviiiPT1_PKS3_S6_
	.p2align	8
	.type	_ZN9rocsparseL39gtsv_spike_backward_substitution_kernelILj256ELj128E21rocsparse_complex_numIfEEEviiiPT1_PKS3_S6_,@function
_ZN9rocsparseL39gtsv_spike_backward_substitution_kernelILj256ELj128E21rocsparse_complex_numIfEEEviiiPT1_PKS3_S6_: ; @_ZN9rocsparseL39gtsv_spike_backward_substitution_kernelILj256ELj128E21rocsparse_complex_numIfEEEviiiPT1_PKS3_S6_
; %bb.0:
	s_load_dword s12, s[4:5], 0x0
	s_lshl_b32 s6, s6, 8
	v_or_b32_e32 v5, s6, v0
	s_waitcnt lgkmcnt(0)
	s_lshr_b32 s10, s12, 7
	v_cmp_gt_i32_e32 vcc, s10, v5
	s_and_saveexec_b64 s[0:1], vcc
	s_cbranch_execz .LBB255_9
; %bb.1:
	s_load_dwordx2 s[8:9], s[4:5], 0x10
	v_cmp_lt_i32_e32 vcc, 0, v5
	v_mov_b32_e32 v1, 0
	s_mul_i32 s11, s12, s7
	v_mov_b32_e32 v2, 0
	s_and_saveexec_b64 s[0:1], vcc
	s_cbranch_execz .LBB255_3
; %bb.2:
	s_mul_i32 s2, s10, 0x7f
	s_mul_i32 s3, s12, s7
	s_add_i32 s2, s2, s3
	v_add3_u32 v1, v5, s2, -1
	v_mov_b32_e32 v2, 0
	v_lshlrev_b64 v[1:2], 3, v[1:2]
	s_waitcnt lgkmcnt(0)
	v_mov_b32_e32 v3, s9
	v_add_co_u32_e32 v1, vcc, s8, v1
	v_addc_co_u32_e32 v2, vcc, v3, v2, vcc
	global_load_dwordx2 v[1:2], v[1:2], off
.LBB255_3:
	s_or_b64 exec, exec, s[0:1]
	s_load_dwordx4 s[0:3], s[4:5], 0x18
	v_add_u32_e32 v3, 0x80, v5
	v_cmp_le_u32_e32 vcc, s12, v3
	s_and_saveexec_b64 s[4:5], vcc
	s_xor_b64 s[4:5], exec, s[4:5]
; %bb.4:
                                        ; implicit-def: $vgpr5
; %bb.5:
	s_or_saveexec_b64 s[4:5], s[4:5]
	v_mov_b32_e32 v3, 0
	v_mov_b32_e32 v9, s11
	;; [unrolled: 1-line block ×3, first 2 shown]
	s_xor_b64 exec, exec, s[4:5]
	s_cbranch_execz .LBB255_7
; %bb.6:
	s_ashr_i32 s7, s11, 31
	v_ashrrev_i32_e32 v4, 31, v5
	v_mov_b32_e32 v6, s7
	v_add_co_u32_e32 v3, vcc, s11, v5
	v_addc_co_u32_e32 v4, vcc, v4, v6, vcc
	v_lshlrev_b64 v[3:4], 3, v[3:4]
	s_waitcnt lgkmcnt(0)
	v_mov_b32_e32 v5, s9
	v_add_co_u32_e32 v3, vcc, s8, v3
	v_addc_co_u32_e32 v4, vcc, v5, v4, vcc
	global_load_dwordx2 v[3:4], v[3:4], off offset:8
	v_mov_b32_e32 v9, s11
.LBB255_7:
	s_or_b64 exec, exec, s[4:5]
	s_lshl_b32 s5, s10, 1
	s_mul_i32 s4, s10, 3
	v_add_u32_e32 v7, v0, v9
	v_add_u32_e32 v6, s5, v0
	;; [unrolled: 1-line block ×7, first 2 shown]
	s_movk_i32 s5, 0x7e
	s_waitcnt lgkmcnt(0)
	v_mov_b32_e32 v10, s9
	v_mov_b32_e32 v11, s1
	;; [unrolled: 1-line block ×3, first 2 shown]
.LBB255_8:                              ; =>This Inner Loop Header: Depth=1
	v_add_u32_e32 v15, s6, v9
	v_ashrrev_i32_e32 v16, 31, v15
	v_add_u32_e32 v13, s6, v0
	v_lshlrev_b64 v[15:16], 3, v[15:16]
	v_ashrrev_i32_e32 v14, 31, v13
	v_lshlrev_b64 v[13:14], 3, v[13:14]
	v_add_co_u32_e32 v15, vcc, s8, v15
	v_addc_co_u32_e32 v16, vcc, v10, v16, vcc
	v_add_co_u32_e32 v17, vcc, s0, v13
	v_addc_co_u32_e32 v18, vcc, v11, v14, vcc
	v_add_co_u32_e32 v13, vcc, s2, v13
	global_load_dwordx2 v[17:18], v[17:18], off
	v_addc_co_u32_e32 v14, vcc, v12, v14, vcc
	global_load_dwordx2 v[13:14], v[13:14], off
	s_add_i32 s5, s5, -3
	v_add_u32_e32 v0, s4, v0
	v_add_u32_e32 v9, s4, v9
	s_cmp_lg_u32 s5, 0
	s_waitcnt vmcnt(1)
	v_mul_f32_e64 v19, v2, -v18
	v_fmac_f32_e32 v19, v17, v1
	v_mul_f32_e32 v17, v2, v17
	v_fmac_f32_e32 v17, v18, v1
	s_waitcnt vmcnt(0)
	v_mul_f32_e64 v18, v4, -v14
	v_mul_f32_e32 v20, v4, v13
	v_fmac_f32_e32 v18, v13, v3
	v_fmac_f32_e32 v20, v14, v3
	global_load_dwordx2 v[13:14], v[15:16], off
	s_waitcnt vmcnt(0)
	v_sub_f32_e32 v13, v13, v19
	v_sub_f32_e32 v14, v14, v17
	;; [unrolled: 1-line block ×4, first 2 shown]
	global_store_dwordx2 v[15:16], v[13:14], off
	v_add_u32_e32 v13, s6, v5
	v_ashrrev_i32_e32 v14, 31, v13
	v_add_u32_e32 v17, s6, v6
	v_lshlrev_b64 v[13:14], 3, v[13:14]
	v_ashrrev_i32_e32 v18, 31, v17
	v_lshlrev_b64 v[15:16], 3, v[17:18]
	v_add_co_u32_e32 v13, vcc, s8, v13
	v_addc_co_u32_e32 v14, vcc, v10, v14, vcc
	v_add_co_u32_e32 v17, vcc, s0, v15
	v_addc_co_u32_e32 v18, vcc, v11, v16, vcc
	v_add_co_u32_e32 v15, vcc, s2, v15
	global_load_dwordx2 v[17:18], v[17:18], off
	v_addc_co_u32_e32 v16, vcc, v12, v16, vcc
	global_load_dwordx2 v[15:16], v[15:16], off
	v_add_u32_e32 v5, s4, v5
	v_add_u32_e32 v6, s4, v6
	s_waitcnt vmcnt(1)
	v_mul_f32_e64 v19, v2, -v18
	v_fmac_f32_e32 v19, v17, v1
	v_mul_f32_e32 v17, v2, v17
	v_fmac_f32_e32 v17, v18, v1
	s_waitcnt vmcnt(0)
	v_mul_f32_e64 v18, v4, -v16
	v_mul_f32_e32 v20, v4, v15
	v_fmac_f32_e32 v18, v15, v3
	v_fmac_f32_e32 v20, v16, v3
	global_load_dwordx2 v[15:16], v[13:14], off
	s_waitcnt vmcnt(0)
	v_sub_f32_e32 v15, v15, v19
	v_sub_f32_e32 v16, v16, v17
	;; [unrolled: 1-line block ×4, first 2 shown]
	global_store_dwordx2 v[13:14], v[15:16], off
	v_add_u32_e32 v13, s6, v7
	v_ashrrev_i32_e32 v14, 31, v13
	v_add_u32_e32 v17, s6, v8
	v_lshlrev_b64 v[13:14], 3, v[13:14]
	v_ashrrev_i32_e32 v18, 31, v17
	v_lshlrev_b64 v[15:16], 3, v[17:18]
	v_add_co_u32_e32 v13, vcc, s8, v13
	v_addc_co_u32_e32 v14, vcc, v10, v14, vcc
	v_add_co_u32_e32 v17, vcc, s0, v15
	v_addc_co_u32_e32 v18, vcc, v11, v16, vcc
	v_add_co_u32_e32 v15, vcc, s2, v15
	global_load_dwordx2 v[17:18], v[17:18], off
	v_addc_co_u32_e32 v16, vcc, v12, v16, vcc
	global_load_dwordx2 v[15:16], v[15:16], off
	v_add_u32_e32 v7, s4, v7
	v_add_u32_e32 v8, s4, v8
	s_waitcnt vmcnt(1)
	v_mul_f32_e64 v19, v2, -v18
	v_fmac_f32_e32 v19, v17, v1
	v_mul_f32_e32 v17, v2, v17
	v_fmac_f32_e32 v17, v18, v1
	s_waitcnt vmcnt(0)
	v_mul_f32_e64 v18, v4, -v16
	v_mul_f32_e32 v20, v4, v15
	v_fmac_f32_e32 v18, v15, v3
	v_fmac_f32_e32 v20, v16, v3
	global_load_dwordx2 v[15:16], v[13:14], off
	s_waitcnt vmcnt(0)
	v_sub_f32_e32 v15, v15, v19
	v_sub_f32_e32 v16, v16, v17
	v_sub_f32_e32 v15, v15, v18
	v_sub_f32_e32 v16, v16, v20
	global_store_dwordx2 v[13:14], v[15:16], off
	s_cbranch_scc1 .LBB255_8
.LBB255_9:
	s_endpgm
	.section	.rodata,"a",@progbits
	.p2align	6, 0x0
	.amdhsa_kernel _ZN9rocsparseL39gtsv_spike_backward_substitution_kernelILj256ELj128E21rocsparse_complex_numIfEEEviiiPT1_PKS3_S6_
		.amdhsa_group_segment_fixed_size 0
		.amdhsa_private_segment_fixed_size 0
		.amdhsa_kernarg_size 40
		.amdhsa_user_sgpr_count 6
		.amdhsa_user_sgpr_private_segment_buffer 1
		.amdhsa_user_sgpr_dispatch_ptr 0
		.amdhsa_user_sgpr_queue_ptr 0
		.amdhsa_user_sgpr_kernarg_segment_ptr 1
		.amdhsa_user_sgpr_dispatch_id 0
		.amdhsa_user_sgpr_flat_scratch_init 0
		.amdhsa_user_sgpr_private_segment_size 0
		.amdhsa_uses_dynamic_stack 0
		.amdhsa_system_sgpr_private_segment_wavefront_offset 0
		.amdhsa_system_sgpr_workgroup_id_x 1
		.amdhsa_system_sgpr_workgroup_id_y 1
		.amdhsa_system_sgpr_workgroup_id_z 0
		.amdhsa_system_sgpr_workgroup_info 0
		.amdhsa_system_vgpr_workitem_id 0
		.amdhsa_next_free_vgpr 21
		.amdhsa_next_free_sgpr 13
		.amdhsa_reserve_vcc 1
		.amdhsa_reserve_flat_scratch 0
		.amdhsa_float_round_mode_32 0
		.amdhsa_float_round_mode_16_64 0
		.amdhsa_float_denorm_mode_32 3
		.amdhsa_float_denorm_mode_16_64 3
		.amdhsa_dx10_clamp 1
		.amdhsa_ieee_mode 1
		.amdhsa_fp16_overflow 0
		.amdhsa_exception_fp_ieee_invalid_op 0
		.amdhsa_exception_fp_denorm_src 0
		.amdhsa_exception_fp_ieee_div_zero 0
		.amdhsa_exception_fp_ieee_overflow 0
		.amdhsa_exception_fp_ieee_underflow 0
		.amdhsa_exception_fp_ieee_inexact 0
		.amdhsa_exception_int_div_zero 0
	.end_amdhsa_kernel
	.section	.text._ZN9rocsparseL39gtsv_spike_backward_substitution_kernelILj256ELj128E21rocsparse_complex_numIfEEEviiiPT1_PKS3_S6_,"axG",@progbits,_ZN9rocsparseL39gtsv_spike_backward_substitution_kernelILj256ELj128E21rocsparse_complex_numIfEEEviiiPT1_PKS3_S6_,comdat
.Lfunc_end255:
	.size	_ZN9rocsparseL39gtsv_spike_backward_substitution_kernelILj256ELj128E21rocsparse_complex_numIfEEEviiiPT1_PKS3_S6_, .Lfunc_end255-_ZN9rocsparseL39gtsv_spike_backward_substitution_kernelILj256ELj128E21rocsparse_complex_numIfEEEviiiPT1_PKS3_S6_
                                        ; -- End function
	.set _ZN9rocsparseL39gtsv_spike_backward_substitution_kernelILj256ELj128E21rocsparse_complex_numIfEEEviiiPT1_PKS3_S6_.num_vgpr, 21
	.set _ZN9rocsparseL39gtsv_spike_backward_substitution_kernelILj256ELj128E21rocsparse_complex_numIfEEEviiiPT1_PKS3_S6_.num_agpr, 0
	.set _ZN9rocsparseL39gtsv_spike_backward_substitution_kernelILj256ELj128E21rocsparse_complex_numIfEEEviiiPT1_PKS3_S6_.numbered_sgpr, 13
	.set _ZN9rocsparseL39gtsv_spike_backward_substitution_kernelILj256ELj128E21rocsparse_complex_numIfEEEviiiPT1_PKS3_S6_.num_named_barrier, 0
	.set _ZN9rocsparseL39gtsv_spike_backward_substitution_kernelILj256ELj128E21rocsparse_complex_numIfEEEviiiPT1_PKS3_S6_.private_seg_size, 0
	.set _ZN9rocsparseL39gtsv_spike_backward_substitution_kernelILj256ELj128E21rocsparse_complex_numIfEEEviiiPT1_PKS3_S6_.uses_vcc, 1
	.set _ZN9rocsparseL39gtsv_spike_backward_substitution_kernelILj256ELj128E21rocsparse_complex_numIfEEEviiiPT1_PKS3_S6_.uses_flat_scratch, 0
	.set _ZN9rocsparseL39gtsv_spike_backward_substitution_kernelILj256ELj128E21rocsparse_complex_numIfEEEviiiPT1_PKS3_S6_.has_dyn_sized_stack, 0
	.set _ZN9rocsparseL39gtsv_spike_backward_substitution_kernelILj256ELj128E21rocsparse_complex_numIfEEEviiiPT1_PKS3_S6_.has_recursion, 0
	.set _ZN9rocsparseL39gtsv_spike_backward_substitution_kernelILj256ELj128E21rocsparse_complex_numIfEEEviiiPT1_PKS3_S6_.has_indirect_call, 0
	.section	.AMDGPU.csdata,"",@progbits
; Kernel info:
; codeLenInByte = 808
; TotalNumSgprs: 17
; NumVgprs: 21
; ScratchSize: 0
; MemoryBound: 0
; FloatMode: 240
; IeeeMode: 1
; LDSByteSize: 0 bytes/workgroup (compile time only)
; SGPRBlocks: 2
; VGPRBlocks: 5
; NumSGPRsForWavesPerEU: 17
; NumVGPRsForWavesPerEU: 21
; Occupancy: 10
; WaveLimiterHint : 0
; COMPUTE_PGM_RSRC2:SCRATCH_EN: 0
; COMPUTE_PGM_RSRC2:USER_SGPR: 6
; COMPUTE_PGM_RSRC2:TRAP_HANDLER: 0
; COMPUTE_PGM_RSRC2:TGID_X_EN: 1
; COMPUTE_PGM_RSRC2:TGID_Y_EN: 1
; COMPUTE_PGM_RSRC2:TGID_Z_EN: 0
; COMPUTE_PGM_RSRC2:TIDIG_COMP_CNT: 0
	.section	.text._ZN9rocsparseL32gtsv_transpose_back_array_kernelILj256ELj128E21rocsparse_complex_numIfEEEviiiPKT1_PS3_,"axG",@progbits,_ZN9rocsparseL32gtsv_transpose_back_array_kernelILj256ELj128E21rocsparse_complex_numIfEEEviiiPKT1_PS3_,comdat
	.globl	_ZN9rocsparseL32gtsv_transpose_back_array_kernelILj256ELj128E21rocsparse_complex_numIfEEEviiiPKT1_PS3_ ; -- Begin function _ZN9rocsparseL32gtsv_transpose_back_array_kernelILj256ELj128E21rocsparse_complex_numIfEEEviiiPKT1_PS3_
	.p2align	8
	.type	_ZN9rocsparseL32gtsv_transpose_back_array_kernelILj256ELj128E21rocsparse_complex_numIfEEEviiiPKT1_PS3_,@function
_ZN9rocsparseL32gtsv_transpose_back_array_kernelILj256ELj128E21rocsparse_complex_numIfEEEviiiPKT1_PS3_: ; @_ZN9rocsparseL32gtsv_transpose_back_array_kernelILj256ELj128E21rocsparse_complex_numIfEEEviiiPKT1_PS3_
; %bb.0:
	s_load_dwordx4 s[0:3], s[4:5], 0x0
	s_waitcnt lgkmcnt(0)
	v_cvt_f32_u32_e32 v1, s1
	s_sub_i32 s3, 0, s1
	v_rcp_iflag_f32_e32 v1, v1
	v_mul_f32_e32 v1, 0x4f7ffffe, v1
	v_cvt_u32_f32_e32 v2, v1
	v_mul_lo_u32 v1, s3, v2
	v_mul_hi_u32 v3, v2, v1
	v_lshl_or_b32 v1, s6, 8, v0
	v_lshlrev_b32_e32 v0, 7, v1
	v_add_u32_e32 v2, v2, v3
	v_mul_hi_u32 v2, v0, v2
	v_mul_lo_u32 v3, v2, s1
	v_add_u32_e32 v4, 1, v2
	v_sub_u32_e32 v3, v0, v3
	v_cmp_le_u32_e32 vcc, s1, v3
	v_cndmask_b32_e32 v2, v2, v4, vcc
	v_subrev_u32_e32 v4, s1, v3
	v_cndmask_b32_e32 v3, v3, v4, vcc
	v_add_u32_e32 v4, 1, v2
	v_cmp_le_u32_e32 vcc, s1, v3
	v_cndmask_b32_e32 v2, v2, v4, vcc
	v_mul_lo_u32 v3, v2, s1
	v_sub_u32_e32 v0, v0, v3
	v_add_u32_e32 v0, v2, v0
	v_cmp_gt_i32_e32 vcc, s0, v0
	s_and_saveexec_b64 s[8:9], vcc
	s_cbranch_execz .LBB256_2
; %bb.1:
	s_load_dwordx4 s[8:11], s[4:5], 0x10
	s_mul_i32 s0, s1, s7
	v_add_u32_e32 v1, s0, v1
	v_ashrrev_i32_e32 v2, 31, v1
	v_lshlrev_b64 v[1:2], 3, v[1:2]
	s_waitcnt lgkmcnt(0)
	v_mov_b32_e32 v3, s9
	v_add_co_u32_e32 v1, vcc, s8, v1
	v_addc_co_u32_e32 v2, vcc, v3, v2, vcc
	global_load_dwordx2 v[1:2], v[1:2], off
	s_mul_i32 s0, s2, s7
	v_add_u32_e32 v3, s0, v0
	v_ashrrev_i32_e32 v4, 31, v3
	v_lshlrev_b64 v[3:4], 3, v[3:4]
	v_mov_b32_e32 v0, s11
	v_add_co_u32_e32 v3, vcc, s10, v3
	v_addc_co_u32_e32 v4, vcc, v0, v4, vcc
	s_waitcnt vmcnt(0)
	global_store_dwordx2 v[3:4], v[1:2], off
.LBB256_2:
	s_endpgm
	.section	.rodata,"a",@progbits
	.p2align	6, 0x0
	.amdhsa_kernel _ZN9rocsparseL32gtsv_transpose_back_array_kernelILj256ELj128E21rocsparse_complex_numIfEEEviiiPKT1_PS3_
		.amdhsa_group_segment_fixed_size 0
		.amdhsa_private_segment_fixed_size 0
		.amdhsa_kernarg_size 32
		.amdhsa_user_sgpr_count 6
		.amdhsa_user_sgpr_private_segment_buffer 1
		.amdhsa_user_sgpr_dispatch_ptr 0
		.amdhsa_user_sgpr_queue_ptr 0
		.amdhsa_user_sgpr_kernarg_segment_ptr 1
		.amdhsa_user_sgpr_dispatch_id 0
		.amdhsa_user_sgpr_flat_scratch_init 0
		.amdhsa_user_sgpr_private_segment_size 0
		.amdhsa_uses_dynamic_stack 0
		.amdhsa_system_sgpr_private_segment_wavefront_offset 0
		.amdhsa_system_sgpr_workgroup_id_x 1
		.amdhsa_system_sgpr_workgroup_id_y 1
		.amdhsa_system_sgpr_workgroup_id_z 0
		.amdhsa_system_sgpr_workgroup_info 0
		.amdhsa_system_vgpr_workitem_id 0
		.amdhsa_next_free_vgpr 5
		.amdhsa_next_free_sgpr 12
		.amdhsa_reserve_vcc 1
		.amdhsa_reserve_flat_scratch 0
		.amdhsa_float_round_mode_32 0
		.amdhsa_float_round_mode_16_64 0
		.amdhsa_float_denorm_mode_32 3
		.amdhsa_float_denorm_mode_16_64 3
		.amdhsa_dx10_clamp 1
		.amdhsa_ieee_mode 1
		.amdhsa_fp16_overflow 0
		.amdhsa_exception_fp_ieee_invalid_op 0
		.amdhsa_exception_fp_denorm_src 0
		.amdhsa_exception_fp_ieee_div_zero 0
		.amdhsa_exception_fp_ieee_overflow 0
		.amdhsa_exception_fp_ieee_underflow 0
		.amdhsa_exception_fp_ieee_inexact 0
		.amdhsa_exception_int_div_zero 0
	.end_amdhsa_kernel
	.section	.text._ZN9rocsparseL32gtsv_transpose_back_array_kernelILj256ELj128E21rocsparse_complex_numIfEEEviiiPKT1_PS3_,"axG",@progbits,_ZN9rocsparseL32gtsv_transpose_back_array_kernelILj256ELj128E21rocsparse_complex_numIfEEEviiiPKT1_PS3_,comdat
.Lfunc_end256:
	.size	_ZN9rocsparseL32gtsv_transpose_back_array_kernelILj256ELj128E21rocsparse_complex_numIfEEEviiiPKT1_PS3_, .Lfunc_end256-_ZN9rocsparseL32gtsv_transpose_back_array_kernelILj256ELj128E21rocsparse_complex_numIfEEEviiiPKT1_PS3_
                                        ; -- End function
	.set _ZN9rocsparseL32gtsv_transpose_back_array_kernelILj256ELj128E21rocsparse_complex_numIfEEEviiiPKT1_PS3_.num_vgpr, 5
	.set _ZN9rocsparseL32gtsv_transpose_back_array_kernelILj256ELj128E21rocsparse_complex_numIfEEEviiiPKT1_PS3_.num_agpr, 0
	.set _ZN9rocsparseL32gtsv_transpose_back_array_kernelILj256ELj128E21rocsparse_complex_numIfEEEviiiPKT1_PS3_.numbered_sgpr, 12
	.set _ZN9rocsparseL32gtsv_transpose_back_array_kernelILj256ELj128E21rocsparse_complex_numIfEEEviiiPKT1_PS3_.num_named_barrier, 0
	.set _ZN9rocsparseL32gtsv_transpose_back_array_kernelILj256ELj128E21rocsparse_complex_numIfEEEviiiPKT1_PS3_.private_seg_size, 0
	.set _ZN9rocsparseL32gtsv_transpose_back_array_kernelILj256ELj128E21rocsparse_complex_numIfEEEviiiPKT1_PS3_.uses_vcc, 1
	.set _ZN9rocsparseL32gtsv_transpose_back_array_kernelILj256ELj128E21rocsparse_complex_numIfEEEviiiPKT1_PS3_.uses_flat_scratch, 0
	.set _ZN9rocsparseL32gtsv_transpose_back_array_kernelILj256ELj128E21rocsparse_complex_numIfEEEviiiPKT1_PS3_.has_dyn_sized_stack, 0
	.set _ZN9rocsparseL32gtsv_transpose_back_array_kernelILj256ELj128E21rocsparse_complex_numIfEEEviiiPKT1_PS3_.has_recursion, 0
	.set _ZN9rocsparseL32gtsv_transpose_back_array_kernelILj256ELj128E21rocsparse_complex_numIfEEEviiiPKT1_PS3_.has_indirect_call, 0
	.section	.AMDGPU.csdata,"",@progbits
; Kernel info:
; codeLenInByte = 248
; TotalNumSgprs: 16
; NumVgprs: 5
; ScratchSize: 0
; MemoryBound: 0
; FloatMode: 240
; IeeeMode: 1
; LDSByteSize: 0 bytes/workgroup (compile time only)
; SGPRBlocks: 1
; VGPRBlocks: 1
; NumSGPRsForWavesPerEU: 16
; NumVGPRsForWavesPerEU: 5
; Occupancy: 10
; WaveLimiterHint : 0
; COMPUTE_PGM_RSRC2:SCRATCH_EN: 0
; COMPUTE_PGM_RSRC2:USER_SGPR: 6
; COMPUTE_PGM_RSRC2:TRAP_HANDLER: 0
; COMPUTE_PGM_RSRC2:TGID_X_EN: 1
; COMPUTE_PGM_RSRC2:TGID_Y_EN: 1
; COMPUTE_PGM_RSRC2:TGID_Z_EN: 0
; COMPUTE_PGM_RSRC2:TIDIG_COMP_CNT: 0
	.section	.text._ZN9rocsparseL42gtsv_transpose_and_pad_array_shared_kernelILj256ELj256E21rocsparse_complex_numIfEEEviiiPKT1_PS3_S3_,"axG",@progbits,_ZN9rocsparseL42gtsv_transpose_and_pad_array_shared_kernelILj256ELj256E21rocsparse_complex_numIfEEEviiiPKT1_PS3_S3_,comdat
	.globl	_ZN9rocsparseL42gtsv_transpose_and_pad_array_shared_kernelILj256ELj256E21rocsparse_complex_numIfEEEviiiPKT1_PS3_S3_ ; -- Begin function _ZN9rocsparseL42gtsv_transpose_and_pad_array_shared_kernelILj256ELj256E21rocsparse_complex_numIfEEEviiiPKT1_PS3_S3_
	.p2align	8
	.type	_ZN9rocsparseL42gtsv_transpose_and_pad_array_shared_kernelILj256ELj256E21rocsparse_complex_numIfEEEviiiPKT1_PS3_S3_,@function
_ZN9rocsparseL42gtsv_transpose_and_pad_array_shared_kernelILj256ELj256E21rocsparse_complex_numIfEEEviiiPKT1_PS3_S3_: ; @_ZN9rocsparseL42gtsv_transpose_and_pad_array_shared_kernelILj256ELj256E21rocsparse_complex_numIfEEEviiiPKT1_PS3_S3_
; %bb.0:
	s_load_dwordx4 s[0:3], s[4:5], 0x0
	v_lshl_or_b32 v3, s6, 8, v0
                                        ; implicit-def: $sgpr10_sgpr11
	s_waitcnt lgkmcnt(0)
	v_cmp_le_i32_e32 vcc, s0, v3
	s_and_saveexec_b64 s[8:9], vcc
	s_xor_b64 s[8:9], exec, s[8:9]
; %bb.1:
	s_load_dwordx2 s[10:11], s[4:5], 0x20
                                        ; implicit-def: $vgpr3
; %bb.2:
	s_or_saveexec_b64 s[8:9], s[8:9]
	s_waitcnt lgkmcnt(0)
	v_mov_b32_e32 v1, s10
	v_mov_b32_e32 v2, s11
	s_xor_b64 exec, exec, s[8:9]
	s_cbranch_execz .LBB257_4
; %bb.3:
	s_load_dwordx2 s[10:11], s[4:5], 0x10
	s_mul_i32 s0, s2, s7
	v_add_u32_e32 v1, s0, v3
	v_ashrrev_i32_e32 v2, 31, v1
	v_lshlrev_b64 v[1:2], 3, v[1:2]
	s_waitcnt lgkmcnt(0)
	v_mov_b32_e32 v3, s11
	v_add_co_u32_e32 v1, vcc, s10, v1
	v_addc_co_u32_e32 v2, vcc, v3, v2, vcc
	global_load_dwordx2 v[1:2], v[1:2], off
.LBB257_4:
	s_or_b64 exec, exec, s[8:9]
	v_lshlrev_b32_e32 v3, 3, v0
	s_waitcnt vmcnt(0)
	ds_write_b64 v3, v[1:2]
	s_lshr_b32 s0, s1, 8
	v_mov_b32_e32 v1, s6
	v_mad_u32_u24 v0, s0, v0, v1
	v_cmp_gt_i32_e32 vcc, s1, v0
	s_waitcnt lgkmcnt(0)
	s_barrier
	s_and_saveexec_b64 s[2:3], vcc
	s_cbranch_execz .LBB257_6
; %bb.5:
	s_load_dwordx2 s[2:3], s[4:5], 0x18
	s_mul_i32 s0, s1, s7
	v_add_u32_e32 v0, s0, v0
	v_ashrrev_i32_e32 v1, 31, v0
	ds_read_b64 v[2:3], v3
	v_lshlrev_b64 v[0:1], 3, v[0:1]
	s_waitcnt lgkmcnt(0)
	v_mov_b32_e32 v4, s3
	v_add_co_u32_e32 v0, vcc, s2, v0
	v_addc_co_u32_e32 v1, vcc, v4, v1, vcc
	global_store_dwordx2 v[0:1], v[2:3], off
.LBB257_6:
	s_endpgm
	.section	.rodata,"a",@progbits
	.p2align	6, 0x0
	.amdhsa_kernel _ZN9rocsparseL42gtsv_transpose_and_pad_array_shared_kernelILj256ELj256E21rocsparse_complex_numIfEEEviiiPKT1_PS3_S3_
		.amdhsa_group_segment_fixed_size 2048
		.amdhsa_private_segment_fixed_size 0
		.amdhsa_kernarg_size 40
		.amdhsa_user_sgpr_count 6
		.amdhsa_user_sgpr_private_segment_buffer 1
		.amdhsa_user_sgpr_dispatch_ptr 0
		.amdhsa_user_sgpr_queue_ptr 0
		.amdhsa_user_sgpr_kernarg_segment_ptr 1
		.amdhsa_user_sgpr_dispatch_id 0
		.amdhsa_user_sgpr_flat_scratch_init 0
		.amdhsa_user_sgpr_private_segment_size 0
		.amdhsa_uses_dynamic_stack 0
		.amdhsa_system_sgpr_private_segment_wavefront_offset 0
		.amdhsa_system_sgpr_workgroup_id_x 1
		.amdhsa_system_sgpr_workgroup_id_y 1
		.amdhsa_system_sgpr_workgroup_id_z 0
		.amdhsa_system_sgpr_workgroup_info 0
		.amdhsa_system_vgpr_workitem_id 0
		.amdhsa_next_free_vgpr 5
		.amdhsa_next_free_sgpr 12
		.amdhsa_reserve_vcc 1
		.amdhsa_reserve_flat_scratch 0
		.amdhsa_float_round_mode_32 0
		.amdhsa_float_round_mode_16_64 0
		.amdhsa_float_denorm_mode_32 3
		.amdhsa_float_denorm_mode_16_64 3
		.amdhsa_dx10_clamp 1
		.amdhsa_ieee_mode 1
		.amdhsa_fp16_overflow 0
		.amdhsa_exception_fp_ieee_invalid_op 0
		.amdhsa_exception_fp_denorm_src 0
		.amdhsa_exception_fp_ieee_div_zero 0
		.amdhsa_exception_fp_ieee_overflow 0
		.amdhsa_exception_fp_ieee_underflow 0
		.amdhsa_exception_fp_ieee_inexact 0
		.amdhsa_exception_int_div_zero 0
	.end_amdhsa_kernel
	.section	.text._ZN9rocsparseL42gtsv_transpose_and_pad_array_shared_kernelILj256ELj256E21rocsparse_complex_numIfEEEviiiPKT1_PS3_S3_,"axG",@progbits,_ZN9rocsparseL42gtsv_transpose_and_pad_array_shared_kernelILj256ELj256E21rocsparse_complex_numIfEEEviiiPKT1_PS3_S3_,comdat
.Lfunc_end257:
	.size	_ZN9rocsparseL42gtsv_transpose_and_pad_array_shared_kernelILj256ELj256E21rocsparse_complex_numIfEEEviiiPKT1_PS3_S3_, .Lfunc_end257-_ZN9rocsparseL42gtsv_transpose_and_pad_array_shared_kernelILj256ELj256E21rocsparse_complex_numIfEEEviiiPKT1_PS3_S3_
                                        ; -- End function
	.set _ZN9rocsparseL42gtsv_transpose_and_pad_array_shared_kernelILj256ELj256E21rocsparse_complex_numIfEEEviiiPKT1_PS3_S3_.num_vgpr, 5
	.set _ZN9rocsparseL42gtsv_transpose_and_pad_array_shared_kernelILj256ELj256E21rocsparse_complex_numIfEEEviiiPKT1_PS3_S3_.num_agpr, 0
	.set _ZN9rocsparseL42gtsv_transpose_and_pad_array_shared_kernelILj256ELj256E21rocsparse_complex_numIfEEEviiiPKT1_PS3_S3_.numbered_sgpr, 12
	.set _ZN9rocsparseL42gtsv_transpose_and_pad_array_shared_kernelILj256ELj256E21rocsparse_complex_numIfEEEviiiPKT1_PS3_S3_.num_named_barrier, 0
	.set _ZN9rocsparseL42gtsv_transpose_and_pad_array_shared_kernelILj256ELj256E21rocsparse_complex_numIfEEEviiiPKT1_PS3_S3_.private_seg_size, 0
	.set _ZN9rocsparseL42gtsv_transpose_and_pad_array_shared_kernelILj256ELj256E21rocsparse_complex_numIfEEEviiiPKT1_PS3_S3_.uses_vcc, 1
	.set _ZN9rocsparseL42gtsv_transpose_and_pad_array_shared_kernelILj256ELj256E21rocsparse_complex_numIfEEEviiiPKT1_PS3_S3_.uses_flat_scratch, 0
	.set _ZN9rocsparseL42gtsv_transpose_and_pad_array_shared_kernelILj256ELj256E21rocsparse_complex_numIfEEEviiiPKT1_PS3_S3_.has_dyn_sized_stack, 0
	.set _ZN9rocsparseL42gtsv_transpose_and_pad_array_shared_kernelILj256ELj256E21rocsparse_complex_numIfEEEviiiPKT1_PS3_S3_.has_recursion, 0
	.set _ZN9rocsparseL42gtsv_transpose_and_pad_array_shared_kernelILj256ELj256E21rocsparse_complex_numIfEEEviiiPKT1_PS3_S3_.has_indirect_call, 0
	.section	.AMDGPU.csdata,"",@progbits
; Kernel info:
; codeLenInByte = 236
; TotalNumSgprs: 16
; NumVgprs: 5
; ScratchSize: 0
; MemoryBound: 0
; FloatMode: 240
; IeeeMode: 1
; LDSByteSize: 2048 bytes/workgroup (compile time only)
; SGPRBlocks: 1
; VGPRBlocks: 1
; NumSGPRsForWavesPerEU: 16
; NumVGPRsForWavesPerEU: 5
; Occupancy: 10
; WaveLimiterHint : 0
; COMPUTE_PGM_RSRC2:SCRATCH_EN: 0
; COMPUTE_PGM_RSRC2:USER_SGPR: 6
; COMPUTE_PGM_RSRC2:TRAP_HANDLER: 0
; COMPUTE_PGM_RSRC2:TGID_X_EN: 1
; COMPUTE_PGM_RSRC2:TGID_Y_EN: 1
; COMPUTE_PGM_RSRC2:TGID_Z_EN: 0
; COMPUTE_PGM_RSRC2:TIDIG_COMP_CNT: 0
	.section	.text._ZN9rocsparseL18gtsv_LBM_wv_kernelILj256ELj256E21rocsparse_complex_numIfEEEviiiPKT1_S5_S5_PS3_S6_S6_Pi,"axG",@progbits,_ZN9rocsparseL18gtsv_LBM_wv_kernelILj256ELj256E21rocsparse_complex_numIfEEEviiiPKT1_S5_S5_PS3_S6_S6_Pi,comdat
	.globl	_ZN9rocsparseL18gtsv_LBM_wv_kernelILj256ELj256E21rocsparse_complex_numIfEEEviiiPKT1_S5_S5_PS3_S6_S6_Pi ; -- Begin function _ZN9rocsparseL18gtsv_LBM_wv_kernelILj256ELj256E21rocsparse_complex_numIfEEEviiiPKT1_S5_S5_PS3_S6_S6_Pi
	.p2align	8
	.type	_ZN9rocsparseL18gtsv_LBM_wv_kernelILj256ELj256E21rocsparse_complex_numIfEEEviiiPKT1_S5_S5_PS3_S6_S6_Pi,@function
_ZN9rocsparseL18gtsv_LBM_wv_kernelILj256ELj256E21rocsparse_complex_numIfEEEviiiPKT1_S5_S5_PS3_S6_S6_Pi: ; @_ZN9rocsparseL18gtsv_LBM_wv_kernelILj256ELj256E21rocsparse_complex_numIfEEEviiiPKT1_S5_S5_PS3_S6_S6_Pi
; %bb.0:
	s_load_dword s29, s[4:5], 0x0
	v_lshl_or_b32 v0, s6, 8, v0
	s_waitcnt lgkmcnt(0)
	s_lshr_b32 s28, s29, 8
	v_cmp_gt_i32_e32 vcc, s28, v0
	s_and_saveexec_b64 s[0:1], vcc
	s_cbranch_execz .LBB258_72
; %bb.1:
	s_load_dwordx2 s[16:17], s[4:5], 0x10
	s_load_dwordx8 s[8:15], s[4:5], 0x20
	v_ashrrev_i32_e32 v1, 31, v0
	v_lshlrev_b64 v[4:5], 3, v[0:1]
	s_mul_i32 s30, s28, 0xff
	s_waitcnt lgkmcnt(0)
	v_mov_b32_e32 v2, s17
	v_add_co_u32_e32 v1, vcc, s16, v4
	v_addc_co_u32_e32 v2, vcc, v2, v5, vcc
	global_load_dwordx2 v[6:7], v[1:2], off
	v_add_u32_e32 v2, s30, v0
	v_mov_b32_e32 v3, 0
	v_lshlrev_b64 v[8:9], 3, v[2:3]
	v_mov_b32_e32 v2, s9
	v_add_co_u32_e32 v1, vcc, s8, v8
	v_addc_co_u32_e32 v2, vcc, v2, v9, vcc
	global_load_dwordx2 v[10:11], v[1:2], off
	s_load_dwordx2 s[6:7], s[4:5], 0x40
	v_mov_b32_e32 v2, s11
	v_add_co_u32_e32 v1, vcc, s10, v4
	v_addc_co_u32_e32 v2, vcc, v2, v5, vcc
	s_cmp_lt_i32 s29, 1
	v_add_u32_e32 v35, s28, v0
	v_mov_b32_e32 v12, s13
	v_add_co_u32_e32 v8, vcc, s12, v8
	v_addc_co_u32_e32 v9, vcc, v12, v9, vcc
	s_waitcnt vmcnt(1)
	global_store_dwordx2 v[1:2], v[6:7], off
	s_waitcnt vmcnt(1)
	global_store_dwordx2 v[8:9], v[10:11], off
	s_cbranch_scc1 .LBB258_65
; %bb.2:
	s_load_dwordx2 s[18:19], s[4:5], 0x18
	s_mov_b32 s22, 0x372fe950
	s_mul_i32 s31, s28, 0xfe
	s_lshl_b32 s33, s28, 1
	v_add_u32_e32 v36, s28, v35
	s_waitcnt lgkmcnt(0)
	v_mov_b32_e32 v6, s19
	v_add_co_u32_e32 v3, vcc, s18, v4
	v_addc_co_u32_e32 v4, vcc, v6, v5, vcc
	global_load_dwordx2 v[7:8], v[3:4], off
	v_mov_b32_e32 v3, 0
	s_mov_b64 s[20:21], 0
	s_mov_b32 s34, 0xf800000
	v_mov_b32_e32 v37, 0x260
	s_mov_b32 s23, 0x3fe3c6ef
	v_mov_b32_e32 v38, 2
	v_mov_b32_e32 v39, 1
	s_branch .LBB258_5
.LBB258_3:                              ;   in Loop: Header=BB258_5 Depth=1
	s_or_b64 exec, exec, s[4:5]
	v_mul_f32_e64 v5, v7, -v25
	v_mul_f32_e32 v6, v7, v24
	v_fmac_f32_e32 v5, v24, v4
	v_fmac_f32_e32 v6, v25, v4
	v_sub_f32_e32 v7, v19, v5
	v_sub_f32_e32 v8, v20, v6
	v_mov_b32_e32 v4, s28
.LBB258_4:                              ;   in Loop: Header=BB258_5 Depth=1
	s_or_b64 exec, exec, s[2:3]
	v_add_u32_e32 v3, v4, v3
	v_cmp_le_i32_e32 vcc, s29, v3
	s_or_b64 s[20:21], vcc, s[20:21]
	s_andn2_b64 exec, exec, s[20:21]
	s_cbranch_execz .LBB258_64
.LBB258_5:                              ; =>This Inner Loop Header: Depth=1
	v_add_u32_e32 v11, v3, v0
	v_ashrrev_i32_e32 v12, 31, v11
	v_lshlrev_b64 v[15:16], 3, v[11:12]
	v_mov_b32_e32 v5, s9
	v_add_co_u32_e32 v4, vcc, s8, v15
	v_addc_co_u32_e32 v5, vcc, v5, v16, vcc
	global_load_dwordx2 v[13:14], v[4:5], off
	v_cmp_gt_u32_e64 s[0:1], s30, v3
	v_mov_b32_e32 v5, 0
	v_mov_b32_e32 v6, 0
	s_and_saveexec_b64 s[2:3], s[0:1]
	s_cbranch_execz .LBB258_7
; %bb.6:                                ;   in Loop: Header=BB258_5 Depth=1
	v_add_u32_e32 v4, v35, v3
	v_ashrrev_i32_e32 v5, 31, v4
	v_lshlrev_b64 v[4:5], 3, v[4:5]
	v_mov_b32_e32 v6, s17
	v_add_co_u32_e32 v4, vcc, s16, v4
	v_addc_co_u32_e32 v5, vcc, v6, v5, vcc
	global_load_dwordx2 v[5:6], v[4:5], off
.LBB258_7:                              ;   in Loop: Header=BB258_5 Depth=1
	s_or_b64 exec, exec, s[2:3]
	v_mov_b32_e32 v9, 0
	v_mov_b32_e32 v19, 0
	;; [unrolled: 1-line block ×3, first 2 shown]
	s_and_saveexec_b64 s[2:3], s[0:1]
	s_cbranch_execz .LBB258_9
; %bb.8:                                ;   in Loop: Header=BB258_5 Depth=1
	v_add_u32_e32 v17, v35, v3
	v_ashrrev_i32_e32 v18, 31, v17
	v_lshlrev_b64 v[17:18], 3, v[17:18]
	v_mov_b32_e32 v4, s19
	v_add_co_u32_e32 v17, vcc, s18, v17
	v_addc_co_u32_e32 v18, vcc, v4, v18, vcc
	global_load_dwordx2 v[19:20], v[17:18], off
.LBB258_9:                              ;   in Loop: Header=BB258_5 Depth=1
	s_or_b64 exec, exec, s[2:3]
	v_mov_b32_e32 v10, 0
	s_and_saveexec_b64 s[2:3], s[0:1]
	s_cbranch_execz .LBB258_11
; %bb.10:                               ;   in Loop: Header=BB258_5 Depth=1
	v_add_u32_e32 v9, v35, v3
	v_ashrrev_i32_e32 v10, 31, v9
	v_lshlrev_b64 v[9:10], 3, v[9:10]
	v_mov_b32_e32 v4, s9
	v_add_co_u32_e32 v9, vcc, s8, v9
	v_addc_co_u32_e32 v10, vcc, v4, v10, vcc
	global_load_dwordx2 v[9:10], v[9:10], off
.LBB258_11:                             ;   in Loop: Header=BB258_5 Depth=1
	s_or_b64 exec, exec, s[2:3]
	v_cmp_gt_u32_e64 s[2:3], s31, v3
	v_mov_b32_e32 v17, 0
	v_mov_b32_e32 v18, 0
	s_and_saveexec_b64 s[4:5], s[2:3]
	s_cbranch_execz .LBB258_13
; %bb.12:                               ;   in Loop: Header=BB258_5 Depth=1
	v_add_u32_e32 v17, v36, v3
	v_ashrrev_i32_e32 v18, 31, v17
	v_lshlrev_b64 v[17:18], 3, v[17:18]
	v_mov_b32_e32 v4, s17
	v_add_co_u32_e32 v17, vcc, s16, v17
	v_addc_co_u32_e32 v18, vcc, v4, v18, vcc
	global_load_dwordx2 v[17:18], v[17:18], off
.LBB258_13:                             ;   in Loop: Header=BB258_5 Depth=1
	s_or_b64 exec, exec, s[4:5]
	s_waitcnt vmcnt(0)
	v_cmp_gt_f32_e32 vcc, 0, v5
	v_cndmask_b32_e64 v21, v5, -v5, vcc
	v_cmp_gt_f32_e32 vcc, 0, v6
	v_cndmask_b32_e64 v22, v6, -v6, vcc
	v_cmp_ngt_f32_e32 vcc, v21, v22
                                        ; implicit-def: $vgpr4
	s_and_saveexec_b64 s[4:5], vcc
	s_xor_b64 s[24:25], exec, s[4:5]
	s_cbranch_execz .LBB258_17
; %bb.14:                               ;   in Loop: Header=BB258_5 Depth=1
	v_mov_b32_e32 v4, 0
	v_cmp_neq_f32_e32 vcc, 0, v6
	s_and_saveexec_b64 s[26:27], vcc
	s_cbranch_execz .LBB258_16
; %bb.15:                               ;   in Loop: Header=BB258_5 Depth=1
	v_div_scale_f32 v4, s[4:5], v22, v22, v21
	v_div_scale_f32 v23, vcc, v21, v22, v21
	v_rcp_f32_e32 v24, v4
	v_fma_f32 v25, -v4, v24, 1.0
	v_fmac_f32_e32 v24, v25, v24
	v_mul_f32_e32 v25, v23, v24
	v_fma_f32 v26, -v4, v25, v23
	v_fmac_f32_e32 v25, v26, v24
	v_fma_f32 v4, -v4, v25, v23
	v_div_fmas_f32 v4, v4, v24, v25
	v_div_fixup_f32 v4, v4, v22, v21
	v_fma_f32 v4, v4, v4, 1.0
	v_mul_f32_e32 v21, 0x4f800000, v4
	v_cmp_gt_f32_e32 vcc, s34, v4
	v_cndmask_b32_e32 v4, v4, v21, vcc
	v_sqrt_f32_e32 v21, v4
	v_add_u32_e32 v23, -1, v21
	v_add_u32_e32 v24, 1, v21
	v_fma_f32 v25, -v23, v21, v4
	v_fma_f32 v26, -v24, v21, v4
	v_cmp_ge_f32_e64 s[4:5], 0, v25
	v_cndmask_b32_e64 v21, v21, v23, s[4:5]
	v_cmp_lt_f32_e64 s[4:5], 0, v26
	v_cndmask_b32_e64 v21, v21, v24, s[4:5]
	v_mul_f32_e32 v23, 0x37800000, v21
	v_cndmask_b32_e32 v21, v21, v23, vcc
	v_cmp_class_f32_e32 vcc, v4, v37
	v_cndmask_b32_e32 v4, v21, v4, vcc
	v_mul_f32_e32 v4, v22, v4
.LBB258_16:                             ;   in Loop: Header=BB258_5 Depth=1
	s_or_b64 exec, exec, s[26:27]
                                        ; implicit-def: $vgpr21
                                        ; implicit-def: $vgpr22
.LBB258_17:                             ;   in Loop: Header=BB258_5 Depth=1
	s_andn2_saveexec_b64 s[24:25], s[24:25]
	s_cbranch_execz .LBB258_19
; %bb.18:                               ;   in Loop: Header=BB258_5 Depth=1
	v_div_scale_f32 v4, s[4:5], v21, v21, v22
	v_div_scale_f32 v23, vcc, v22, v21, v22
	v_rcp_f32_e32 v24, v4
	v_fma_f32 v25, -v4, v24, 1.0
	v_fmac_f32_e32 v24, v25, v24
	v_mul_f32_e32 v25, v23, v24
	v_fma_f32 v26, -v4, v25, v23
	v_fmac_f32_e32 v25, v26, v24
	v_fma_f32 v4, -v4, v25, v23
	v_div_fmas_f32 v4, v4, v24, v25
	v_div_fixup_f32 v4, v4, v21, v22
	v_fma_f32 v4, v4, v4, 1.0
	v_mul_f32_e32 v22, 0x4f800000, v4
	v_cmp_gt_f32_e32 vcc, s34, v4
	v_cndmask_b32_e32 v4, v4, v22, vcc
	v_sqrt_f32_e32 v22, v4
	v_add_u32_e32 v23, -1, v22
	v_add_u32_e32 v24, 1, v22
	v_fma_f32 v25, -v23, v22, v4
	v_fma_f32 v26, -v24, v22, v4
	v_cmp_ge_f32_e64 s[4:5], 0, v25
	v_cndmask_b32_e64 v22, v22, v23, s[4:5]
	v_cmp_lt_f32_e64 s[4:5], 0, v26
	v_cndmask_b32_e64 v22, v22, v24, s[4:5]
	v_mul_f32_e32 v23, 0x37800000, v22
	v_cndmask_b32_e32 v22, v22, v23, vcc
	v_cmp_class_f32_e32 vcc, v4, v37
	v_cndmask_b32_e32 v4, v22, v4, vcc
	v_mul_f32_e32 v4, v21, v4
.LBB258_19:                             ;   in Loop: Header=BB258_5 Depth=1
	s_or_b64 exec, exec, s[24:25]
	v_cmp_gt_f32_e32 vcc, 0, v17
	v_cndmask_b32_e64 v22, v17, -v17, vcc
	v_cmp_gt_f32_e32 vcc, 0, v18
	v_cndmask_b32_e64 v23, v18, -v18, vcc
	v_cmp_ngt_f32_e32 vcc, v22, v23
                                        ; implicit-def: $vgpr21
	s_and_saveexec_b64 s[4:5], vcc
	s_xor_b64 s[24:25], exec, s[4:5]
	s_cbranch_execz .LBB258_23
; %bb.20:                               ;   in Loop: Header=BB258_5 Depth=1
	v_mov_b32_e32 v21, 0
	v_cmp_neq_f32_e32 vcc, 0, v18
	s_and_saveexec_b64 s[26:27], vcc
	s_cbranch_execz .LBB258_22
; %bb.21:                               ;   in Loop: Header=BB258_5 Depth=1
	v_div_scale_f32 v21, s[4:5], v23, v23, v22
	v_div_scale_f32 v24, vcc, v22, v23, v22
	v_rcp_f32_e32 v25, v21
	v_fma_f32 v26, -v21, v25, 1.0
	v_fmac_f32_e32 v25, v26, v25
	v_mul_f32_e32 v26, v24, v25
	v_fma_f32 v27, -v21, v26, v24
	v_fmac_f32_e32 v26, v27, v25
	v_fma_f32 v21, -v21, v26, v24
	v_div_fmas_f32 v21, v21, v25, v26
	v_div_fixup_f32 v21, v21, v23, v22
	v_fma_f32 v21, v21, v21, 1.0
	v_mul_f32_e32 v22, 0x4f800000, v21
	v_cmp_gt_f32_e32 vcc, s34, v21
	v_cndmask_b32_e32 v21, v21, v22, vcc
	v_sqrt_f32_e32 v22, v21
	v_add_u32_e32 v24, -1, v22
	v_add_u32_e32 v25, 1, v22
	v_fma_f32 v26, -v24, v22, v21
	v_fma_f32 v27, -v25, v22, v21
	v_cmp_ge_f32_e64 s[4:5], 0, v26
	v_cndmask_b32_e64 v22, v22, v24, s[4:5]
	v_cmp_lt_f32_e64 s[4:5], 0, v27
	v_cndmask_b32_e64 v22, v22, v25, s[4:5]
	v_mul_f32_e32 v24, 0x37800000, v22
	v_cndmask_b32_e32 v22, v22, v24, vcc
	v_cmp_class_f32_e32 vcc, v21, v37
	v_cndmask_b32_e32 v21, v22, v21, vcc
	v_mul_f32_e32 v21, v23, v21
.LBB258_22:                             ;   in Loop: Header=BB258_5 Depth=1
	s_or_b64 exec, exec, s[26:27]
                                        ; implicit-def: $vgpr22
                                        ; implicit-def: $vgpr23
.LBB258_23:                             ;   in Loop: Header=BB258_5 Depth=1
	s_andn2_saveexec_b64 s[24:25], s[24:25]
	s_cbranch_execz .LBB258_25
; %bb.24:                               ;   in Loop: Header=BB258_5 Depth=1
	v_div_scale_f32 v21, s[4:5], v22, v22, v23
	v_div_scale_f32 v24, vcc, v23, v22, v23
	v_rcp_f32_e32 v25, v21
	v_fma_f32 v26, -v21, v25, 1.0
	v_fmac_f32_e32 v25, v26, v25
	v_mul_f32_e32 v26, v24, v25
	v_fma_f32 v27, -v21, v26, v24
	v_fmac_f32_e32 v26, v27, v25
	v_fma_f32 v21, -v21, v26, v24
	v_div_fmas_f32 v21, v21, v25, v26
	v_div_fixup_f32 v21, v21, v22, v23
	v_fma_f32 v21, v21, v21, 1.0
	v_mul_f32_e32 v23, 0x4f800000, v21
	v_cmp_gt_f32_e32 vcc, s34, v21
	v_cndmask_b32_e32 v21, v21, v23, vcc
	v_sqrt_f32_e32 v23, v21
	v_add_u32_e32 v24, -1, v23
	v_add_u32_e32 v25, 1, v23
	v_fma_f32 v26, -v24, v23, v21
	v_fma_f32 v27, -v25, v23, v21
	v_cmp_ge_f32_e64 s[4:5], 0, v26
	v_cndmask_b32_e64 v23, v23, v24, s[4:5]
	v_cmp_lt_f32_e64 s[4:5], 0, v27
	v_cndmask_b32_e64 v23, v23, v25, s[4:5]
	v_mul_f32_e32 v24, 0x37800000, v23
	v_cndmask_b32_e32 v23, v23, v24, vcc
	v_cmp_class_f32_e32 vcc, v21, v37
	v_cndmask_b32_e32 v21, v23, v21, vcc
	v_mul_f32_e32 v21, v22, v21
.LBB258_25:                             ;   in Loop: Header=BB258_5 Depth=1
	s_or_b64 exec, exec, s[24:25]
	v_cmp_gt_f32_e32 vcc, 0, v19
	v_cndmask_b32_e64 v23, v19, -v19, vcc
	v_cmp_gt_f32_e32 vcc, 0, v20
	v_cndmask_b32_e64 v24, v20, -v20, vcc
	v_cmp_ngt_f32_e32 vcc, v23, v24
                                        ; implicit-def: $vgpr22
	s_and_saveexec_b64 s[4:5], vcc
	s_xor_b64 s[24:25], exec, s[4:5]
	s_cbranch_execz .LBB258_29
; %bb.26:                               ;   in Loop: Header=BB258_5 Depth=1
	v_mov_b32_e32 v22, 0
	v_cmp_neq_f32_e32 vcc, 0, v20
	s_and_saveexec_b64 s[26:27], vcc
	s_cbranch_execz .LBB258_28
; %bb.27:                               ;   in Loop: Header=BB258_5 Depth=1
	v_div_scale_f32 v22, s[4:5], v24, v24, v23
	v_div_scale_f32 v25, vcc, v23, v24, v23
	v_rcp_f32_e32 v26, v22
	v_fma_f32 v27, -v22, v26, 1.0
	v_fmac_f32_e32 v26, v27, v26
	v_mul_f32_e32 v27, v25, v26
	v_fma_f32 v28, -v22, v27, v25
	v_fmac_f32_e32 v27, v28, v26
	v_fma_f32 v22, -v22, v27, v25
	v_div_fmas_f32 v22, v22, v26, v27
	v_div_fixup_f32 v22, v22, v24, v23
	v_fma_f32 v22, v22, v22, 1.0
	v_mul_f32_e32 v23, 0x4f800000, v22
	v_cmp_gt_f32_e32 vcc, s34, v22
	v_cndmask_b32_e32 v22, v22, v23, vcc
	v_sqrt_f32_e32 v23, v22
	v_add_u32_e32 v25, -1, v23
	v_add_u32_e32 v26, 1, v23
	v_fma_f32 v27, -v25, v23, v22
	v_fma_f32 v28, -v26, v23, v22
	v_cmp_ge_f32_e64 s[4:5], 0, v27
	v_cndmask_b32_e64 v23, v23, v25, s[4:5]
	v_cmp_lt_f32_e64 s[4:5], 0, v28
	v_cndmask_b32_e64 v23, v23, v26, s[4:5]
	v_mul_f32_e32 v25, 0x37800000, v23
	v_cndmask_b32_e32 v23, v23, v25, vcc
	v_cmp_class_f32_e32 vcc, v22, v37
	v_cndmask_b32_e32 v22, v23, v22, vcc
	v_mul_f32_e32 v22, v24, v22
.LBB258_28:                             ;   in Loop: Header=BB258_5 Depth=1
	s_or_b64 exec, exec, s[26:27]
                                        ; implicit-def: $vgpr23
                                        ; implicit-def: $vgpr24
.LBB258_29:                             ;   in Loop: Header=BB258_5 Depth=1
	s_andn2_saveexec_b64 s[24:25], s[24:25]
	s_cbranch_execz .LBB258_31
; %bb.30:                               ;   in Loop: Header=BB258_5 Depth=1
	v_div_scale_f32 v22, s[4:5], v23, v23, v24
	v_div_scale_f32 v25, vcc, v24, v23, v24
	v_rcp_f32_e32 v26, v22
	v_fma_f32 v27, -v22, v26, 1.0
	v_fmac_f32_e32 v26, v27, v26
	v_mul_f32_e32 v27, v25, v26
	v_fma_f32 v28, -v22, v27, v25
	v_fmac_f32_e32 v27, v28, v26
	v_fma_f32 v22, -v22, v27, v25
	v_div_fmas_f32 v22, v22, v26, v27
	v_div_fixup_f32 v22, v22, v23, v24
	v_fma_f32 v22, v22, v22, 1.0
	v_mul_f32_e32 v24, 0x4f800000, v22
	v_cmp_gt_f32_e32 vcc, s34, v22
	v_cndmask_b32_e32 v22, v22, v24, vcc
	v_sqrt_f32_e32 v24, v22
	v_add_u32_e32 v25, -1, v24
	v_add_u32_e32 v26, 1, v24
	v_fma_f32 v27, -v25, v24, v22
	v_fma_f32 v28, -v26, v24, v22
	v_cmp_ge_f32_e64 s[4:5], 0, v27
	v_cndmask_b32_e64 v24, v24, v25, s[4:5]
	v_cmp_lt_f32_e64 s[4:5], 0, v28
	v_cndmask_b32_e64 v24, v24, v26, s[4:5]
	v_mul_f32_e32 v25, 0x37800000, v24
	v_cndmask_b32_e32 v24, v24, v25, vcc
	v_cmp_class_f32_e32 vcc, v22, v37
	v_cndmask_b32_e32 v22, v24, v22, vcc
	v_mul_f32_e32 v22, v23, v22
.LBB258_31:                             ;   in Loop: Header=BB258_5 Depth=1
	s_or_b64 exec, exec, s[24:25]
	v_cmp_gt_f32_e32 vcc, 0, v13
	v_cndmask_b32_e64 v24, v13, -v13, vcc
	v_cmp_gt_f32_e32 vcc, 0, v14
	v_cndmask_b32_e64 v25, v14, -v14, vcc
	v_cmp_ngt_f32_e32 vcc, v24, v25
                                        ; implicit-def: $vgpr23
	s_and_saveexec_b64 s[4:5], vcc
	s_xor_b64 s[24:25], exec, s[4:5]
	s_cbranch_execz .LBB258_35
; %bb.32:                               ;   in Loop: Header=BB258_5 Depth=1
	v_mov_b32_e32 v23, 0
	v_cmp_neq_f32_e32 vcc, 0, v14
	s_and_saveexec_b64 s[26:27], vcc
	s_cbranch_execz .LBB258_34
; %bb.33:                               ;   in Loop: Header=BB258_5 Depth=1
	v_div_scale_f32 v23, s[4:5], v25, v25, v24
	v_div_scale_f32 v26, vcc, v24, v25, v24
	v_rcp_f32_e32 v27, v23
	v_fma_f32 v28, -v23, v27, 1.0
	v_fmac_f32_e32 v27, v28, v27
	v_mul_f32_e32 v28, v26, v27
	v_fma_f32 v29, -v23, v28, v26
	v_fmac_f32_e32 v28, v29, v27
	v_fma_f32 v23, -v23, v28, v26
	v_div_fmas_f32 v23, v23, v27, v28
	v_div_fixup_f32 v23, v23, v25, v24
	v_fma_f32 v23, v23, v23, 1.0
	v_mul_f32_e32 v24, 0x4f800000, v23
	v_cmp_gt_f32_e32 vcc, s34, v23
	v_cndmask_b32_e32 v23, v23, v24, vcc
	v_sqrt_f32_e32 v24, v23
	v_add_u32_e32 v26, -1, v24
	v_add_u32_e32 v27, 1, v24
	v_fma_f32 v28, -v26, v24, v23
	v_fma_f32 v29, -v27, v24, v23
	v_cmp_ge_f32_e64 s[4:5], 0, v28
	v_cndmask_b32_e64 v24, v24, v26, s[4:5]
	v_cmp_lt_f32_e64 s[4:5], 0, v29
	v_cndmask_b32_e64 v24, v24, v27, s[4:5]
	v_mul_f32_e32 v26, 0x37800000, v24
	v_cndmask_b32_e32 v24, v24, v26, vcc
	v_cmp_class_f32_e32 vcc, v23, v37
	v_cndmask_b32_e32 v23, v24, v23, vcc
	v_mul_f32_e32 v23, v25, v23
.LBB258_34:                             ;   in Loop: Header=BB258_5 Depth=1
	s_or_b64 exec, exec, s[26:27]
                                        ; implicit-def: $vgpr24
                                        ; implicit-def: $vgpr25
.LBB258_35:                             ;   in Loop: Header=BB258_5 Depth=1
	s_andn2_saveexec_b64 s[24:25], s[24:25]
	s_cbranch_execz .LBB258_37
; %bb.36:                               ;   in Loop: Header=BB258_5 Depth=1
	v_div_scale_f32 v23, s[4:5], v24, v24, v25
	v_div_scale_f32 v26, vcc, v25, v24, v25
	v_rcp_f32_e32 v27, v23
	v_fma_f32 v28, -v23, v27, 1.0
	v_fmac_f32_e32 v27, v28, v27
	v_mul_f32_e32 v28, v26, v27
	v_fma_f32 v29, -v23, v28, v26
	v_fmac_f32_e32 v28, v29, v27
	v_fma_f32 v23, -v23, v28, v26
	v_div_fmas_f32 v23, v23, v27, v28
	v_div_fixup_f32 v23, v23, v24, v25
	v_fma_f32 v23, v23, v23, 1.0
	v_mul_f32_e32 v25, 0x4f800000, v23
	v_cmp_gt_f32_e32 vcc, s34, v23
	v_cndmask_b32_e32 v23, v23, v25, vcc
	v_sqrt_f32_e32 v25, v23
	v_add_u32_e32 v26, -1, v25
	v_add_u32_e32 v27, 1, v25
	v_fma_f32 v28, -v26, v25, v23
	v_fma_f32 v29, -v27, v25, v23
	v_cmp_ge_f32_e64 s[4:5], 0, v28
	v_cndmask_b32_e64 v25, v25, v26, s[4:5]
	v_cmp_lt_f32_e64 s[4:5], 0, v29
	v_cndmask_b32_e64 v25, v25, v27, s[4:5]
	v_mul_f32_e32 v26, 0x37800000, v25
	v_cndmask_b32_e32 v25, v25, v26, vcc
	v_cmp_class_f32_e32 vcc, v23, v37
	v_cndmask_b32_e32 v23, v25, v23, vcc
	v_mul_f32_e32 v23, v24, v23
.LBB258_37:                             ;   in Loop: Header=BB258_5 Depth=1
	s_or_b64 exec, exec, s[24:25]
	v_cmp_gt_f32_e32 vcc, 0, v9
	v_cndmask_b32_e64 v24, v9, -v9, vcc
	v_cmp_gt_f32_e32 vcc, 0, v10
	v_cndmask_b32_e64 v25, v10, -v10, vcc
	v_cmp_ngt_f32_e32 vcc, v24, v25
                                        ; implicit-def: $vgpr26
	s_and_saveexec_b64 s[4:5], vcc
	s_xor_b64 s[24:25], exec, s[4:5]
	s_cbranch_execz .LBB258_41
; %bb.38:                               ;   in Loop: Header=BB258_5 Depth=1
	v_mov_b32_e32 v26, 0
	v_cmp_neq_f32_e32 vcc, 0, v10
	s_and_saveexec_b64 s[26:27], vcc
	s_cbranch_execz .LBB258_40
; %bb.39:                               ;   in Loop: Header=BB258_5 Depth=1
	v_div_scale_f32 v26, s[4:5], v25, v25, v24
	v_div_scale_f32 v27, vcc, v24, v25, v24
	v_rcp_f32_e32 v28, v26
	v_fma_f32 v29, -v26, v28, 1.0
	v_fmac_f32_e32 v28, v29, v28
	v_mul_f32_e32 v29, v27, v28
	v_fma_f32 v30, -v26, v29, v27
	v_fmac_f32_e32 v29, v30, v28
	v_fma_f32 v26, -v26, v29, v27
	v_div_fmas_f32 v26, v26, v28, v29
	v_div_fixup_f32 v24, v26, v25, v24
	v_fma_f32 v24, v24, v24, 1.0
	v_mul_f32_e32 v26, 0x4f800000, v24
	v_cmp_gt_f32_e32 vcc, s34, v24
	v_cndmask_b32_e32 v24, v24, v26, vcc
	v_sqrt_f32_e32 v26, v24
	v_add_u32_e32 v27, -1, v26
	v_add_u32_e32 v28, 1, v26
	v_fma_f32 v29, -v27, v26, v24
	v_fma_f32 v30, -v28, v26, v24
	v_cmp_ge_f32_e64 s[4:5], 0, v29
	v_cndmask_b32_e64 v26, v26, v27, s[4:5]
	v_cmp_lt_f32_e64 s[4:5], 0, v30
	v_cndmask_b32_e64 v26, v26, v28, s[4:5]
	v_mul_f32_e32 v27, 0x37800000, v26
	v_cndmask_b32_e32 v26, v26, v27, vcc
	v_cmp_class_f32_e32 vcc, v24, v37
	v_cndmask_b32_e32 v24, v26, v24, vcc
	v_mul_f32_e32 v26, v25, v24
.LBB258_40:                             ;   in Loop: Header=BB258_5 Depth=1
	s_or_b64 exec, exec, s[26:27]
                                        ; implicit-def: $vgpr24
                                        ; implicit-def: $vgpr25
.LBB258_41:                             ;   in Loop: Header=BB258_5 Depth=1
	s_andn2_saveexec_b64 s[24:25], s[24:25]
	s_cbranch_execz .LBB258_43
; %bb.42:                               ;   in Loop: Header=BB258_5 Depth=1
	v_div_scale_f32 v26, s[4:5], v24, v24, v25
	v_div_scale_f32 v27, vcc, v25, v24, v25
	v_rcp_f32_e32 v28, v26
	v_fma_f32 v29, -v26, v28, 1.0
	v_fmac_f32_e32 v28, v29, v28
	v_mul_f32_e32 v29, v27, v28
	v_fma_f32 v30, -v26, v29, v27
	v_fmac_f32_e32 v29, v30, v28
	v_fma_f32 v26, -v26, v29, v27
	v_div_fmas_f32 v26, v26, v28, v29
	v_div_fixup_f32 v25, v26, v24, v25
	v_fma_f32 v25, v25, v25, 1.0
	v_mul_f32_e32 v26, 0x4f800000, v25
	v_cmp_gt_f32_e32 vcc, s34, v25
	v_cndmask_b32_e32 v25, v25, v26, vcc
	v_sqrt_f32_e32 v26, v25
	v_add_u32_e32 v27, -1, v26
	v_add_u32_e32 v28, 1, v26
	v_fma_f32 v29, -v27, v26, v25
	v_fma_f32 v30, -v28, v26, v25
	v_cmp_ge_f32_e64 s[4:5], 0, v29
	v_cndmask_b32_e64 v26, v26, v27, s[4:5]
	v_cmp_lt_f32_e64 s[4:5], 0, v30
	v_cndmask_b32_e64 v26, v26, v28, s[4:5]
	v_mul_f32_e32 v27, 0x37800000, v26
	v_cndmask_b32_e32 v26, v26, v27, vcc
	v_cmp_class_f32_e32 vcc, v25, v37
	v_cndmask_b32_e32 v25, v26, v25, vcc
	v_mul_f32_e32 v26, v24, v25
.LBB258_43:                             ;   in Loop: Header=BB258_5 Depth=1
	s_or_b64 exec, exec, s[24:25]
	v_cmp_gt_f32_e32 vcc, 0, v7
	v_cndmask_b32_e64 v24, v7, -v7, vcc
	v_cmp_gt_f32_e32 vcc, 0, v8
	v_cndmask_b32_e64 v25, v8, -v8, vcc
	v_cmp_ngt_f32_e32 vcc, v24, v25
                                        ; implicit-def: $vgpr27
	s_and_saveexec_b64 s[4:5], vcc
	s_xor_b64 s[24:25], exec, s[4:5]
	s_cbranch_execz .LBB258_47
; %bb.44:                               ;   in Loop: Header=BB258_5 Depth=1
	v_mov_b32_e32 v27, 0
	v_cmp_neq_f32_e32 vcc, 0, v8
	s_and_saveexec_b64 s[26:27], vcc
	s_cbranch_execz .LBB258_46
; %bb.45:                               ;   in Loop: Header=BB258_5 Depth=1
	v_div_scale_f32 v27, s[4:5], v25, v25, v24
	v_div_scale_f32 v28, vcc, v24, v25, v24
	v_rcp_f32_e32 v29, v27
	v_fma_f32 v30, -v27, v29, 1.0
	v_fmac_f32_e32 v29, v30, v29
	v_mul_f32_e32 v30, v28, v29
	v_fma_f32 v31, -v27, v30, v28
	v_fmac_f32_e32 v30, v31, v29
	v_fma_f32 v27, -v27, v30, v28
	v_div_fmas_f32 v27, v27, v29, v30
	v_div_fixup_f32 v24, v27, v25, v24
	v_fma_f32 v24, v24, v24, 1.0
	v_mul_f32_e32 v27, 0x4f800000, v24
	v_cmp_gt_f32_e32 vcc, s34, v24
	v_cndmask_b32_e32 v24, v24, v27, vcc
	v_sqrt_f32_e32 v27, v24
	v_add_u32_e32 v28, -1, v27
	v_add_u32_e32 v29, 1, v27
	v_fma_f32 v30, -v28, v27, v24
	v_fma_f32 v31, -v29, v27, v24
	v_cmp_ge_f32_e64 s[4:5], 0, v30
	v_cndmask_b32_e64 v27, v27, v28, s[4:5]
	v_cmp_lt_f32_e64 s[4:5], 0, v31
	v_cndmask_b32_e64 v27, v27, v29, s[4:5]
	v_mul_f32_e32 v28, 0x37800000, v27
	v_cndmask_b32_e32 v27, v27, v28, vcc
	v_cmp_class_f32_e32 vcc, v24, v37
	v_cndmask_b32_e32 v24, v27, v24, vcc
	v_mul_f32_e32 v27, v25, v24
.LBB258_46:                             ;   in Loop: Header=BB258_5 Depth=1
	s_or_b64 exec, exec, s[26:27]
                                        ; implicit-def: $vgpr24
                                        ; implicit-def: $vgpr25
.LBB258_47:                             ;   in Loop: Header=BB258_5 Depth=1
	s_andn2_saveexec_b64 s[24:25], s[24:25]
	s_cbranch_execz .LBB258_49
; %bb.48:                               ;   in Loop: Header=BB258_5 Depth=1
	v_div_scale_f32 v27, s[4:5], v24, v24, v25
	v_div_scale_f32 v28, vcc, v25, v24, v25
	v_rcp_f32_e32 v29, v27
	v_fma_f32 v30, -v27, v29, 1.0
	v_fmac_f32_e32 v29, v30, v29
	v_mul_f32_e32 v30, v28, v29
	v_fma_f32 v31, -v27, v30, v28
	v_fmac_f32_e32 v30, v31, v29
	v_fma_f32 v27, -v27, v30, v28
	v_div_fmas_f32 v27, v27, v29, v30
	v_div_fixup_f32 v25, v27, v24, v25
	v_fma_f32 v25, v25, v25, 1.0
	v_mul_f32_e32 v27, 0x4f800000, v25
	v_cmp_gt_f32_e32 vcc, s34, v25
	v_cndmask_b32_e32 v25, v25, v27, vcc
	v_sqrt_f32_e32 v27, v25
	v_add_u32_e32 v28, -1, v27
	v_add_u32_e32 v29, 1, v27
	v_fma_f32 v30, -v28, v27, v25
	v_fma_f32 v31, -v29, v27, v25
	v_cmp_ge_f32_e64 s[4:5], 0, v30
	v_cndmask_b32_e64 v27, v27, v28, s[4:5]
	v_cmp_lt_f32_e64 s[4:5], 0, v31
	v_cndmask_b32_e64 v27, v27, v29, s[4:5]
	v_mul_f32_e32 v28, 0x37800000, v27
	v_cndmask_b32_e32 v27, v27, v28, vcc
	v_cmp_class_f32_e32 vcc, v25, v37
	v_cndmask_b32_e32 v25, v27, v25, vcc
	v_mul_f32_e32 v27, v24, v25
.LBB258_49:                             ;   in Loop: Header=BB258_5 Depth=1
	s_or_b64 exec, exec, s[24:25]
	v_mul_f32_e64 v24, v14, -v6
	v_fmac_f32_e32 v24, v5, v13
	v_mul_f32_e32 v25, v5, v14
	v_fmac_f32_e32 v25, v6, v13
	v_cmp_gt_f32_e32 vcc, 0, v24
	v_cndmask_b32_e64 v28, v24, -v24, vcc
	v_cmp_gt_f32_e32 vcc, 0, v25
	v_cndmask_b32_e64 v29, v25, -v25, vcc
	v_cmp_ngt_f32_e32 vcc, v28, v29
                                        ; implicit-def: $vgpr30
	s_and_saveexec_b64 s[4:5], vcc
	s_xor_b64 s[24:25], exec, s[4:5]
	s_cbranch_execz .LBB258_53
; %bb.50:                               ;   in Loop: Header=BB258_5 Depth=1
	v_mov_b32_e32 v30, 0
	v_cmp_neq_f32_e32 vcc, 0, v25
	s_and_saveexec_b64 s[26:27], vcc
	s_cbranch_execz .LBB258_52
; %bb.51:                               ;   in Loop: Header=BB258_5 Depth=1
	v_div_scale_f32 v30, s[4:5], v29, v29, v28
	v_div_scale_f32 v31, vcc, v28, v29, v28
	v_rcp_f32_e32 v32, v30
	v_fma_f32 v33, -v30, v32, 1.0
	v_fmac_f32_e32 v32, v33, v32
	v_mul_f32_e32 v33, v31, v32
	v_fma_f32 v34, -v30, v33, v31
	v_fmac_f32_e32 v33, v34, v32
	v_fma_f32 v30, -v30, v33, v31
	v_div_fmas_f32 v30, v30, v32, v33
	v_div_fixup_f32 v28, v30, v29, v28
	v_fma_f32 v28, v28, v28, 1.0
	v_mul_f32_e32 v30, 0x4f800000, v28
	v_cmp_gt_f32_e32 vcc, s34, v28
	v_cndmask_b32_e32 v28, v28, v30, vcc
	v_sqrt_f32_e32 v30, v28
	v_add_u32_e32 v31, -1, v30
	v_add_u32_e32 v32, 1, v30
	v_fma_f32 v33, -v31, v30, v28
	v_fma_f32 v34, -v32, v30, v28
	v_cmp_ge_f32_e64 s[4:5], 0, v33
	v_cndmask_b32_e64 v30, v30, v31, s[4:5]
	v_cmp_lt_f32_e64 s[4:5], 0, v34
	v_cndmask_b32_e64 v30, v30, v32, s[4:5]
	v_mul_f32_e32 v31, 0x37800000, v30
	v_cndmask_b32_e32 v30, v30, v31, vcc
	v_cmp_class_f32_e32 vcc, v28, v37
	v_cndmask_b32_e32 v28, v30, v28, vcc
	v_mul_f32_e32 v30, v29, v28
.LBB258_52:                             ;   in Loop: Header=BB258_5 Depth=1
	s_or_b64 exec, exec, s[26:27]
                                        ; implicit-def: $vgpr28
                                        ; implicit-def: $vgpr29
.LBB258_53:                             ;   in Loop: Header=BB258_5 Depth=1
	s_andn2_saveexec_b64 s[24:25], s[24:25]
	s_cbranch_execz .LBB258_55
; %bb.54:                               ;   in Loop: Header=BB258_5 Depth=1
	v_div_scale_f32 v30, s[4:5], v28, v28, v29
	v_div_scale_f32 v31, vcc, v29, v28, v29
	v_rcp_f32_e32 v32, v30
	v_fma_f32 v33, -v30, v32, 1.0
	v_fmac_f32_e32 v32, v33, v32
	v_mul_f32_e32 v33, v31, v32
	v_fma_f32 v34, -v30, v33, v31
	v_fmac_f32_e32 v33, v34, v32
	v_fma_f32 v30, -v30, v33, v31
	v_div_fmas_f32 v30, v30, v32, v33
	v_div_fixup_f32 v29, v30, v28, v29
	v_fma_f32 v29, v29, v29, 1.0
	v_mul_f32_e32 v30, 0x4f800000, v29
	v_cmp_gt_f32_e32 vcc, s34, v29
	v_cndmask_b32_e32 v29, v29, v30, vcc
	v_sqrt_f32_e32 v30, v29
	v_add_u32_e32 v31, -1, v30
	v_add_u32_e32 v32, 1, v30
	v_fma_f32 v33, -v31, v30, v29
	v_fma_f32 v34, -v32, v30, v29
	v_cmp_ge_f32_e64 s[4:5], 0, v33
	v_cndmask_b32_e64 v30, v30, v31, s[4:5]
	v_cmp_lt_f32_e64 s[4:5], 0, v34
	v_cndmask_b32_e64 v30, v30, v32, s[4:5]
	v_mul_f32_e32 v31, 0x37800000, v30
	v_cndmask_b32_e32 v30, v30, v31, vcc
	v_cmp_class_f32_e32 vcc, v29, v37
	v_cndmask_b32_e32 v29, v30, v29, vcc
	v_mul_f32_e32 v30, v28, v29
.LBB258_55:                             ;   in Loop: Header=BB258_5 Depth=1
	s_or_b64 exec, exec, s[24:25]
	v_cmp_lt_f32_e32 vcc, v4, v21
	v_cndmask_b32_e32 v4, v4, v21, vcc
	v_cmp_lt_f32_e32 vcc, v22, v4
	v_cndmask_b32_e32 v4, v22, v4, vcc
	;; [unrolled: 2-line block ×4, first 2 shown]
	v_cvt_f64_f32_e32 v[21:22], v4
	v_cvt_f64_f32_e32 v[26:27], v27
	;; [unrolled: 1-line block ×3, first 2 shown]
	v_cmp_ne_u32_e64 s[4:5], s30, v3
	v_mul_f64 v[21:22], v[21:22], v[26:27]
	v_mul_f64 v[26:27], v[28:29], s[22:23]
	v_cmp_nge_f64_e32 vcc, v[21:22], v[26:27]
	s_and_b64 s[4:5], s[4:5], vcc
	s_and_saveexec_b64 s[24:25], s[4:5]
	s_xor_b64 s[4:5], exec, s[24:25]
	s_cbranch_execz .LBB258_61
; %bb.56:                               ;   in Loop: Header=BB258_5 Depth=1
	v_mul_f32_e64 v4, v20, -v8
	v_mul_f32_e32 v21, v7, v20
	v_fmac_f32_e32 v4, v7, v19
	v_fmac_f32_e32 v21, v8, v19
	v_sub_f32_e32 v23, v4, v24
	v_sub_f32_e32 v24, v21, v25
	v_mul_f32_e32 v33, v24, v24
	v_fmac_f32_e32 v33, v23, v23
	v_div_scale_f32 v21, s[24:25], v33, v33, 1.0
	v_div_scale_f32 v22, vcc, 1.0, v33, 1.0
	v_ashrrev_i32_e32 v4, 31, v3
	v_mov_b32_e32 v30, s11
	v_lshlrev_b64 v[11:12], 2, v[11:12]
	v_rcp_f32_e32 v25, v21
	v_fma_f32 v26, -v21, v25, 1.0
	v_fmac_f32_e32 v25, v26, v25
	v_mul_f32_e32 v26, v22, v25
	v_fma_f32 v27, -v21, v26, v22
	v_fmac_f32_e32 v26, v27, v25
	v_fma_f32 v21, -v21, v26, v22
	v_div_fmas_f32 v34, v21, v25, v26
	v_add_u32_e32 v25, v35, v3
	v_lshlrev_b64 v[21:22], 3, v[3:4]
	v_ashrrev_i32_e32 v26, 31, v25
	v_add_co_u32_e32 v31, vcc, v1, v21
	v_lshlrev_b64 v[27:28], 3, v[25:26]
	v_addc_co_u32_e32 v32, vcc, v2, v22, vcc
	v_add_co_u32_e32 v29, vcc, s10, v27
	v_fma_f32 v4, 0, v24, v23
	v_fma_f32 v23, v23, 0, -v24
	v_addc_co_u32_e32 v30, vcc, v30, v28, vcc
	v_div_fixup_f32 v21, v34, v33, 1.0
	v_mul_f32_e32 v4, v4, v21
	v_mul_f32_e32 v40, v23, v21
	global_load_dwordx2 v[21:22], v[31:32], off
	global_load_dwordx2 v[23:24], v[29:30], off
	s_waitcnt vmcnt(1)
	v_mul_f32_e64 v33, v22, -v20
	s_waitcnt vmcnt(0)
	v_mul_f32_e64 v34, v24, -v14
	v_fmac_f32_e32 v33, v19, v21
	v_fmac_f32_e32 v34, v13, v23
	v_sub_f32_e32 v41, v33, v34
	v_mul_f32_e32 v33, v19, v22
	v_mul_f32_e32 v34, v24, v13
	v_fmac_f32_e32 v33, v20, v21
	v_fmac_f32_e32 v34, v14, v23
	v_sub_f32_e32 v42, v33, v34
	v_mul_f32_e64 v33, v40, -v42
	v_mul_f32_e32 v34, v40, v41
	v_fmac_f32_e32 v33, v41, v4
	v_fmac_f32_e32 v34, v42, v4
	global_store_dwordx2 v[31:32], v[33:34], off
	v_mov_b32_e32 v31, s13
	v_add_co_u32_e32 v41, vcc, s12, v15
	v_addc_co_u32_e32 v42, vcc, v31, v16, vcc
	global_load_dwordx2 v[31:32], v[41:42], off
	s_waitcnt vmcnt(0)
	v_mul_f32_e64 v43, v32, -v20
	v_mul_f32_e32 v44, v19, v32
	v_fmac_f32_e32 v43, v19, v31
	v_fmac_f32_e32 v44, v20, v31
	v_mov_b32_e32 v20, s13
	v_add_co_u32_e32 v19, vcc, s12, v27
	v_addc_co_u32_e32 v20, vcc, v20, v28, vcc
	global_load_dwordx2 v[33:34], v[19:20], off
	v_add_co_u32_e32 v15, vcc, s14, v15
	s_waitcnt vmcnt(0)
	v_mul_f32_e64 v45, v34, -v14
	v_fmac_f32_e32 v45, v13, v33
	v_sub_f32_e32 v45, v43, v45
	v_mul_f32_e32 v43, v34, v13
	v_fmac_f32_e32 v43, v14, v33
	v_sub_f32_e32 v46, v44, v43
	v_mul_f32_e64 v43, v40, -v46
	v_mul_f32_e32 v44, v40, v45
	v_fmac_f32_e32 v43, v45, v4
	v_fmac_f32_e32 v44, v46, v4
	global_store_dwordx2 v[41:42], v[43:44], off
	v_mov_b32_e32 v41, s15
	v_addc_co_u32_e32 v16, vcc, v41, v16, vcc
	v_mul_f32_e32 v41, v10, v14
	v_fma_f32 v41, -v13, v9, v41
	v_mul_f32_e64 v13, v10, -v13
	v_fma_f32 v42, -v14, v9, v13
	v_mul_f32_e64 v13, v40, -v42
	v_mul_f32_e32 v14, v40, v41
	v_fmac_f32_e32 v13, v41, v4
	v_fmac_f32_e32 v14, v42, v4
	global_store_dwordx2 v[15:16], v[13:14], off
	v_mov_b32_e32 v13, s7
	v_add_co_u32_e32 v11, vcc, s6, v11
	v_addc_co_u32_e32 v12, vcc, v13, v12, vcc
	global_store_dword v[11:12], v38, off
	s_and_saveexec_b64 s[24:25], s[0:1]
	s_cbranch_execz .LBB258_58
; %bb.57:                               ;   in Loop: Header=BB258_5 Depth=1
	v_mul_f32_e32 v11, v6, v22
	v_mul_f32_e64 v12, v22, -v5
	v_mul_f32_e64 v13, v24, -v8
	v_mul_f32_e32 v14, v7, v24
	v_fma_f32 v11, -v5, v21, v11
	v_fma_f32 v12, -v6, v21, v12
	v_fmac_f32_e32 v13, v7, v23
	v_fmac_f32_e32 v14, v8, v23
	v_add_f32_e32 v13, v11, v13
	v_add_f32_e32 v14, v12, v14
	v_mul_f32_e64 v11, v40, -v14
	v_mul_f32_e32 v12, v40, v13
	v_fmac_f32_e32 v11, v13, v4
	v_fmac_f32_e32 v12, v14, v4
	global_store_dwordx2 v[29:30], v[11:12], off
	v_mul_f32_e32 v11, v6, v32
	v_mul_f32_e64 v12, v32, -v5
	v_mul_f32_e64 v13, v34, -v8
	v_mul_f32_e32 v14, v7, v34
	v_fma_f32 v11, -v5, v31, v11
	v_fma_f32 v12, -v6, v31, v12
	v_fmac_f32_e32 v13, v7, v33
	v_fmac_f32_e32 v14, v8, v33
	v_add_f32_e32 v13, v11, v13
	v_add_f32_e32 v14, v12, v14
	v_mul_f32_e64 v11, v40, -v14
	v_mul_f32_e32 v12, v40, v13
	v_fmac_f32_e32 v11, v13, v4
	v_fmac_f32_e32 v12, v14, v4
	v_mul_f32_e32 v13, v7, v10
	global_store_dwordx2 v[19:20], v[11:12], off
	v_mul_f32_e64 v12, v10, -v8
	v_fmac_f32_e32 v13, v8, v9
	v_fmac_f32_e32 v12, v7, v9
	v_mul_f32_e64 v11, v40, -v13
	v_fmac_f32_e32 v11, v12, v4
	v_mul_f32_e32 v12, v40, v12
	v_fmac_f32_e32 v12, v13, v4
	v_mov_b32_e32 v14, s15
	v_add_co_u32_e32 v13, vcc, s14, v27
	v_addc_co_u32_e32 v14, vcc, v14, v28, vcc
	global_store_dwordx2 v[13:14], v[11:12], off
	v_lshlrev_b64 v[11:12], 2, v[25:26]
	v_mov_b32_e32 v13, s7
	v_add_co_u32_e32 v11, vcc, s6, v11
	v_addc_co_u32_e32 v12, vcc, v13, v12, vcc
	global_store_dword v[11:12], v38, off
.LBB258_58:                             ;   in Loop: Header=BB258_5 Depth=1
	s_or_b64 exec, exec, s[24:25]
	v_mov_b32_e32 v12, 0
	v_mov_b32_e32 v11, 0
	s_and_saveexec_b64 s[24:25], s[2:3]
	s_cbranch_execz .LBB258_60
; %bb.59:                               ;   in Loop: Header=BB258_5 Depth=1
	v_add_u32_e32 v11, v36, v3
	v_ashrrev_i32_e32 v12, 31, v11
	v_lshlrev_b64 v[11:12], 3, v[11:12]
	v_mov_b32_e32 v14, s11
	v_add_co_u32_e32 v13, vcc, s10, v11
	v_addc_co_u32_e32 v14, vcc, v14, v12, vcc
	v_mov_b32_e32 v19, s19
	v_add_co_u32_e32 v11, vcc, s18, v11
	v_addc_co_u32_e32 v12, vcc, v19, v12, vcc
	global_load_dwordx2 v[15:16], v[13:14], off
	v_mul_f32_e32 v19, v6, v18
	global_load_dwordx2 v[11:12], v[11:12], off
	v_mul_f32_e64 v20, v18, -v5
	v_mul_f32_e64 v25, v18, -v8
	v_mul_f32_e32 v26, v7, v18
	v_mul_f32_e64 v27, v8, -v18
	v_mul_f32_e32 v28, v8, v17
	v_fma_f32 v5, -v5, v17, v19
	v_fma_f32 v6, -v6, v17, v20
	v_fmac_f32_e32 v25, v7, v17
	v_fmac_f32_e32 v26, v8, v17
	;; [unrolled: 1-line block ×4, first 2 shown]
	v_mul_f32_e64 v7, v40, -v6
	v_mul_f32_e32 v8, v40, v5
	v_mul_f32_e64 v17, v40, -v26
	v_mul_f32_e32 v18, v40, v25
	;; [unrolled: 2-line block ×3, first 2 shown]
	v_fmac_f32_e32 v7, v5, v4
	v_fmac_f32_e32 v8, v6, v4
	;; [unrolled: 1-line block ×6, first 2 shown]
	v_mul_f32_e32 v5, v8, v22
	v_mul_f32_e64 v6, v22, -v7
	v_mul_f32_e64 v9, v24, -v18
	v_mul_f32_e32 v20, v17, v24
	v_mul_f32_e64 v22, v40, -v10
	v_mul_f32_e32 v24, v40, v19
	v_fma_f32 v5, -v7, v21, v5
	v_fma_f32 v6, -v8, v21, v6
	v_fmac_f32_e32 v9, v17, v23
	v_fmac_f32_e32 v20, v18, v23
	;; [unrolled: 1-line block ×4, first 2 shown]
	v_sub_f32_e32 v4, v5, v9
	v_sub_f32_e32 v5, v6, v20
	s_waitcnt vmcnt(1)
	v_add_f32_e32 v4, v4, v15
	v_add_f32_e32 v5, v5, v16
	s_waitcnt vmcnt(0)
	v_sub_f32_e32 v11, v11, v22
	v_sub_f32_e32 v12, v12, v24
	global_store_dwordx2 v[13:14], v[4:5], off
.LBB258_60:                             ;   in Loop: Header=BB258_5 Depth=1
	s_or_b64 exec, exec, s[24:25]
	v_mov_b32_e32 v8, v12
	v_mov_b32_e32 v7, v11
                                        ; implicit-def: $vgpr13_vgpr14
                                        ; implicit-def: $vgpr5
                                        ; implicit-def: $vgpr19
                                        ; implicit-def: $vgpr24
                                        ; implicit-def: $vgpr25
                                        ; implicit-def: $vgpr11_vgpr12
                                        ; implicit-def: $vgpr15_vgpr16
.LBB258_61:                             ;   in Loop: Header=BB258_5 Depth=1
	s_or_saveexec_b64 s[2:3], s[4:5]
	v_mov_b32_e32 v4, s33
	s_xor_b64 exec, exec, s[2:3]
	s_cbranch_execz .LBB258_4
; %bb.62:                               ;   in Loop: Header=BB258_5 Depth=1
	v_ashrrev_i32_e32 v4, 31, v3
	v_lshlrev_b64 v[9:10], 3, v[3:4]
	v_mov_b32_e32 v4, s13
	v_add_co_u32_e32 v17, vcc, s12, v15
	v_addc_co_u32_e32 v18, vcc, v4, v16, vcc
	v_add_co_u32_e32 v26, vcc, v1, v9
	v_addc_co_u32_e32 v27, vcc, v2, v10, vcc
	global_load_dwordx2 v[21:22], v[17:18], off
	global_load_dwordx2 v[9:10], v[26:27], off
	v_mul_f32_e32 v4, v8, v8
	v_fmac_f32_e32 v4, v7, v7
	v_div_scale_f32 v23, s[4:5], v4, v4, 1.0
	v_div_scale_f32 v28, vcc, 1.0, v4, 1.0
	v_rcp_f32_e32 v29, v23
	v_fma_f32 v30, -v23, v29, 1.0
	v_fmac_f32_e32 v29, v30, v29
	v_mul_f32_e32 v30, v28, v29
	v_fma_f32 v31, -v23, v30, v28
	v_fmac_f32_e32 v30, v31, v29
	v_fma_f32 v23, -v23, v30, v28
	v_div_fmas_f32 v23, v23, v29, v30
	v_fma_f32 v28, 0, v8, v7
	v_fma_f32 v29, v7, 0, -v8
	v_mov_b32_e32 v30, s15
	v_lshlrev_b64 v[7:8], 2, v[11:12]
	v_add_co_u32_e32 v11, vcc, s14, v15
	v_addc_co_u32_e32 v12, vcc, v30, v16, vcc
	v_add_co_u32_e32 v15, vcc, s6, v7
	v_mov_b32_e32 v31, s7
	v_addc_co_u32_e32 v16, vcc, v31, v8, vcc
	v_div_fixup_f32 v7, v23, v4, 1.0
	v_mul_f32_e32 v4, v28, v7
	v_mul_f32_e32 v7, v29, v7
	v_mul_f32_e64 v28, v7, -v14
	v_mul_f32_e32 v29, v7, v13
	v_fmac_f32_e32 v28, v13, v4
	v_fmac_f32_e32 v29, v14, v4
	global_store_dwordx2 v[11:12], v[28:29], off
	s_waitcnt vmcnt(2)
	v_mul_f32_e64 v11, v7, -v22
	v_mul_f32_e32 v12, v7, v21
	s_waitcnt vmcnt(1)
	v_mul_f32_e64 v13, v7, -v10
	v_mul_f32_e32 v14, v7, v9
	v_fmac_f32_e32 v11, v21, v4
	v_fmac_f32_e32 v12, v22, v4
	;; [unrolled: 1-line block ×4, first 2 shown]
	global_store_dwordx2 v[17:18], v[11:12], off
	global_store_dwordx2 v[26:27], v[13:14], off
	global_store_dword v[15:16], v39, off
	s_and_saveexec_b64 s[4:5], s[0:1]
	s_cbranch_execz .LBB258_3
; %bb.63:                               ;   in Loop: Header=BB258_5 Depth=1
	v_add_u32_e32 v11, v35, v3
	v_ashrrev_i32_e32 v12, 31, v11
	v_lshlrev_b64 v[11:12], 3, v[11:12]
	v_mov_b32_e32 v8, s11
	v_add_co_u32_e32 v11, vcc, s10, v11
	v_addc_co_u32_e32 v12, vcc, v8, v12, vcc
	global_load_dwordx2 v[13:14], v[11:12], off
	v_mul_f32_e32 v8, v7, v5
	v_mul_f32_e64 v15, v7, -v6
	v_fmac_f32_e32 v8, v6, v4
	v_fmac_f32_e32 v15, v5, v4
	v_mul_f32_e32 v5, v8, v10
	v_mul_f32_e64 v6, v10, -v15
	v_fma_f32 v5, -v15, v9, v5
	v_fma_f32 v6, -v8, v9, v6
	s_waitcnt vmcnt(0)
	v_add_f32_e32 v5, v5, v13
	v_add_f32_e32 v6, v6, v14
	global_store_dwordx2 v[11:12], v[5:6], off
	s_branch .LBB258_3
.LBB258_64:
	s_or_b64 exec, exec, s[20:21]
.LBB258_65:
	v_subrev_u32_e32 v5, s28, v3
	v_add_u32_e32 v3, v5, v0
	v_ashrrev_i32_e32 v4, 31, v3
	v_lshlrev_b64 v[3:4], 2, v[3:4]
	s_waitcnt lgkmcnt(0)
	v_mov_b32_e32 v6, s7
	v_add_co_u32_e32 v3, vcc, s6, v3
	v_addc_co_u32_e32 v4, vcc, v6, v4, vcc
	s_waitcnt vmcnt(0)
	buffer_wbinvl1_vol
	global_load_dword v3, v[3:4], off
	s_waitcnt vmcnt(0)
	v_mul_lo_u32 v3, v3, s28
	v_sub_u32_e32 v3, v5, v3
	v_cmp_lt_i32_e32 vcc, -1, v3
	s_and_b64 exec, exec, vcc
	s_cbranch_execz .LBB258_72
; %bb.66:
	v_subrev_u32_e32 v11, s28, v0
	s_lshl_b32 s4, s28, 1
	s_mov_b64 s[0:1], 0
	v_mov_b32_e32 v12, s7
	v_mov_b32_e32 v13, s15
	s_branch .LBB258_68
.LBB258_67:                             ;   in Loop: Header=BB258_68 Depth=1
	s_or_b64 exec, exec, s[2:3]
	s_waitcnt vmcnt(0)
	v_lshlrev_b64 v[5:6], 3, v[7:8]
	v_mov_b32_e32 v7, s13
	v_add_co_u32_e32 v5, vcc, s12, v5
	v_addc_co_u32_e32 v6, vcc, v7, v6, vcc
	global_load_dwordx2 v[7:8], v[5:6], off
	v_sub_u32_e32 v3, v3, v9
	v_cmp_gt_i32_e32 vcc, 0, v3
	s_or_b64 s[0:1], vcc, s[0:1]
	s_waitcnt vmcnt(0)
	v_add_f32_e32 v7, v7, v4
	v_add_f32_e32 v8, v14, v8
	global_store_dwordx2 v[5:6], v[7:8], off
	s_andn2_b64 exec, exec, s[0:1]
	s_cbranch_execz .LBB258_72
.LBB258_68:                             ; =>This Inner Loop Header: Depth=1
	v_add_u32_e32 v7, v3, v0
	v_ashrrev_i32_e32 v8, 31, v7
	v_lshlrev_b64 v[4:5], 2, v[7:8]
	v_lshlrev_b64 v[9:10], 3, v[7:8]
	v_add_co_u32_e32 v4, vcc, s6, v4
	v_addc_co_u32_e32 v5, vcc, v12, v5, vcc
	global_load_dword v14, v[4:5], off
	v_add_co_u32_e32 v4, vcc, s14, v9
	v_addc_co_u32_e32 v5, vcc, v13, v10, vcc
	global_load_dwordx2 v[5:6], v[4:5], off
                                        ; implicit-def: $vgpr4
	s_waitcnt vmcnt(1)
	v_cmp_ne_u32_e32 vcc, 1, v14
                                        ; implicit-def: $vgpr14
	s_and_saveexec_b64 s[2:3], vcc
	s_xor_b64 s[2:3], exec, s[2:3]
	s_cbranch_execz .LBB258_70
; %bb.69:                               ;   in Loop: Header=BB258_68 Depth=1
	v_add_u32_e32 v7, v35, v3
	v_ashrrev_i32_e32 v8, 31, v7
	v_lshlrev_b64 v[7:8], 3, v[7:8]
	v_mov_b32_e32 v4, s11
	v_add_co_u32_e32 v14, vcc, s10, v7
	v_addc_co_u32_e32 v15, vcc, v4, v8, vcc
	v_ashrrev_i32_e32 v4, 31, v3
	v_lshlrev_b64 v[18:19], 3, v[3:4]
	v_mov_b32_e32 v4, s13
	v_add_co_u32_e32 v20, vcc, s12, v7
	v_addc_co_u32_e32 v21, vcc, v4, v8, vcc
	global_load_dwordx2 v[16:17], v[14:15], off
	v_add_co_u32_e32 v18, vcc, v1, v18
	global_load_dwordx2 v[22:23], v[20:21], off
	v_addc_co_u32_e32 v19, vcc, v2, v19, vcc
	global_load_dwordx2 v[24:25], v[18:19], off
	v_add_co_u32_e32 v9, vcc, s12, v9
	v_addc_co_u32_e32 v10, vcc, v4, v10, vcc
	global_load_dwordx2 v[26:27], v[9:10], off
	v_add_u32_e32 v7, v11, v3
	v_ashrrev_i32_e32 v8, 31, v7
	v_lshlrev_b64 v[28:29], 3, v[7:8]
	v_mov_b32_e32 v4, s15
	v_add_co_u32_e32 v30, vcc, s14, v28
	v_addc_co_u32_e32 v31, vcc, v4, v29, vcc
	v_mov_b32_e32 v32, s11
	global_load_dwordx2 v[30:31], v[30:31], off
	s_waitcnt vmcnt(4)
	v_mul_f32_e32 v4, v6, v17
	v_mul_f32_e64 v17, v17, -v5
	v_fma_f32 v4, -v5, v16, v4
	s_waitcnt vmcnt(3)
	v_mul_f32_e32 v33, v6, v23
	v_fma_f32 v16, -v6, v16, v17
	v_mul_f32_e64 v23, v23, -v5
	v_fma_f32 v17, -v5, v22, v33
	s_waitcnt vmcnt(2)
	v_add_f32_e32 v4, v24, v4
	v_add_f32_e32 v5, v16, v25
	v_fma_f32 v6, -v6, v22, v23
	global_store_dwordx2 v[18:19], v[4:5], off
	s_waitcnt vmcnt(2)
	v_add_f32_e32 v16, v26, v17
	v_add_f32_e32 v17, v6, v27
	global_load_dwordx2 v[4:5], v[14:15], off
	v_add_co_u32_e32 v14, vcc, s10, v28
	global_store_dwordx2 v[9:10], v[16:17], off
	v_addc_co_u32_e32 v15, vcc, v32, v29, vcc
	global_load_dwordx2 v[9:10], v[20:21], off
	global_load_dwordx2 v[16:17], v[14:15], off
	s_waitcnt vmcnt(3)
	v_mul_f32_e32 v6, v31, v5
	v_mul_f32_e64 v5, v5, -v30
	v_fma_f32 v6, -v30, v4, v6
	v_fma_f32 v19, -v31, v4, v5
	s_waitcnt vmcnt(1)
	v_mul_f32_e32 v18, v31, v10
	v_mul_f32_e64 v10, v10, -v30
	s_waitcnt vmcnt(0)
	v_add_f32_e32 v5, v16, v6
	v_add_f32_e32 v6, v19, v17
	v_fma_f32 v4, -v30, v9, v18
	global_store_dwordx2 v[14:15], v[5:6], off
	v_fma_f32 v14, -v31, v9, v10
                                        ; implicit-def: $vgpr5_vgpr6
.LBB258_70:                             ;   in Loop: Header=BB258_68 Depth=1
	s_or_saveexec_b64 s[2:3], s[2:3]
	v_mov_b32_e32 v9, s4
	s_xor_b64 exec, exec, s[2:3]
	s_cbranch_execz .LBB258_67
; %bb.71:                               ;   in Loop: Header=BB258_68 Depth=1
	v_add_u32_e32 v9, v35, v3
	v_ashrrev_i32_e32 v10, 31, v9
	v_lshlrev_b64 v[9:10], 3, v[9:10]
	v_mov_b32_e32 v4, s11
	v_add_co_u32_e32 v14, vcc, s10, v9
	v_addc_co_u32_e32 v15, vcc, v4, v10, vcc
	v_ashrrev_i32_e32 v4, 31, v3
	v_mov_b32_e32 v16, s13
	v_add_co_u32_e32 v9, vcc, s12, v9
	v_addc_co_u32_e32 v10, vcc, v16, v10, vcc
	v_lshlrev_b64 v[16:17], 3, v[3:4]
	global_load_dwordx2 v[14:15], v[14:15], off
	v_add_co_u32_e32 v16, vcc, v1, v16
	global_load_dwordx2 v[9:10], v[9:10], off
	v_addc_co_u32_e32 v17, vcc, v2, v17, vcc
	global_load_dwordx2 v[18:19], v[16:17], off
	s_waitcnt vmcnt(2)
	v_mul_f32_e32 v4, v6, v15
	v_mul_f32_e64 v15, v15, -v5
	v_fma_f32 v21, -v5, v14, v4
	s_waitcnt vmcnt(1)
	v_mul_f32_e32 v20, v6, v10
	v_mul_f32_e64 v10, v10, -v5
	v_fma_f32 v15, -v6, v14, v15
	v_fma_f32 v4, -v5, v9, v20
	;; [unrolled: 1-line block ×3, first 2 shown]
	s_waitcnt vmcnt(0)
	v_add_f32_e32 v5, v18, v21
	v_add_f32_e32 v6, v15, v19
	v_mov_b32_e32 v9, s28
	global_store_dwordx2 v[16:17], v[5:6], off
	s_branch .LBB258_67
.LBB258_72:
	s_endpgm
	.section	.rodata,"a",@progbits
	.p2align	6, 0x0
	.amdhsa_kernel _ZN9rocsparseL18gtsv_LBM_wv_kernelILj256ELj256E21rocsparse_complex_numIfEEEviiiPKT1_S5_S5_PS3_S6_S6_Pi
		.amdhsa_group_segment_fixed_size 0
		.amdhsa_private_segment_fixed_size 0
		.amdhsa_kernarg_size 72
		.amdhsa_user_sgpr_count 6
		.amdhsa_user_sgpr_private_segment_buffer 1
		.amdhsa_user_sgpr_dispatch_ptr 0
		.amdhsa_user_sgpr_queue_ptr 0
		.amdhsa_user_sgpr_kernarg_segment_ptr 1
		.amdhsa_user_sgpr_dispatch_id 0
		.amdhsa_user_sgpr_flat_scratch_init 0
		.amdhsa_user_sgpr_private_segment_size 0
		.amdhsa_uses_dynamic_stack 0
		.amdhsa_system_sgpr_private_segment_wavefront_offset 0
		.amdhsa_system_sgpr_workgroup_id_x 1
		.amdhsa_system_sgpr_workgroup_id_y 0
		.amdhsa_system_sgpr_workgroup_id_z 0
		.amdhsa_system_sgpr_workgroup_info 0
		.amdhsa_system_vgpr_workitem_id 0
		.amdhsa_next_free_vgpr 47
		.amdhsa_next_free_sgpr 35
		.amdhsa_reserve_vcc 1
		.amdhsa_reserve_flat_scratch 0
		.amdhsa_float_round_mode_32 0
		.amdhsa_float_round_mode_16_64 0
		.amdhsa_float_denorm_mode_32 3
		.amdhsa_float_denorm_mode_16_64 3
		.amdhsa_dx10_clamp 1
		.amdhsa_ieee_mode 1
		.amdhsa_fp16_overflow 0
		.amdhsa_exception_fp_ieee_invalid_op 0
		.amdhsa_exception_fp_denorm_src 0
		.amdhsa_exception_fp_ieee_div_zero 0
		.amdhsa_exception_fp_ieee_overflow 0
		.amdhsa_exception_fp_ieee_underflow 0
		.amdhsa_exception_fp_ieee_inexact 0
		.amdhsa_exception_int_div_zero 0
	.end_amdhsa_kernel
	.section	.text._ZN9rocsparseL18gtsv_LBM_wv_kernelILj256ELj256E21rocsparse_complex_numIfEEEviiiPKT1_S5_S5_PS3_S6_S6_Pi,"axG",@progbits,_ZN9rocsparseL18gtsv_LBM_wv_kernelILj256ELj256E21rocsparse_complex_numIfEEEviiiPKT1_S5_S5_PS3_S6_S6_Pi,comdat
.Lfunc_end258:
	.size	_ZN9rocsparseL18gtsv_LBM_wv_kernelILj256ELj256E21rocsparse_complex_numIfEEEviiiPKT1_S5_S5_PS3_S6_S6_Pi, .Lfunc_end258-_ZN9rocsparseL18gtsv_LBM_wv_kernelILj256ELj256E21rocsparse_complex_numIfEEEviiiPKT1_S5_S5_PS3_S6_S6_Pi
                                        ; -- End function
	.set _ZN9rocsparseL18gtsv_LBM_wv_kernelILj256ELj256E21rocsparse_complex_numIfEEEviiiPKT1_S5_S5_PS3_S6_S6_Pi.num_vgpr, 47
	.set _ZN9rocsparseL18gtsv_LBM_wv_kernelILj256ELj256E21rocsparse_complex_numIfEEEviiiPKT1_S5_S5_PS3_S6_S6_Pi.num_agpr, 0
	.set _ZN9rocsparseL18gtsv_LBM_wv_kernelILj256ELj256E21rocsparse_complex_numIfEEEviiiPKT1_S5_S5_PS3_S6_S6_Pi.numbered_sgpr, 35
	.set _ZN9rocsparseL18gtsv_LBM_wv_kernelILj256ELj256E21rocsparse_complex_numIfEEEviiiPKT1_S5_S5_PS3_S6_S6_Pi.num_named_barrier, 0
	.set _ZN9rocsparseL18gtsv_LBM_wv_kernelILj256ELj256E21rocsparse_complex_numIfEEEviiiPKT1_S5_S5_PS3_S6_S6_Pi.private_seg_size, 0
	.set _ZN9rocsparseL18gtsv_LBM_wv_kernelILj256ELj256E21rocsparse_complex_numIfEEEviiiPKT1_S5_S5_PS3_S6_S6_Pi.uses_vcc, 1
	.set _ZN9rocsparseL18gtsv_LBM_wv_kernelILj256ELj256E21rocsparse_complex_numIfEEEviiiPKT1_S5_S5_PS3_S6_S6_Pi.uses_flat_scratch, 0
	.set _ZN9rocsparseL18gtsv_LBM_wv_kernelILj256ELj256E21rocsparse_complex_numIfEEEviiiPKT1_S5_S5_PS3_S6_S6_Pi.has_dyn_sized_stack, 0
	.set _ZN9rocsparseL18gtsv_LBM_wv_kernelILj256ELj256E21rocsparse_complex_numIfEEEviiiPKT1_S5_S5_PS3_S6_S6_Pi.has_recursion, 0
	.set _ZN9rocsparseL18gtsv_LBM_wv_kernelILj256ELj256E21rocsparse_complex_numIfEEEviiiPKT1_S5_S5_PS3_S6_S6_Pi.has_indirect_call, 0
	.section	.AMDGPU.csdata,"",@progbits
; Kernel info:
; codeLenInByte = 6096
; TotalNumSgprs: 39
; NumVgprs: 47
; ScratchSize: 0
; MemoryBound: 0
; FloatMode: 240
; IeeeMode: 1
; LDSByteSize: 0 bytes/workgroup (compile time only)
; SGPRBlocks: 4
; VGPRBlocks: 11
; NumSGPRsForWavesPerEU: 39
; NumVGPRsForWavesPerEU: 47
; Occupancy: 5
; WaveLimiterHint : 0
; COMPUTE_PGM_RSRC2:SCRATCH_EN: 0
; COMPUTE_PGM_RSRC2:USER_SGPR: 6
; COMPUTE_PGM_RSRC2:TRAP_HANDLER: 0
; COMPUTE_PGM_RSRC2:TGID_X_EN: 1
; COMPUTE_PGM_RSRC2:TGID_Y_EN: 0
; COMPUTE_PGM_RSRC2:TGID_Z_EN: 0
; COMPUTE_PGM_RSRC2:TIDIG_COMP_CNT: 0
	.section	.text._ZN9rocsparseL19gtsv_LBM_rhs_kernelILj256ELj256ELj8E21rocsparse_complex_numIfEEEviiiPKT2_S5_S5_PS3_S5_PKi,"axG",@progbits,_ZN9rocsparseL19gtsv_LBM_rhs_kernelILj256ELj256ELj8E21rocsparse_complex_numIfEEEviiiPKT2_S5_S5_PS3_S5_PKi,comdat
	.globl	_ZN9rocsparseL19gtsv_LBM_rhs_kernelILj256ELj256ELj8E21rocsparse_complex_numIfEEEviiiPKT2_S5_S5_PS3_S5_PKi ; -- Begin function _ZN9rocsparseL19gtsv_LBM_rhs_kernelILj256ELj256ELj8E21rocsparse_complex_numIfEEEviiiPKT2_S5_S5_PS3_S5_PKi
	.p2align	8
	.type	_ZN9rocsparseL19gtsv_LBM_rhs_kernelILj256ELj256ELj8E21rocsparse_complex_numIfEEEviiiPKT2_S5_S5_PS3_S5_PKi,@function
_ZN9rocsparseL19gtsv_LBM_rhs_kernelILj256ELj256ELj8E21rocsparse_complex_numIfEEEviiiPKT2_S5_S5_PS3_S5_PKi: ; @_ZN9rocsparseL19gtsv_LBM_rhs_kernelILj256ELj256ELj8E21rocsparse_complex_numIfEEEviiiPKT2_S5_S5_PS3_S5_PKi
; %bb.0:
	s_load_dword s23, s[4:5], 0x0
	v_lshl_or_b32 v0, s6, 8, v0
	s_waitcnt lgkmcnt(0)
	s_lshr_b32 s22, s23, 8
	v_cmp_gt_i32_e32 vcc, s22, v0
	s_and_saveexec_b64 s[0:1], vcc
	s_cbranch_execz .LBB259_29
; %bb.1:
	s_load_dwordx4 s[8:11], s[4:5], 0x28
	s_load_dwordx2 s[16:17], s[4:5], 0x38
	s_cmp_lt_i32 s23, 1
	v_add_u32_e32 v25, s22, v0
	s_mul_i32 s24, s7, s23
	s_cbranch_scc1 .LBB259_21
; %bb.2:
	s_load_dwordx4 s[12:15], s[4:5], 0x10
	s_load_dwordx2 s[6:7], s[4:5], 0x20
	v_ashrrev_i32_e32 v1, 31, v0
	v_lshlrev_b64 v[1:2], 3, v[0:1]
	s_lshl_b32 s28, s24, 3
	s_waitcnt lgkmcnt(0)
	v_mov_b32_e32 v3, s15
	v_add_co_u32_e32 v1, vcc, s14, v1
	v_addc_co_u32_e32 v2, vcc, v3, v2, vcc
	global_load_dwordx2 v[3:4], v[1:2], off
	s_add_i32 s29, s28, s23
	s_add_i32 s30, s29, s23
	;; [unrolled: 1-line block ×6, first 2 shown]
	s_mul_i32 s25, s22, 0xff
	s_mul_i32 s26, s22, 0xfe
	s_lshl_b32 s27, s22, 1
	v_add_u32_e32 v26, s22, v25
	s_add_i32 s36, s35, s23
	v_mov_b32_e32 v2, 0
	s_mov_b64 s[18:19], 0
	v_mov_b32_e32 v28, s7
	v_mov_b32_e32 v27, 0
	s_branch .LBB259_5
.LBB259_3:                              ;   in Loop: Header=BB259_5 Depth=1
	s_or_b64 exec, exec, s[4:5]
	v_fmac_f32_e32 v30, v5, v7
	v_fmac_f32_e32 v29, v6, v7
	v_mul_f32_e64 v1, v31, -v29
	v_mul_f32_e32 v4, v31, v30
	v_fmac_f32_e32 v1, v30, v8
	v_fmac_f32_e32 v4, v29, v8
	v_sub_f32_e32 v3, v9, v1
	v_sub_f32_e32 v4, v10, v4
	v_mov_b32_e32 v8, s22
.LBB259_4:                              ;   in Loop: Header=BB259_5 Depth=1
	s_or_b64 exec, exec, s[2:3]
	v_add_u32_e32 v27, v8, v27
	v_cmp_le_i32_e32 vcc, s23, v27
	s_or_b64 s[18:19], vcc, s[18:19]
	s_andn2_b64 exec, exec, s[18:19]
	s_cbranch_execz .LBB259_20
.LBB259_5:                              ; =>This Inner Loop Header: Depth=1
	v_add_u32_e32 v15, v27, v0
	v_ashrrev_i32_e32 v16, 31, v15
	v_lshlrev_b64 v[5:6], 3, v[15:16]
	v_cmp_gt_u32_e64 s[0:1], s25, v27
	v_add_co_u32_e32 v5, vcc, s6, v5
	v_addc_co_u32_e32 v6, vcc, v28, v6, vcc
	global_load_dwordx2 v[7:8], v[5:6], off
	v_mov_b32_e32 v5, 0
	v_mov_b32_e32 v6, 0
	s_and_saveexec_b64 s[2:3], s[0:1]
	s_cbranch_execz .LBB259_7
; %bb.6:                                ;   in Loop: Header=BB259_5 Depth=1
	v_add_u32_e32 v5, v25, v27
	v_ashrrev_i32_e32 v6, 31, v5
	v_lshlrev_b64 v[5:6], 3, v[5:6]
	v_mov_b32_e32 v1, s13
	v_add_co_u32_e32 v5, vcc, s12, v5
	v_addc_co_u32_e32 v6, vcc, v1, v6, vcc
	global_load_dwordx2 v[5:6], v[5:6], off
.LBB259_7:                              ;   in Loop: Header=BB259_5 Depth=1
	s_or_b64 exec, exec, s[2:3]
	v_mov_b32_e32 v11, 0
	v_mov_b32_e32 v9, 0
	;; [unrolled: 1-line block ×3, first 2 shown]
	s_and_saveexec_b64 s[2:3], s[0:1]
	s_cbranch_execz .LBB259_9
; %bb.8:                                ;   in Loop: Header=BB259_5 Depth=1
	v_add_u32_e32 v9, v25, v27
	v_ashrrev_i32_e32 v10, 31, v9
	v_lshlrev_b64 v[9:10], 3, v[9:10]
	v_mov_b32_e32 v1, s15
	v_add_co_u32_e32 v9, vcc, s14, v9
	v_addc_co_u32_e32 v10, vcc, v1, v10, vcc
	global_load_dwordx2 v[9:10], v[9:10], off
.LBB259_9:                              ;   in Loop: Header=BB259_5 Depth=1
	s_or_b64 exec, exec, s[2:3]
	v_mov_b32_e32 v12, 0
	s_and_saveexec_b64 s[2:3], s[0:1]
	s_cbranch_execz .LBB259_11
; %bb.10:                               ;   in Loop: Header=BB259_5 Depth=1
	v_add_u32_e32 v11, v25, v27
	v_ashrrev_i32_e32 v12, 31, v11
	v_lshlrev_b64 v[11:12], 3, v[11:12]
	v_mov_b32_e32 v1, s7
	v_add_co_u32_e32 v11, vcc, s6, v11
	v_addc_co_u32_e32 v12, vcc, v1, v12, vcc
	global_load_dwordx2 v[11:12], v[11:12], off
.LBB259_11:                             ;   in Loop: Header=BB259_5 Depth=1
	s_or_b64 exec, exec, s[2:3]
	v_cmp_gt_u32_e64 s[2:3], s26, v27
	v_mov_b32_e32 v13, 0
	v_mov_b32_e32 v14, 0
	s_and_saveexec_b64 s[4:5], s[2:3]
	s_cbranch_execz .LBB259_13
; %bb.12:                               ;   in Loop: Header=BB259_5 Depth=1
	v_add_u32_e32 v13, v26, v27
	v_ashrrev_i32_e32 v14, 31, v13
	v_lshlrev_b64 v[13:14], 3, v[13:14]
	v_mov_b32_e32 v1, s13
	v_add_co_u32_e32 v13, vcc, s12, v13
	v_addc_co_u32_e32 v14, vcc, v1, v14, vcc
	global_load_dwordx2 v[13:14], v[13:14], off
.LBB259_13:                             ;   in Loop: Header=BB259_5 Depth=1
	s_or_b64 exec, exec, s[4:5]
	v_lshlrev_b64 v[16:17], 2, v[15:16]
	v_mov_b32_e32 v1, s17
	v_add_co_u32_e32 v16, vcc, s16, v16
	v_addc_co_u32_e32 v17, vcc, v1, v17, vcc
	global_load_dword v20, v[16:17], off
	v_cmp_ne_u32_e32 vcc, s25, v27
	s_waitcnt vmcnt(1)
	v_mul_f32_e64 v30, v8, -v6
	v_mul_f32_e32 v29, v5, v8
	v_add_u32_e32 v1, s28, v15
	v_add_u32_e32 v23, s29, v15
	;; [unrolled: 1-line block ×8, first 2 shown]
	s_waitcnt vmcnt(0)
	v_cmp_ne_u32_e64 s[4:5], 1, v20
	s_and_b64 s[4:5], vcc, s[4:5]
	s_and_saveexec_b64 s[20:21], s[4:5]
	s_xor_b64 s[4:5], exec, s[20:21]
	s_cbranch_execz .LBB259_17
; %bb.14:                               ;   in Loop: Header=BB259_5 Depth=1
	v_mul_f32_e32 v22, v3, v10
	v_mul_f32_e64 v20, v10, -v4
	v_fmac_f32_e32 v22, v4, v9
	v_fmac_f32_e32 v29, v6, v7
	;; [unrolled: 1-line block ×4, first 2 shown]
	v_sub_f32_e32 v33, v22, v29
	v_sub_f32_e32 v20, v20, v30
	v_mul_f32_e32 v35, v33, v33
	v_fmac_f32_e32 v35, v20, v20
	v_div_scale_f32 v31, s[20:21], v35, v35, 1.0
	v_div_scale_f32 v32, vcc, 1.0, v35, 1.0
	v_lshlrev_b64 v[29:30], 3, v[1:2]
	v_mov_b32_e32 v24, v2
	v_mov_b32_e32 v1, s9
	v_lshlrev_b64 v[23:24], 3, v[23:24]
	v_mov_b32_e32 v36, s9
	v_mov_b32_e32 v22, v2
	;; [unrolled: 1-line block ×3, first 2 shown]
	v_rcp_f32_e32 v34, v31
	v_fma_f32 v37, -v31, v34, 1.0
	v_fmac_f32_e32 v34, v37, v34
	v_mul_f32_e32 v37, v32, v34
	v_fma_f32 v38, -v31, v37, v32
	v_fmac_f32_e32 v37, v38, v34
	v_fma_f32 v31, -v31, v37, v32
	v_div_fmas_f32 v39, v31, v34, v37
	v_add_co_u32_e32 v29, vcc, s8, v29
	v_addc_co_u32_e32 v30, vcc, v1, v30, vcc
	v_add_co_u32_e32 v23, vcc, s8, v23
	v_fma_f32 v1, 0, v33, v20
	v_fma_f32 v20, v20, 0, -v33
	v_addc_co_u32_e32 v24, vcc, v36, v24, vcc
	global_load_dwordx2 v[33:34], v[29:30], off
	global_load_dwordx2 v[37:38], v[23:24], off
	v_lshlrev_b64 v[31:32], 3, v[21:22]
	v_add_co_u32_e32 v31, vcc, s8, v31
	v_div_fixup_f32 v22, v39, v35, 1.0
	v_mul_f32_e32 v21, v1, v22
	v_mul_f32_e32 v22, v20, v22
	v_mov_b32_e32 v20, v2
	v_lshlrev_b64 v[19:20], 3, v[19:20]
	v_addc_co_u32_e32 v32, vcc, v40, v32, vcc
	v_add_co_u32_e32 v42, vcc, s8, v19
	v_mov_b32_e32 v19, v2
	v_mov_b32_e32 v1, s9
	v_lshlrev_b64 v[18:19], 3, v[18:19]
	v_addc_co_u32_e32 v43, vcc, v1, v20, vcc
	v_add_co_u32_e32 v53, vcc, s8, v18
	v_add_u32_e32 v39, v25, v27
	v_addc_co_u32_e32 v54, vcc, v1, v19, vcc
	v_add_u32_e32 v1, s28, v39
	v_lshlrev_b64 v[19:20], 3, v[1:2]
	v_mov_b32_e32 v18, v2
	v_mov_b32_e32 v1, s9
	v_add_co_u32_e32 v55, vcc, s8, v19
	v_lshlrev_b64 v[17:18], 3, v[17:18]
	v_addc_co_u32_e32 v56, vcc, v1, v20, vcc
	v_add_co_u32_e32 v57, vcc, s8, v17
	v_mov_b32_e32 v17, v2
	v_lshlrev_b64 v[16:17], 3, v[16:17]
	v_addc_co_u32_e32 v58, vcc, v1, v18, vcc
	v_add_co_u32_e32 v59, vcc, s8, v16
	v_addc_co_u32_e32 v60, vcc, v1, v17, vcc
	v_add_u32_e32 v1, s29, v39
	v_lshlrev_b64 v[17:18], 3, v[1:2]
	v_mov_b32_e32 v16, v2
	v_lshlrev_b64 v[15:16], 3, v[15:16]
	v_mov_b32_e32 v1, s9
	v_add_co_u32_e32 v61, vcc, s8, v17
	v_addc_co_u32_e32 v62, vcc, v1, v18, vcc
	v_mov_b32_e32 v35, s9
	v_add_co_u32_e32 v63, vcc, s8, v15
	v_add_u32_e32 v1, s30, v39
	v_addc_co_u32_e32 v64, vcc, v35, v16, vcc
	v_lshlrev_b64 v[15:16], 3, v[1:2]
	v_mov_b32_e32 v1, s9
	v_add_co_u32_e32 v65, vcc, s8, v15
	global_load_dwordx2 v[19:20], v[55:56], off
	global_load_dwordx2 v[46:47], v[31:32], off
	;; [unrolled: 1-line block ×3, first 2 shown]
	v_addc_co_u32_e32 v66, vcc, v1, v16, vcc
	v_add_u32_e32 v1, s31, v39
	v_lshlrev_b64 v[15:16], 3, v[1:2]
	global_load_dwordx2 v[17:18], v[61:62], off
	v_mov_b32_e32 v1, s9
	v_add_co_u32_e32 v67, vcc, s8, v15
	v_addc_co_u32_e32 v68, vcc, v1, v16, vcc
	v_add_u32_e32 v1, s33, v39
	v_lshlrev_b64 v[35:36], 3, v[1:2]
	global_load_dwordx2 v[15:16], v[65:66], off
	global_load_dwordx2 v[75:76], v[67:68], off
	v_mov_b32_e32 v1, s9
	v_add_co_u32_e32 v69, vcc, s8, v35
	v_addc_co_u32_e32 v70, vcc, v1, v36, vcc
	v_add_u32_e32 v1, s34, v39
	v_lshlrev_b64 v[35:36], 3, v[1:2]
	v_mov_b32_e32 v1, s9
	v_add_co_u32_e32 v71, vcc, s8, v35
	v_addc_co_u32_e32 v72, vcc, v1, v36, vcc
	v_add_u32_e32 v1, s35, v39
	v_lshlrev_b64 v[35:36], 3, v[1:2]
	s_waitcnt vmcnt(7)
	v_mul_f32_e64 v45, v22, -v34
	v_mul_f32_e32 v48, v22, v33
	v_mov_b32_e32 v1, s9
	v_add_co_u32_e32 v77, vcc, s8, v35
	v_fmac_f32_e32 v45, v33, v21
	v_fmac_f32_e32 v48, v34, v21
	global_load_dwordx2 v[33:34], v[53:54], off
	global_load_dwordx2 v[81:82], v[69:70], off
	v_addc_co_u32_e32 v78, vcc, v1, v36, vcc
	v_add_u32_e32 v1, s36, v39
	v_lshlrev_b64 v[35:36], 3, v[1:2]
	v_mov_b32_e32 v1, s9
	v_add_co_u32_e32 v79, vcc, s8, v35
	v_addc_co_u32_e32 v80, vcc, v1, v36, vcc
	global_load_dwordx2 v[83:84], v[57:58], off
	global_load_dwordx2 v[85:86], v[59:60], off
	;; [unrolled: 1-line block ×6, first 2 shown]
	v_mul_f32_e64 v1, v48, -v10
	v_fmac_f32_e32 v1, v9, v45
	s_waitcnt vmcnt(14)
	v_mul_f32_e32 v39, v22, v37
	v_mul_f32_e64 v36, v22, -v38
	v_fmac_f32_e32 v39, v38, v21
	v_fmac_f32_e32 v36, v37, v21
	s_waitcnt vmcnt(13)
	v_mul_f32_e32 v52, v22, v19
	v_mul_f32_e64 v51, v22, -v20
	v_fmac_f32_e32 v52, v20, v21
	v_fmac_f32_e32 v51, v19, v21
	v_mul_f32_e32 v20, v9, v48
	v_mul_f32_e64 v19, v52, -v8
	v_mul_f32_e32 v35, v52, v7
	v_fmac_f32_e32 v20, v10, v45
	v_fmac_f32_e32 v19, v7, v51
	;; [unrolled: 1-line block ×3, first 2 shown]
	s_waitcnt vmcnt(10)
	v_mul_f32_e32 v41, v22, v17
	v_sub_f32_e32 v19, v1, v19
	v_sub_f32_e32 v20, v20, v35
	v_mul_f32_e64 v38, v22, -v18
	v_fmac_f32_e32 v41, v18, v21
	global_store_dwordx2 v[29:30], v[19:20], off
	v_fmac_f32_e32 v38, v17, v21
	v_mul_f32_e64 v1, v39, -v10
	v_mul_f32_e32 v18, v9, v39
	v_mul_f32_e64 v17, v41, -v8
	v_mul_f32_e32 v19, v41, v7
	v_fmac_f32_e32 v1, v9, v36
	v_fmac_f32_e32 v18, v10, v36
	;; [unrolled: 1-line block ×4, first 2 shown]
	v_mul_f32_e32 v49, v22, v46
	s_waitcnt vmcnt(10)
	v_mul_f32_e32 v50, v22, v15
	v_sub_f32_e32 v17, v1, v17
	v_sub_f32_e32 v18, v18, v19
	v_mul_f32_e64 v44, v22, -v47
	v_fmac_f32_e32 v49, v47, v21
	v_mul_f32_e64 v47, v22, -v16
	v_fmac_f32_e32 v50, v16, v21
	global_store_dwordx2 v[23:24], v[17:18], off
	v_fmac_f32_e32 v44, v46, v21
	v_fmac_f32_e32 v47, v15, v21
	v_mul_f32_e64 v1, v49, -v10
	v_mul_f32_e32 v16, v9, v49
	v_mul_f32_e64 v15, v50, -v8
	v_mul_f32_e32 v17, v50, v7
	v_fmac_f32_e32 v1, v9, v44
	v_fmac_f32_e32 v16, v10, v44
	;; [unrolled: 1-line block ×4, first 2 shown]
	v_sub_f32_e32 v15, v1, v15
	v_sub_f32_e32 v16, v16, v17
	v_mul_f32_e32 v35, v22, v73
	s_waitcnt vmcnt(10)
	v_mul_f32_e32 v37, v22, v75
	global_store_dwordx2 v[31:32], v[15:16], off
	v_mul_f32_e64 v30, v22, -v74
	v_fmac_f32_e32 v35, v74, v21
	v_mul_f32_e64 v32, v22, -v76
	v_fmac_f32_e32 v37, v76, v21
	v_fmac_f32_e32 v30, v73, v21
	;; [unrolled: 1-line block ×3, first 2 shown]
	v_mul_f32_e64 v1, v35, -v10
	v_mul_f32_e32 v16, v9, v35
	v_mul_f32_e64 v15, v37, -v8
	v_mul_f32_e32 v17, v37, v7
	v_fmac_f32_e32 v1, v9, v30
	v_fmac_f32_e32 v16, v10, v30
	;; [unrolled: 1-line block ×4, first 2 shown]
	v_sub_f32_e32 v15, v1, v15
	v_sub_f32_e32 v16, v16, v17
	global_store_dwordx2 v[42:43], v[15:16], off
	s_waitcnt vmcnt(11)
	v_mul_f32_e32 v43, v22, v33
	s_waitcnt vmcnt(10)
	v_mul_f32_e32 v46, v22, v81
	v_mul_f32_e64 v40, v22, -v34
	v_fmac_f32_e32 v43, v34, v21
	v_mul_f32_e64 v42, v22, -v82
	v_fmac_f32_e32 v46, v82, v21
	v_fmac_f32_e32 v40, v33, v21
	;; [unrolled: 1-line block ×3, first 2 shown]
	v_mul_f32_e64 v1, v43, -v10
	v_mul_f32_e32 v16, v9, v43
	v_mul_f32_e64 v15, v46, -v8
	v_mul_f32_e32 v17, v46, v7
	v_fmac_f32_e32 v1, v9, v40
	v_fmac_f32_e32 v16, v10, v40
	;; [unrolled: 1-line block ×4, first 2 shown]
	s_waitcnt vmcnt(9)
	v_mul_f32_e32 v33, v22, v83
	s_waitcnt vmcnt(6)
	v_mul_f32_e32 v34, v22, v89
	v_sub_f32_e32 v15, v1, v15
	v_sub_f32_e32 v16, v16, v17
	v_mul_f32_e64 v29, v22, -v84
	v_fmac_f32_e32 v33, v84, v21
	v_mul_f32_e64 v31, v22, -v90
	v_fmac_f32_e32 v34, v90, v21
	global_store_dwordx2 v[53:54], v[15:16], off
	v_fmac_f32_e32 v29, v83, v21
	v_fmac_f32_e32 v31, v89, v21
	v_mul_f32_e64 v1, v33, -v10
	v_mul_f32_e32 v16, v9, v33
	v_mul_f32_e64 v15, v34, -v8
	v_mul_f32_e32 v17, v34, v7
	v_fmac_f32_e32 v1, v9, v29
	v_fmac_f32_e32 v16, v10, v29
	;; [unrolled: 1-line block ×4, first 2 shown]
	v_mul_f32_e32 v23, v22, v85
	s_waitcnt vmcnt(6)
	v_mul_f32_e32 v24, v22, v91
	v_sub_f32_e32 v15, v1, v15
	v_sub_f32_e32 v16, v16, v17
	v_mul_f32_e64 v17, v22, -v86
	v_fmac_f32_e32 v23, v86, v21
	v_mul_f32_e64 v19, v22, -v92
	v_fmac_f32_e32 v24, v92, v21
	global_store_dwordx2 v[57:58], v[15:16], off
	v_fmac_f32_e32 v17, v85, v21
	v_fmac_f32_e32 v19, v91, v21
	v_mul_f32_e64 v1, v23, -v10
	v_mul_f32_e32 v16, v9, v23
	v_mul_f32_e64 v15, v24, -v8
	v_mul_f32_e32 v18, v24, v7
	v_fmac_f32_e32 v1, v9, v17
	v_fmac_f32_e32 v16, v10, v17
	;; [unrolled: 1-line block ×4, first 2 shown]
	v_sub_f32_e32 v15, v1, v15
	v_sub_f32_e32 v16, v16, v18
	v_mul_f32_e32 v18, v22, v87
	global_store_dwordx2 v[59:60], v[15:16], off
	v_mul_f32_e64 v15, v22, -v88
	v_fmac_f32_e32 v18, v88, v21
	v_fmac_f32_e32 v15, v87, v21
	s_waitcnt vmcnt(7)
	v_mul_f32_e32 v20, v22, v93
	v_mul_f32_e64 v1, v18, -v10
	v_mul_f32_e64 v16, v22, -v94
	v_fmac_f32_e32 v20, v94, v21
	v_fmac_f32_e32 v1, v9, v15
	v_mul_f32_e32 v9, v9, v18
	v_fmac_f32_e32 v16, v93, v21
	v_fmac_f32_e32 v9, v10, v15
	v_mul_f32_e64 v10, v20, -v8
	v_mul_f32_e32 v53, v20, v7
	v_fmac_f32_e32 v10, v7, v16
	v_fmac_f32_e32 v53, v8, v16
	v_sub_f32_e32 v7, v1, v10
	v_sub_f32_e32 v8, v9, v53
	global_store_dwordx2 v[63:64], v[7:8], off
	v_mul_f32_e64 v7, v48, -v5
	v_mul_f32_e32 v1, v6, v48
	v_fma_f32 v8, -v6, v45, v7
	v_mul_f32_e64 v7, v52, -v4
	v_mul_f32_e32 v9, v3, v52
	v_fma_f32 v1, -v5, v45, v1
	v_fmac_f32_e32 v7, v3, v51
	v_fmac_f32_e32 v9, v4, v51
	v_add_f32_e32 v7, v1, v7
	v_add_f32_e32 v8, v8, v9
	global_store_dwordx2 v[55:56], v[7:8], off
	v_mul_f32_e64 v7, v39, -v5
	v_mul_f32_e32 v1, v6, v39
	v_fma_f32 v8, -v6, v36, v7
	v_mul_f32_e64 v7, v41, -v4
	v_mul_f32_e32 v9, v3, v41
	v_fma_f32 v1, -v5, v36, v1
	v_fmac_f32_e32 v7, v3, v38
	v_fmac_f32_e32 v9, v4, v38
	v_add_f32_e32 v7, v1, v7
	v_add_f32_e32 v8, v8, v9
	global_store_dwordx2 v[61:62], v[7:8], off
	v_mul_f32_e32 v7, v6, v49
	v_mul_f32_e64 v8, v49, -v5
	v_mul_f32_e64 v9, v50, -v4
	v_mul_f32_e32 v10, v3, v50
	v_fma_f32 v7, -v5, v44, v7
	v_fma_f32 v8, -v6, v44, v8
	v_fmac_f32_e32 v9, v3, v47
	v_fmac_f32_e32 v10, v4, v47
	v_add_f32_e32 v7, v7, v9
	v_add_f32_e32 v8, v8, v10
	global_store_dwordx2 v[65:66], v[7:8], off
	v_mul_f32_e32 v7, v6, v35
	v_mul_f32_e64 v8, v35, -v5
	v_mul_f32_e64 v9, v37, -v4
	v_mul_f32_e32 v10, v3, v37
	v_fma_f32 v7, -v5, v30, v7
	v_fma_f32 v8, -v6, v30, v8
	v_fmac_f32_e32 v9, v3, v32
	v_fmac_f32_e32 v10, v4, v32
	v_add_f32_e32 v7, v7, v9
	v_add_f32_e32 v8, v8, v10
	global_store_dwordx2 v[67:68], v[7:8], off
	v_mul_f32_e32 v7, v6, v43
	v_mul_f32_e64 v8, v43, -v5
	v_mul_f32_e64 v9, v46, -v4
	v_mul_f32_e32 v10, v3, v46
	v_fma_f32 v7, -v5, v40, v7
	v_fma_f32 v8, -v6, v40, v8
	v_fmac_f32_e32 v9, v3, v42
	v_fmac_f32_e32 v10, v4, v42
	v_add_f32_e32 v7, v7, v9
	v_add_f32_e32 v8, v8, v10
	global_store_dwordx2 v[69:70], v[7:8], off
	v_mul_f32_e32 v7, v6, v33
	v_mul_f32_e64 v8, v33, -v5
	v_mul_f32_e64 v9, v34, -v4
	v_mul_f32_e32 v10, v3, v34
	v_fma_f32 v7, -v5, v29, v7
	v_fma_f32 v8, -v6, v29, v8
	v_fmac_f32_e32 v9, v3, v31
	v_fmac_f32_e32 v10, v4, v31
	v_add_f32_e32 v7, v7, v9
	v_add_f32_e32 v8, v8, v10
	global_store_dwordx2 v[71:72], v[7:8], off
	v_mul_f32_e32 v7, v6, v23
	v_mul_f32_e64 v8, v23, -v5
	v_mul_f32_e64 v9, v24, -v4
	v_mul_f32_e32 v10, v3, v24
	v_fma_f32 v7, -v5, v17, v7
	v_fma_f32 v8, -v6, v17, v8
	v_fmac_f32_e32 v9, v3, v19
	v_fmac_f32_e32 v10, v4, v19
	v_add_f32_e32 v7, v7, v9
	v_add_f32_e32 v8, v8, v10
	global_store_dwordx2 v[77:78], v[7:8], off
	v_mul_f32_e32 v7, v6, v18
	v_mul_f32_e64 v8, v18, -v5
	v_mul_f32_e64 v9, v20, -v4
	v_mul_f32_e32 v10, v3, v20
	v_fma_f32 v7, -v5, v15, v7
	v_fma_f32 v8, -v6, v15, v8
	v_fmac_f32_e32 v9, v3, v16
	v_fmac_f32_e32 v10, v4, v16
	v_add_f32_e32 v7, v7, v9
	v_add_f32_e32 v8, v8, v10
	v_mov_b32_e32 v1, 0
	global_store_dwordx2 v[79:80], v[7:8], off
	v_mov_b32_e32 v7, 0
	s_and_saveexec_b64 s[20:21], s[2:3]
	s_cbranch_execz .LBB259_16
; %bb.15:                               ;   in Loop: Header=BB259_5 Depth=1
	v_add_u32_e32 v7, v26, v27
	v_add_u32_e32 v1, s28, v7
	v_lshlrev_b64 v[8:9], 3, v[1:2]
	v_mov_b32_e32 v1, s9
	v_add_co_u32_e32 v8, vcc, s8, v8
	v_addc_co_u32_e32 v9, vcc, v1, v9, vcc
	global_load_dwordx2 v[53:54], v[8:9], off
	v_mul_f32_e32 v1, v6, v14
	v_mul_f32_e64 v10, v14, -v5
	v_mul_f32_e64 v57, v14, -v4
	v_mul_f32_e32 v58, v3, v14
	v_fma_f32 v60, -v5, v13, v1
	v_fma_f32 v10, -v6, v13, v10
	v_fmac_f32_e32 v57, v3, v13
	v_fmac_f32_e32 v58, v4, v13
	v_mul_f32_e32 v5, v10, v48
	v_mul_f32_e64 v6, v48, -v60
	v_add_u32_e32 v1, s29, v7
	v_mul_f32_e64 v48, v52, -v58
	v_mul_f32_e32 v52, v57, v52
	v_fma_f32 v56, -v60, v45, v5
	v_fma_f32 v45, -v10, v45, v6
	v_lshlrev_b64 v[5:6], 3, v[1:2]
	v_fmac_f32_e32 v52, v58, v51
	v_add_u32_e32 v1, s30, v7
	v_mov_b32_e32 v55, s9
	v_fmac_f32_e32 v48, v57, v51
	v_sub_f32_e32 v45, v45, v52
	v_lshlrev_b64 v[51:52], 3, v[1:2]
	v_add_co_u32_e32 v5, vcc, s8, v5
	v_sub_f32_e32 v48, v56, v48
	v_addc_co_u32_e32 v6, vcc, v55, v6, vcc
	v_mov_b32_e32 v59, s9
	global_load_dwordx2 v[55:56], v[5:6], off
	v_add_co_u32_e32 v51, vcc, s8, v51
	v_addc_co_u32_e32 v52, vcc, v59, v52, vcc
	v_mul_f32_e32 v1, v10, v39
	v_mul_f32_e64 v39, v39, -v60
	v_mul_f32_e64 v59, v50, -v58
	v_mul_f32_e32 v50, v57, v50
	v_fma_f32 v1, -v60, v36, v1
	v_fma_f32 v36, -v10, v36, v39
	v_fmac_f32_e32 v59, v57, v47
	v_fmac_f32_e32 v50, v58, v47
	s_waitcnt vmcnt(1)
	v_add_f32_e32 v53, v48, v53
	v_add_f32_e32 v54, v45, v54
	global_store_dwordx2 v[8:9], v[53:54], off
	global_load_dwordx2 v[8:9], v[51:52], off
	v_mul_f32_e64 v45, v41, -v58
	v_mul_f32_e32 v41, v57, v41
	v_mul_f32_e32 v54, v10, v49
	v_mul_f32_e64 v49, v49, -v60
	v_fmac_f32_e32 v45, v57, v38
	v_fmac_f32_e32 v41, v58, v38
	v_fma_f32 v38, -v60, v44, v54
	v_fma_f32 v39, -v10, v44, v49
	v_sub_f32_e32 v47, v1, v45
	v_add_u32_e32 v1, s31, v7
	v_sub_f32_e32 v36, v36, v41
	v_sub_f32_e32 v41, v38, v59
	;; [unrolled: 1-line block ×3, first 2 shown]
	v_lshlrev_b64 v[38:39], 3, v[1:2]
	v_add_u32_e32 v1, s33, v7
	v_mov_b32_e32 v48, s9
	v_lshlrev_b64 v[44:45], 3, v[1:2]
	v_add_co_u32_e32 v38, vcc, s8, v38
	v_addc_co_u32_e32 v39, vcc, v48, v39, vcc
	v_mov_b32_e32 v53, s9
	v_add_co_u32_e32 v44, vcc, s8, v44
	v_addc_co_u32_e32 v45, vcc, v53, v45, vcc
	s_waitcnt vmcnt(2)
	v_add_f32_e32 v47, v47, v55
	v_add_f32_e32 v48, v36, v56
	global_store_dwordx2 v[5:6], v[47:48], off
	global_load_dwordx2 v[5:6], v[38:39], off
	v_mul_f32_e32 v1, v10, v35
	v_mul_f32_e64 v36, v37, -v58
	v_mul_f32_e64 v35, v35, -v60
	v_mul_f32_e32 v37, v57, v37
	v_mul_f32_e32 v47, v10, v43
	v_mul_f32_e64 v43, v43, -v60
	v_mul_f32_e64 v48, v46, -v58
	v_mul_f32_e32 v46, v57, v46
	v_fma_f32 v1, -v60, v30, v1
	v_fmac_f32_e32 v36, v57, v32
	v_fma_f32 v30, -v10, v30, v35
	v_fmac_f32_e32 v37, v58, v32
	v_fma_f32 v32, -v60, v40, v47
	v_fma_f32 v35, -v10, v40, v43
	v_fmac_f32_e32 v46, v58, v42
	v_sub_f32_e32 v40, v1, v36
	v_add_u32_e32 v1, s34, v7
	v_fmac_f32_e32 v48, v57, v42
	v_sub_f32_e32 v30, v30, v37
	v_sub_f32_e32 v37, v35, v46
	v_lshlrev_b64 v[35:36], 3, v[1:2]
	v_sub_f32_e32 v32, v32, v48
	v_add_co_u32_e32 v35, vcc, s8, v35
	v_mul_f32_e32 v1, v10, v33
	v_fma_f32 v1, -v60, v29, v1
	s_waitcnt vmcnt(2)
	v_add_f32_e32 v8, v41, v8
	v_add_f32_e32 v9, v49, v9
	global_store_dwordx2 v[51:52], v[8:9], off
	global_load_dwordx2 v[8:9], v[44:45], off
	v_mov_b32_e32 v41, s9
	v_addc_co_u32_e32 v36, vcc, v41, v36, vcc
	s_waitcnt vmcnt(2)
	v_add_f32_e32 v5, v40, v5
	v_add_f32_e32 v6, v30, v6
	global_store_dwordx2 v[38:39], v[5:6], off
	v_mov_b32_e32 v30, s9
	s_waitcnt vmcnt(1)
	v_add_f32_e32 v5, v32, v8
	v_add_f32_e32 v6, v37, v9
	global_store_dwordx2 v[44:45], v[5:6], off
	global_load_dwordx2 v[5:6], v[35:36], off
	v_mul_f32_e64 v9, v34, -v58
	v_mul_f32_e64 v8, v33, -v60
	v_mul_f32_e32 v32, v57, v34
	v_fmac_f32_e32 v9, v57, v31
	v_fma_f32 v8, -v10, v29, v8
	v_fmac_f32_e32 v32, v58, v31
	v_sub_f32_e32 v31, v1, v9
	v_add_u32_e32 v1, s35, v7
	v_sub_f32_e32 v32, v8, v32
	v_lshlrev_b64 v[8:9], 3, v[1:2]
	v_mov_b32_e32 v1, s15
	v_add_co_u32_e32 v29, vcc, s8, v8
	v_addc_co_u32_e32 v30, vcc, v30, v9, vcc
	v_ashrrev_i32_e32 v8, 31, v7
	v_lshlrev_b64 v[8:9], 3, v[7:8]
	v_mul_f32_e64 v33, v24, -v58
	v_mul_f32_e32 v24, v57, v24
	v_add_co_u32_e32 v8, vcc, s14, v8
	v_fmac_f32_e32 v24, v58, v19
	v_addc_co_u32_e32 v9, vcc, v1, v9, vcc
	v_add_u32_e32 v1, s36, v7
	v_fmac_f32_e32 v33, v57, v19
	global_load_dwordx2 v[8:9], v[8:9], off
	v_mul_f32_e64 v7, v18, -v60
	v_fma_f32 v7, -v10, v15, v7
	s_waitcnt vmcnt(1)
	v_add_f32_e32 v5, v31, v5
	v_add_f32_e32 v6, v32, v6
	global_store_dwordx2 v[35:36], v[5:6], off
	global_load_dwordx2 v[5:6], v[29:30], off
	v_mul_f32_e32 v32, v10, v23
	v_mul_f32_e64 v23, v23, -v60
	v_fma_f32 v32, -v60, v17, v32
	v_fma_f32 v17, -v10, v17, v23
	v_sub_f32_e32 v17, v17, v24
	v_lshlrev_b64 v[23:24], 3, v[1:2]
	v_sub_f32_e32 v19, v32, v33
	v_mov_b32_e32 v31, s9
	v_add_co_u32_e32 v23, vcc, s8, v23
	v_addc_co_u32_e32 v24, vcc, v31, v24, vcc
	v_mul_f32_e64 v1, v4, -v14
	v_mul_f32_e32 v4, v4, v13
	v_fmac_f32_e32 v1, v13, v3
	v_fmac_f32_e32 v4, v14, v3
	v_mul_f32_e32 v3, v10, v18
	v_mul_f32_e64 v13, v20, -v58
	v_mul_f32_e32 v14, v57, v20
	v_fma_f32 v3, -v60, v15, v3
	v_fmac_f32_e32 v13, v57, v16
	v_fmac_f32_e32 v14, v58, v16
	s_waitcnt vmcnt(0)
	v_add_f32_e32 v5, v19, v5
	v_add_f32_e32 v6, v17, v6
	global_store_dwordx2 v[29:30], v[5:6], off
	global_load_dwordx2 v[5:6], v[23:24], off
	v_mul_f32_e64 v17, v12, -v4
	v_mul_f32_e32 v12, v12, v1
	v_fmac_f32_e32 v17, v1, v11
	v_fmac_f32_e32 v12, v4, v11
	v_sub_f32_e32 v1, v3, v13
	v_mul_f32_e64 v3, v22, -v12
	v_mul_f32_e32 v10, v22, v17
	v_sub_f32_e32 v4, v7, v14
	v_fmac_f32_e32 v3, v17, v21
	v_fmac_f32_e32 v10, v12, v21
	v_sub_f32_e32 v7, v8, v3
	s_waitcnt vmcnt(0)
	v_add_f32_e32 v3, v1, v5
	v_add_f32_e32 v4, v4, v6
	v_sub_f32_e32 v1, v9, v10
	global_store_dwordx2 v[23:24], v[3:4], off
.LBB259_16:                             ;   in Loop: Header=BB259_5 Depth=1
	s_or_b64 exec, exec, s[20:21]
	v_mov_b32_e32 v4, v1
	v_mov_b32_e32 v3, v7
                                        ; implicit-def: $vgpr7_vgpr8
                                        ; implicit-def: $vgpr5
                                        ; implicit-def: $vgpr9
                                        ; implicit-def: $vgpr30
                                        ; implicit-def: $vgpr29
                                        ; implicit-def: $vgpr23
                                        ; implicit-def: $vgpr21
                                        ; implicit-def: $vgpr19
                                        ; implicit-def: $vgpr18
                                        ; implicit-def: $vgpr17
                                        ; implicit-def: $vgpr16
                                        ; implicit-def: $vgpr15
.LBB259_17:                             ;   in Loop: Header=BB259_5 Depth=1
	s_or_saveexec_b64 s[2:3], s[4:5]
	v_mov_b32_e32 v8, s27
	s_xor_b64 exec, exec, s[2:3]
	s_cbranch_execz .LBB259_4
; %bb.18:                               ;   in Loop: Header=BB259_5 Depth=1
	v_lshlrev_b64 v[11:12], 3, v[1:2]
	v_mov_b32_e32 v24, v2
	v_mov_b32_e32 v1, s9
	v_lshlrev_b64 v[13:14], 3, v[23:24]
	v_add_co_u32_e32 v32, vcc, s8, v11
	v_mov_b32_e32 v22, v2
	v_addc_co_u32_e32 v33, vcc, v1, v12, vcc
	v_mov_b32_e32 v8, s9
	v_lshlrev_b64 v[21:22], 3, v[21:22]
	v_add_co_u32_e32 v34, vcc, s8, v13
	v_mov_b32_e32 v20, v2
	v_addc_co_u32_e32 v35, vcc, v8, v14, vcc
	v_mov_b32_e32 v31, s9
	v_lshlrev_b64 v[19:20], 3, v[19:20]
	v_add_co_u32_e32 v36, vcc, s8, v21
	v_addc_co_u32_e32 v37, vcc, v31, v22, vcc
	v_add_co_u32_e32 v38, vcc, s8, v19
	v_mov_b32_e32 v19, v2
	v_mov_b32_e32 v39, s9
	v_lshlrev_b64 v[13:14], 3, v[18:19]
	v_addc_co_u32_e32 v39, vcc, v39, v20, vcc
	v_add_co_u32_e32 v40, vcc, s8, v13
	v_mov_b32_e32 v18, v2
	v_addc_co_u32_e32 v41, vcc, v1, v14, vcc
	v_lshlrev_b64 v[13:14], 3, v[17:18]
	v_mov_b32_e32 v17, v2
	v_add_co_u32_e32 v44, vcc, s8, v13
	v_addc_co_u32_e32 v45, vcc, v1, v14, vcc
	v_lshlrev_b64 v[13:14], 3, v[16:17]
	v_mov_b32_e32 v16, v2
	v_add_co_u32_e32 v50, vcc, s8, v13
	v_addc_co_u32_e32 v51, vcc, v1, v14, vcc
	v_lshlrev_b64 v[13:14], 3, v[15:16]
	global_load_dwordx2 v[11:12], v[32:33], off
	v_add_co_u32_e32 v56, vcc, s8, v13
	v_addc_co_u32_e32 v57, vcc, v1, v14, vcc
	global_load_dwordx2 v[18:19], v[34:35], off
	global_load_dwordx2 v[42:43], v[36:37], off
	;; [unrolled: 1-line block ×7, first 2 shown]
	v_mul_f32_e32 v1, v4, v4
	v_fmac_f32_e32 v1, v3, v3
	v_div_scale_f32 v8, s[4:5], v1, v1, 1.0
	v_div_scale_f32 v13, vcc, 1.0, v1, 1.0
	v_rcp_f32_e32 v14, v8
	v_fma_f32 v15, -v8, v14, 1.0
	v_fmac_f32_e32 v14, v15, v14
	v_mul_f32_e32 v15, v13, v14
	v_fma_f32 v16, -v8, v15, v13
	v_fmac_f32_e32 v15, v16, v14
	v_fma_f32 v8, -v8, v15, v13
	v_div_fmas_f32 v8, v8, v14, v15
	v_fma_f32 v13, 0, v4, v3
	v_fma_f32 v3, v3, 0, -v4
	v_div_fixup_f32 v1, v8, v1, 1.0
	v_mul_f32_e32 v31, v3, v1
	v_mul_f32_e32 v8, v13, v1
	s_waitcnt vmcnt(7)
	v_mul_f32_e64 v23, v31, -v12
	v_mul_f32_e32 v24, v31, v11
	v_fmac_f32_e32 v23, v11, v8
	v_fmac_f32_e32 v24, v12, v8
	s_waitcnt vmcnt(6)
	v_mul_f32_e64 v21, v31, -v19
	v_mul_f32_e32 v22, v31, v18
	v_fmac_f32_e32 v21, v18, v8
	v_fmac_f32_e32 v22, v19, v8
	s_waitcnt vmcnt(5)
	v_mul_f32_e64 v19, v31, -v43
	v_mul_f32_e32 v20, v31, v42
	s_waitcnt vmcnt(4)
	v_mul_f32_e64 v17, v31, -v47
	v_mul_f32_e32 v18, v31, v46
	;; [unrolled: 3-line block ×6, first 2 shown]
	v_fmac_f32_e32 v19, v42, v8
	v_fmac_f32_e32 v20, v43, v8
	;; [unrolled: 1-line block ×12, first 2 shown]
	global_store_dwordx2 v[32:33], v[23:24], off
	global_store_dwordx2 v[34:35], v[21:22], off
	global_store_dwordx2 v[36:37], v[19:20], off
	global_store_dwordx2 v[38:39], v[17:18], off
	global_store_dwordx2 v[40:41], v[15:16], off
	global_store_dwordx2 v[44:45], v[13:14], off
	global_store_dwordx2 v[50:51], v[11:12], off
	global_store_dwordx2 v[56:57], v[3:4], off
	s_and_saveexec_b64 s[4:5], s[0:1]
	s_cbranch_execz .LBB259_3
; %bb.19:                               ;   in Loop: Header=BB259_5 Depth=1
	v_add_u32_e32 v42, v25, v27
	v_add_u32_e32 v1, s28, v42
	v_lshlrev_b64 v[32:33], 3, v[1:2]
	v_mov_b32_e32 v1, s9
	v_add_co_u32_e32 v32, vcc, s8, v32
	v_addc_co_u32_e32 v33, vcc, v1, v33, vcc
	global_load_dwordx2 v[34:35], v[32:33], off
	v_add_u32_e32 v1, s29, v42
	v_lshlrev_b64 v[36:37], 3, v[1:2]
	v_mov_b32_e32 v40, s9
	v_add_u32_e32 v1, s30, v42
	v_add_co_u32_e32 v36, vcc, s8, v36
	v_lshlrev_b64 v[38:39], 3, v[1:2]
	v_addc_co_u32_e32 v37, vcc, v40, v37, vcc
	global_load_dwordx2 v[40:41], v[36:37], off
	v_mov_b32_e32 v43, s9
	v_add_co_u32_e32 v38, vcc, s8, v38
	v_addc_co_u32_e32 v39, vcc, v43, v39, vcc
	v_mov_b32_e32 v44, s9
	s_waitcnt vmcnt(1)
	v_fma_f32 v34, -v5, v23, v34
	v_fma_f32 v1, -v6, v23, v35
	v_fmac_f32_e32 v34, v6, v24
	v_fma_f32 v35, -v5, v24, v1
	global_store_dwordx2 v[32:33], v[34:35], off
	global_load_dwordx2 v[23:24], v[38:39], off
	v_add_u32_e32 v1, s31, v42
	v_lshlrev_b64 v[32:33], 3, v[1:2]
	v_add_u32_e32 v1, s33, v42
	v_lshlrev_b64 v[34:35], 3, v[1:2]
	v_add_co_u32_e32 v32, vcc, s8, v32
	s_waitcnt vmcnt(2)
	v_fma_f32 v40, -v5, v21, v40
	v_fma_f32 v1, -v6, v21, v41
	v_addc_co_u32_e32 v33, vcc, v43, v33, vcc
	v_fmac_f32_e32 v40, v6, v22
	v_fma_f32 v41, -v5, v22, v1
	v_add_co_u32_e32 v34, vcc, s8, v34
	global_store_dwordx2 v[36:37], v[40:41], off
	v_addc_co_u32_e32 v35, vcc, v44, v35, vcc
	global_load_dwordx2 v[21:22], v[32:33], off
	v_mov_b32_e32 v36, s9
	s_waitcnt vmcnt(2)
	v_fma_f32 v23, -v5, v19, v23
	v_fma_f32 v1, -v6, v19, v24
	v_fmac_f32_e32 v23, v6, v20
	v_fma_f32 v24, -v5, v20, v1
	global_store_dwordx2 v[38:39], v[23:24], off
	global_load_dwordx2 v[19:20], v[34:35], off
	v_add_u32_e32 v1, s34, v42
	v_lshlrev_b64 v[23:24], 3, v[1:2]
	v_add_co_u32_e32 v23, vcc, s8, v23
	v_addc_co_u32_e32 v24, vcc, v36, v24, vcc
	s_waitcnt vmcnt(2)
	v_fma_f32 v1, -v6, v17, v22
	v_fma_f32 v21, -v5, v17, v21
	;; [unrolled: 1-line block ×3, first 2 shown]
	v_fmac_f32_e32 v21, v6, v18
	global_store_dwordx2 v[32:33], v[21:22], off
	s_waitcnt vmcnt(1)
	v_fma_f32 v17, -v5, v15, v19
	v_fma_f32 v1, -v6, v15, v20
	v_fmac_f32_e32 v17, v6, v16
	v_fma_f32 v18, -v5, v16, v1
	global_store_dwordx2 v[34:35], v[17:18], off
	global_load_dwordx2 v[15:16], v[23:24], off
	v_add_u32_e32 v1, s35, v42
	v_lshlrev_b64 v[17:18], 3, v[1:2]
	v_mov_b32_e32 v19, s9
	v_add_co_u32_e32 v17, vcc, s8, v17
	v_addc_co_u32_e32 v18, vcc, v19, v18, vcc
	s_waitcnt vmcnt(0)
	v_fma_f32 v15, -v5, v13, v15
	v_fma_f32 v1, -v6, v13, v16
	v_fmac_f32_e32 v15, v6, v14
	v_fma_f32 v16, -v5, v14, v1
	global_store_dwordx2 v[23:24], v[15:16], off
	global_load_dwordx2 v[13:14], v[17:18], off
	v_add_u32_e32 v1, s36, v42
	v_lshlrev_b64 v[15:16], 3, v[1:2]
	v_add_co_u32_e32 v15, vcc, s8, v15
	v_addc_co_u32_e32 v16, vcc, v19, v16, vcc
	s_waitcnt vmcnt(0)
	v_fma_f32 v13, -v5, v11, v13
	v_fma_f32 v1, -v6, v11, v14
	v_fmac_f32_e32 v13, v6, v12
	v_fma_f32 v14, -v5, v12, v1
	global_store_dwordx2 v[17:18], v[13:14], off
	global_load_dwordx2 v[11:12], v[15:16], off
	s_waitcnt vmcnt(0)
	v_fma_f32 v11, -v5, v3, v11
	v_fma_f32 v1, -v6, v3, v12
	v_fmac_f32_e32 v11, v6, v4
	v_fma_f32 v12, -v5, v4, v1
	global_store_dwordx2 v[15:16], v[11:12], off
	s_branch .LBB259_3
.LBB259_20:
	s_or_b64 exec, exec, s[18:19]
	s_branch .LBB259_22
.LBB259_21:
	v_mov_b32_e32 v27, 0
.LBB259_22:
	v_subrev_u32_e32 v3, s22, v27
	v_add_u32_e32 v1, v3, v0
	v_ashrrev_i32_e32 v2, 31, v1
	v_lshlrev_b64 v[1:2], 2, v[1:2]
	s_waitcnt lgkmcnt(0)
	v_mov_b32_e32 v4, s17
	v_add_co_u32_e32 v1, vcc, s16, v1
	v_addc_co_u32_e32 v2, vcc, v4, v2, vcc
	s_waitcnt vmcnt(0)
	buffer_wbinvl1_vol
	global_load_dword v1, v[1:2], off
	s_waitcnt vmcnt(0)
	v_mul_lo_u32 v1, v1, s22
	v_sub_u32_e32 v7, v3, v1
	v_cmp_lt_i32_e32 vcc, -1, v7
	s_and_b64 exec, exec, vcc
	s_cbranch_execz .LBB259_29
; %bb.23:
	s_lshl_b32 s4, s24, 3
	s_add_i32 s5, s4, s23
	s_add_i32 s6, s5, s23
	;; [unrolled: 1-line block ×7, first 2 shown]
	s_lshl_b32 s18, s22, 1
	s_mov_b64 s[0:1], 0
	v_mov_b32_e32 v8, s17
	v_mov_b32_e32 v9, s11
	;; [unrolled: 1-line block ×3, first 2 shown]
	s_branch .LBB259_25
.LBB259_24:                             ;   in Loop: Header=BB259_25 Depth=1
	s_or_b64 exec, exec, s[2:3]
	v_sub_u32_e32 v7, v7, v1
	v_cmp_gt_i32_e32 vcc, 0, v7
	s_or_b64 s[0:1], vcc, s[0:1]
	s_andn2_b64 exec, exec, s[0:1]
	s_cbranch_execz .LBB259_29
.LBB259_25:                             ; =>This Inner Loop Header: Depth=1
	v_add_u32_e32 v5, v7, v0
	v_ashrrev_i32_e32 v6, 31, v5
	s_waitcnt vmcnt(0)
	v_lshlrev_b64 v[3:4], 2, v[5:6]
	v_add_co_u32_e32 v3, vcc, s16, v3
	v_addc_co_u32_e32 v4, vcc, v8, v4, vcc
	global_load_dword v1, v[3:4], off
	v_lshlrev_b64 v[3:4], 3, v[5:6]
	v_add_co_u32_e32 v3, vcc, s10, v3
	v_addc_co_u32_e32 v4, vcc, v9, v4, vcc
	global_load_dwordx2 v[3:4], v[3:4], off
	s_waitcnt vmcnt(1)
	v_cmp_ne_u32_e32 vcc, 1, v1
	s_and_saveexec_b64 s[2:3], vcc
	s_xor_b64 s[2:3], exec, s[2:3]
	s_cbranch_execz .LBB259_27
; %bb.26:                               ;   in Loop: Header=BB259_25 Depth=1
	v_add_u32_e32 v6, v25, v7
	v_add_u32_e32 v1, s4, v6
	v_lshlrev_b64 v[10:11], 3, v[1:2]
	v_mov_b32_e32 v1, s9
	v_add_co_u32_e32 v10, vcc, s8, v10
	v_addc_co_u32_e32 v11, vcc, v1, v11, vcc
	v_add_u32_e32 v1, s5, v6
	v_lshlrev_b64 v[12:13], 3, v[1:2]
	v_add_u32_e32 v1, s6, v6
	v_lshlrev_b64 v[14:15], 3, v[1:2]
	;; [unrolled: 2-line block ×8, first 2 shown]
	v_mov_b32_e32 v1, s9
	v_add_co_u32_e32 v28, vcc, s8, v28
	v_addc_co_u32_e32 v29, vcc, v1, v29, vcc
	global_load_dwordx2 v[10:11], v[10:11], off
	v_add_co_u32_e32 v12, vcc, s8, v12
	global_load_dwordx2 v[30:31], v[28:29], off
	v_addc_co_u32_e32 v13, vcc, v1, v13, vcc
	v_mov_b32_e32 v6, s9
	v_add_co_u32_e32 v14, vcc, s8, v14
	v_addc_co_u32_e32 v15, vcc, v6, v15, vcc
	v_mov_b32_e32 v24, s9
	v_add_co_u32_e32 v16, vcc, s8, v16
	v_addc_co_u32_e32 v17, vcc, v24, v17, vcc
	v_mov_b32_e32 v38, s9
	global_load_dwordx2 v[32:33], v[12:13], off
	global_load_dwordx2 v[34:35], v[14:15], off
	;; [unrolled: 1-line block ×3, first 2 shown]
	v_add_co_u32_e32 v12, vcc, s8, v18
	v_addc_co_u32_e32 v13, vcc, v38, v19, vcc
	v_mov_b32_e32 v39, s9
	v_add_co_u32_e32 v14, vcc, s8, v20
	v_addc_co_u32_e32 v15, vcc, v39, v21, vcc
	v_mov_b32_e32 v40, s9
	v_add_co_u32_e32 v16, vcc, s8, v22
	v_addc_co_u32_e32 v17, vcc, v40, v23, vcc
	v_add_u32_e32 v1, s5, v5
	v_mov_b32_e32 v41, s9
	v_add_co_u32_e32 v18, vcc, s8, v26
	v_lshlrev_b64 v[20:21], 3, v[1:2]
	v_addc_co_u32_e32 v19, vcc, v41, v27, vcc
	global_load_dwordx2 v[22:23], v[12:13], off
	global_load_dwordx2 v[26:27], v[14:15], off
	;; [unrolled: 1-line block ×4, first 2 shown]
	v_mov_b32_e32 v42, s9
	v_add_co_u32_e32 v12, vcc, s8, v20
	v_addc_co_u32_e32 v13, vcc, v42, v21, vcc
	v_mov_b32_e32 v19, s9
	s_waitcnt vmcnt(7)
	v_fma_f32 v14, -v3, v10, v30
	v_fma_f32 v1, -v4, v10, v31
	v_fmac_f32_e32 v14, v4, v11
	v_fma_f32 v15, -v3, v11, v1
	global_store_dwordx2 v[28:29], v[14:15], off
	global_load_dwordx2 v[14:15], v[12:13], off
	v_add_u32_e32 v1, s6, v5
	v_lshlrev_b64 v[16:17], 3, v[1:2]
	v_add_co_u32_e32 v16, vcc, s8, v16
	v_addc_co_u32_e32 v17, vcc, v6, v17, vcc
	s_waitcnt vmcnt(0)
	v_fma_f32 v14, -v3, v32, v14
	v_fma_f32 v1, -v4, v32, v15
	v_fmac_f32_e32 v14, v4, v33
	v_fma_f32 v15, -v3, v33, v1
	global_store_dwordx2 v[12:13], v[14:15], off
	global_load_dwordx2 v[12:13], v[16:17], off
	v_add_u32_e32 v1, s7, v5
	v_lshlrev_b64 v[14:15], 3, v[1:2]
	v_add_co_u32_e32 v14, vcc, s8, v14
	v_addc_co_u32_e32 v15, vcc, v6, v15, vcc
	;; [unrolled: 11-line block ×5, first 2 shown]
	s_waitcnt vmcnt(0)
	v_fma_f32 v12, -v3, v26, v12
	v_fma_f32 v1, -v4, v26, v13
	v_fmac_f32_e32 v12, v4, v27
	v_fma_f32 v13, -v3, v27, v1
	global_store_dwordx2 v[14:15], v[12:13], off
	global_load_dwordx2 v[12:13], v[16:17], off
	v_add_u32_e32 v1, s15, v5
	v_lshlrev_b64 v[5:6], 3, v[1:2]
	v_mov_b32_e32 v14, s9
	v_add_co_u32_e32 v5, vcc, s8, v5
	v_addc_co_u32_e32 v6, vcc, v14, v6, vcc
	s_waitcnt vmcnt(0)
	v_fma_f32 v12, -v3, v38, v12
	v_fma_f32 v1, -v4, v38, v13
	v_fmac_f32_e32 v12, v4, v39
	v_fma_f32 v13, -v3, v39, v1
	global_store_dwordx2 v[16:17], v[12:13], off
	global_load_dwordx2 v[12:13], v[5:6], off
	v_subrev_u32_e32 v1, s22, v7
	v_add_u32_e32 v14, v1, v0
	v_ashrrev_i32_e32 v15, 31, v14
	v_lshlrev_b64 v[15:16], 3, v[14:15]
	v_mov_b32_e32 v17, s11
	v_add_co_u32_e32 v15, vcc, s10, v15
	v_add_u32_e32 v1, s4, v14
	v_addc_co_u32_e32 v16, vcc, v17, v16, vcc
	v_lshlrev_b64 v[17:18], 3, v[1:2]
	global_load_dwordx2 v[15:16], v[15:16], off
	v_add_co_u32_e32 v17, vcc, s8, v17
	v_addc_co_u32_e32 v18, vcc, v19, v18, vcc
	s_waitcnt vmcnt(1)
	v_fma_f32 v12, -v3, v40, v12
	v_fma_f32 v1, -v4, v40, v13
	v_fmac_f32_e32 v12, v4, v41
	v_fma_f32 v13, -v3, v41, v1
	global_store_dwordx2 v[5:6], v[12:13], off
	global_load_dwordx2 v[3:4], v[17:18], off
	v_add_u32_e32 v1, s5, v14
	v_lshlrev_b64 v[5:6], 3, v[1:2]
	v_mov_b32_e32 v12, s9
	v_add_co_u32_e32 v5, vcc, s8, v5
	v_addc_co_u32_e32 v6, vcc, v12, v6, vcc
	s_waitcnt vmcnt(0)
	v_fma_f32 v3, -v15, v10, v3
	v_fma_f32 v1, -v16, v10, v4
	v_fmac_f32_e32 v3, v16, v11
	v_fma_f32 v4, -v15, v11, v1
	global_store_dwordx2 v[17:18], v[3:4], off
	global_load_dwordx2 v[3:4], v[5:6], off
	v_add_u32_e32 v1, s6, v14
	v_lshlrev_b64 v[10:11], 3, v[1:2]
	v_add_co_u32_e32 v10, vcc, s8, v10
	v_addc_co_u32_e32 v11, vcc, v12, v11, vcc
	s_waitcnt vmcnt(0)
	v_fma_f32 v3, -v15, v32, v3
	v_fma_f32 v1, -v16, v32, v4
	v_fmac_f32_e32 v3, v16, v33
	v_fma_f32 v4, -v15, v33, v1
	global_store_dwordx2 v[5:6], v[3:4], off
	global_load_dwordx2 v[3:4], v[10:11], off
	v_add_u32_e32 v1, s7, v14
	v_lshlrev_b64 v[5:6], 3, v[1:2]
	;; [unrolled: 11-line block ×6, first 2 shown]
	v_add_co_u32_e32 v5, vcc, s8, v5
	v_addc_co_u32_e32 v6, vcc, v12, v6, vcc
	s_waitcnt vmcnt(0)
	v_fma_f32 v3, -v15, v38, v3
	v_fma_f32 v1, -v16, v38, v4
	v_fmac_f32_e32 v3, v16, v39
	v_fma_f32 v4, -v15, v39, v1
	global_store_dwordx2 v[10:11], v[3:4], off
	global_load_dwordx2 v[3:4], v[5:6], off
	s_waitcnt vmcnt(0)
	v_fma_f32 v3, -v15, v40, v3
	v_fma_f32 v1, -v16, v40, v4
	v_fmac_f32_e32 v3, v16, v41
	v_fma_f32 v4, -v15, v41, v1
	global_store_dwordx2 v[5:6], v[3:4], off
                                        ; implicit-def: $vgpr5
                                        ; implicit-def: $vgpr3_vgpr4
.LBB259_27:                             ;   in Loop: Header=BB259_25 Depth=1
	s_or_saveexec_b64 s[2:3], s[2:3]
	v_mov_b32_e32 v1, s18
	s_xor_b64 exec, exec, s[2:3]
	s_cbranch_execz .LBB259_24
; %bb.28:                               ;   in Loop: Header=BB259_25 Depth=1
	v_add_u32_e32 v6, v25, v7
	v_add_u32_e32 v1, s4, v6
	v_lshlrev_b64 v[10:11], 3, v[1:2]
	v_mov_b32_e32 v1, s9
	v_add_co_u32_e32 v10, vcc, s8, v10
	v_addc_co_u32_e32 v11, vcc, v1, v11, vcc
	v_add_u32_e32 v1, s4, v5
	v_lshlrev_b64 v[12:13], 3, v[1:2]
	v_mov_b32_e32 v1, s9
	v_add_co_u32_e32 v12, vcc, s8, v12
	v_addc_co_u32_e32 v13, vcc, v1, v13, vcc
	global_load_dwordx2 v[14:15], v[10:11], off
	global_load_dwordx2 v[16:17], v[12:13], off
	v_add_u32_e32 v1, s5, v6
	v_lshlrev_b64 v[10:11], 3, v[1:2]
	v_add_u32_e32 v1, s5, v5
	v_mov_b32_e32 v20, s9
	v_lshlrev_b64 v[18:19], 3, v[1:2]
	v_add_co_u32_e32 v10, vcc, s8, v10
	v_addc_co_u32_e32 v11, vcc, v20, v11, vcc
	v_mov_b32_e32 v21, s9
	v_add_co_u32_e32 v18, vcc, s8, v18
	v_addc_co_u32_e32 v19, vcc, v21, v19, vcc
	s_waitcnt vmcnt(0)
	v_fma_f32 v16, -v3, v14, v16
	v_fma_f32 v1, -v4, v14, v17
	v_fmac_f32_e32 v16, v4, v15
	v_fma_f32 v17, -v3, v15, v1
	global_store_dwordx2 v[12:13], v[16:17], off
	global_load_dwordx2 v[12:13], v[10:11], off
	s_nop 0
	global_load_dwordx2 v[14:15], v[18:19], off
	v_add_u32_e32 v1, s6, v6
	v_lshlrev_b64 v[10:11], 3, v[1:2]
	v_add_u32_e32 v1, s6, v5
	v_lshlrev_b64 v[16:17], 3, v[1:2]
	v_add_co_u32_e32 v10, vcc, s8, v10
	v_addc_co_u32_e32 v11, vcc, v20, v11, vcc
	v_add_co_u32_e32 v16, vcc, s8, v16
	v_addc_co_u32_e32 v17, vcc, v21, v17, vcc
	s_waitcnt vmcnt(0)
	v_fma_f32 v14, -v3, v12, v14
	v_fma_f32 v1, -v4, v12, v15
	v_fmac_f32_e32 v14, v4, v13
	v_fma_f32 v15, -v3, v13, v1
	global_store_dwordx2 v[18:19], v[14:15], off
	global_load_dwordx2 v[12:13], v[10:11], off
	s_nop 0
	global_load_dwordx2 v[14:15], v[16:17], off
	v_add_u32_e32 v1, s7, v6
	v_lshlrev_b64 v[10:11], 3, v[1:2]
	v_add_u32_e32 v1, s7, v5
	v_lshlrev_b64 v[18:19], 3, v[1:2]
	v_add_co_u32_e32 v10, vcc, s8, v10
	v_addc_co_u32_e32 v11, vcc, v20, v11, vcc
	;; [unrolled: 17-line block ×5, first 2 shown]
	v_add_co_u32_e32 v16, vcc, s8, v16
	v_addc_co_u32_e32 v17, vcc, v21, v17, vcc
	s_waitcnt vmcnt(0)
	v_fma_f32 v14, -v3, v12, v14
	v_fma_f32 v1, -v4, v12, v15
	v_fmac_f32_e32 v14, v4, v13
	v_fma_f32 v15, -v3, v13, v1
	global_store_dwordx2 v[18:19], v[14:15], off
	global_load_dwordx2 v[12:13], v[10:11], off
	s_nop 0
	global_load_dwordx2 v[14:15], v[16:17], off
	v_add_u32_e32 v1, s15, v6
	v_lshlrev_b64 v[10:11], 3, v[1:2]
	v_add_u32_e32 v1, s15, v5
	v_mov_b32_e32 v18, s9
	v_lshlrev_b64 v[5:6], 3, v[1:2]
	v_add_co_u32_e32 v10, vcc, s8, v10
	v_addc_co_u32_e32 v11, vcc, v18, v11, vcc
	v_mov_b32_e32 v19, s9
	v_add_co_u32_e32 v5, vcc, s8, v5
	v_addc_co_u32_e32 v6, vcc, v19, v6, vcc
	s_waitcnt vmcnt(0)
	v_fma_f32 v14, -v3, v12, v14
	v_fma_f32 v1, -v4, v12, v15
	v_fmac_f32_e32 v14, v4, v13
	v_fma_f32 v15, -v3, v13, v1
	global_store_dwordx2 v[16:17], v[14:15], off
	global_load_dwordx2 v[12:13], v[10:11], off
	s_nop 0
	global_load_dwordx2 v[14:15], v[5:6], off
	s_waitcnt vmcnt(0)
	v_fma_f32 v10, -v3, v12, v14
	v_fma_f32 v1, -v4, v12, v15
	v_fmac_f32_e32 v10, v4, v13
	v_fma_f32 v11, -v3, v13, v1
	v_mov_b32_e32 v1, s22
	global_store_dwordx2 v[5:6], v[10:11], off
	s_branch .LBB259_24
.LBB259_29:
	s_endpgm
	.section	.rodata,"a",@progbits
	.p2align	6, 0x0
	.amdhsa_kernel _ZN9rocsparseL19gtsv_LBM_rhs_kernelILj256ELj256ELj8E21rocsparse_complex_numIfEEEviiiPKT2_S5_S5_PS3_S5_PKi
		.amdhsa_group_segment_fixed_size 0
		.amdhsa_private_segment_fixed_size 0
		.amdhsa_kernarg_size 64
		.amdhsa_user_sgpr_count 6
		.amdhsa_user_sgpr_private_segment_buffer 1
		.amdhsa_user_sgpr_dispatch_ptr 0
		.amdhsa_user_sgpr_queue_ptr 0
		.amdhsa_user_sgpr_kernarg_segment_ptr 1
		.amdhsa_user_sgpr_dispatch_id 0
		.amdhsa_user_sgpr_flat_scratch_init 0
		.amdhsa_user_sgpr_private_segment_size 0
		.amdhsa_uses_dynamic_stack 0
		.amdhsa_system_sgpr_private_segment_wavefront_offset 0
		.amdhsa_system_sgpr_workgroup_id_x 1
		.amdhsa_system_sgpr_workgroup_id_y 1
		.amdhsa_system_sgpr_workgroup_id_z 0
		.amdhsa_system_sgpr_workgroup_info 0
		.amdhsa_system_vgpr_workitem_id 0
		.amdhsa_next_free_vgpr 95
		.amdhsa_next_free_sgpr 37
		.amdhsa_reserve_vcc 1
		.amdhsa_reserve_flat_scratch 0
		.amdhsa_float_round_mode_32 0
		.amdhsa_float_round_mode_16_64 0
		.amdhsa_float_denorm_mode_32 3
		.amdhsa_float_denorm_mode_16_64 3
		.amdhsa_dx10_clamp 1
		.amdhsa_ieee_mode 1
		.amdhsa_fp16_overflow 0
		.amdhsa_exception_fp_ieee_invalid_op 0
		.amdhsa_exception_fp_denorm_src 0
		.amdhsa_exception_fp_ieee_div_zero 0
		.amdhsa_exception_fp_ieee_overflow 0
		.amdhsa_exception_fp_ieee_underflow 0
		.amdhsa_exception_fp_ieee_inexact 0
		.amdhsa_exception_int_div_zero 0
	.end_amdhsa_kernel
	.section	.text._ZN9rocsparseL19gtsv_LBM_rhs_kernelILj256ELj256ELj8E21rocsparse_complex_numIfEEEviiiPKT2_S5_S5_PS3_S5_PKi,"axG",@progbits,_ZN9rocsparseL19gtsv_LBM_rhs_kernelILj256ELj256ELj8E21rocsparse_complex_numIfEEEviiiPKT2_S5_S5_PS3_S5_PKi,comdat
.Lfunc_end259:
	.size	_ZN9rocsparseL19gtsv_LBM_rhs_kernelILj256ELj256ELj8E21rocsparse_complex_numIfEEEviiiPKT2_S5_S5_PS3_S5_PKi, .Lfunc_end259-_ZN9rocsparseL19gtsv_LBM_rhs_kernelILj256ELj256ELj8E21rocsparse_complex_numIfEEEviiiPKT2_S5_S5_PS3_S5_PKi
                                        ; -- End function
	.set _ZN9rocsparseL19gtsv_LBM_rhs_kernelILj256ELj256ELj8E21rocsparse_complex_numIfEEEviiiPKT2_S5_S5_PS3_S5_PKi.num_vgpr, 95
	.set _ZN9rocsparseL19gtsv_LBM_rhs_kernelILj256ELj256ELj8E21rocsparse_complex_numIfEEEviiiPKT2_S5_S5_PS3_S5_PKi.num_agpr, 0
	.set _ZN9rocsparseL19gtsv_LBM_rhs_kernelILj256ELj256ELj8E21rocsparse_complex_numIfEEEviiiPKT2_S5_S5_PS3_S5_PKi.numbered_sgpr, 37
	.set _ZN9rocsparseL19gtsv_LBM_rhs_kernelILj256ELj256ELj8E21rocsparse_complex_numIfEEEviiiPKT2_S5_S5_PS3_S5_PKi.num_named_barrier, 0
	.set _ZN9rocsparseL19gtsv_LBM_rhs_kernelILj256ELj256ELj8E21rocsparse_complex_numIfEEEviiiPKT2_S5_S5_PS3_S5_PKi.private_seg_size, 0
	.set _ZN9rocsparseL19gtsv_LBM_rhs_kernelILj256ELj256ELj8E21rocsparse_complex_numIfEEEviiiPKT2_S5_S5_PS3_S5_PKi.uses_vcc, 1
	.set _ZN9rocsparseL19gtsv_LBM_rhs_kernelILj256ELj256ELj8E21rocsparse_complex_numIfEEEviiiPKT2_S5_S5_PS3_S5_PKi.uses_flat_scratch, 0
	.set _ZN9rocsparseL19gtsv_LBM_rhs_kernelILj256ELj256ELj8E21rocsparse_complex_numIfEEEviiiPKT2_S5_S5_PS3_S5_PKi.has_dyn_sized_stack, 0
	.set _ZN9rocsparseL19gtsv_LBM_rhs_kernelILj256ELj256ELj8E21rocsparse_complex_numIfEEEviiiPKT2_S5_S5_PS3_S5_PKi.has_recursion, 0
	.set _ZN9rocsparseL19gtsv_LBM_rhs_kernelILj256ELj256ELj8E21rocsparse_complex_numIfEEEviiiPKT2_S5_S5_PS3_S5_PKi.has_indirect_call, 0
	.section	.AMDGPU.csdata,"",@progbits
; Kernel info:
; codeLenInByte = 7364
; TotalNumSgprs: 41
; NumVgprs: 95
; ScratchSize: 0
; MemoryBound: 0
; FloatMode: 240
; IeeeMode: 1
; LDSByteSize: 0 bytes/workgroup (compile time only)
; SGPRBlocks: 5
; VGPRBlocks: 23
; NumSGPRsForWavesPerEU: 41
; NumVGPRsForWavesPerEU: 95
; Occupancy: 2
; WaveLimiterHint : 0
; COMPUTE_PGM_RSRC2:SCRATCH_EN: 0
; COMPUTE_PGM_RSRC2:USER_SGPR: 6
; COMPUTE_PGM_RSRC2:TRAP_HANDLER: 0
; COMPUTE_PGM_RSRC2:TGID_X_EN: 1
; COMPUTE_PGM_RSRC2:TGID_Y_EN: 1
; COMPUTE_PGM_RSRC2:TGID_Z_EN: 0
; COMPUTE_PGM_RSRC2:TIDIG_COMP_CNT: 0
	.section	.text._ZN9rocsparseL19gtsv_LBM_rhs_kernelILj256ELj256ELj4E21rocsparse_complex_numIfEEEviiiPKT2_S5_S5_PS3_S5_PKi,"axG",@progbits,_ZN9rocsparseL19gtsv_LBM_rhs_kernelILj256ELj256ELj4E21rocsparse_complex_numIfEEEviiiPKT2_S5_S5_PS3_S5_PKi,comdat
	.globl	_ZN9rocsparseL19gtsv_LBM_rhs_kernelILj256ELj256ELj4E21rocsparse_complex_numIfEEEviiiPKT2_S5_S5_PS3_S5_PKi ; -- Begin function _ZN9rocsparseL19gtsv_LBM_rhs_kernelILj256ELj256ELj4E21rocsparse_complex_numIfEEEviiiPKT2_S5_S5_PS3_S5_PKi
	.p2align	8
	.type	_ZN9rocsparseL19gtsv_LBM_rhs_kernelILj256ELj256ELj4E21rocsparse_complex_numIfEEEviiiPKT2_S5_S5_PS3_S5_PKi,@function
_ZN9rocsparseL19gtsv_LBM_rhs_kernelILj256ELj256ELj4E21rocsparse_complex_numIfEEEviiiPKT2_S5_S5_PS3_S5_PKi: ; @_ZN9rocsparseL19gtsv_LBM_rhs_kernelILj256ELj256ELj4E21rocsparse_complex_numIfEEEviiiPKT2_S5_S5_PS3_S5_PKi
; %bb.0:
	s_load_dword s23, s[4:5], 0x0
	v_lshl_or_b32 v0, s6, 8, v0
	s_waitcnt lgkmcnt(0)
	s_lshr_b32 s22, s23, 8
	v_cmp_gt_i32_e32 vcc, s22, v0
	s_and_saveexec_b64 s[0:1], vcc
	s_cbranch_execz .LBB260_29
; %bb.1:
	s_load_dwordx4 s[8:11], s[4:5], 0x28
	s_load_dwordx2 s[16:17], s[4:5], 0x38
	s_cmp_lt_i32 s23, 1
	v_add_u32_e32 v19, s22, v0
	s_mul_i32 s24, s7, s23
	s_cbranch_scc1 .LBB260_21
; %bb.2:
	s_load_dwordx4 s[12:15], s[4:5], 0x10
	s_load_dwordx2 s[6:7], s[4:5], 0x20
	v_ashrrev_i32_e32 v1, 31, v0
	v_lshlrev_b64 v[1:2], 3, v[0:1]
	s_lshl_b32 s28, s24, 2
	s_waitcnt lgkmcnt(0)
	v_mov_b32_e32 v3, s15
	v_add_co_u32_e32 v1, vcc, s14, v1
	v_addc_co_u32_e32 v2, vcc, v3, v2, vcc
	global_load_dwordx2 v[5:6], v[1:2], off
	s_add_i32 s29, s28, s23
	s_add_i32 s30, s29, s23
	s_mul_i32 s25, s22, 0xff
	s_mul_i32 s26, s22, 0xfe
	s_lshl_b32 s27, s22, 1
	v_add_u32_e32 v21, s22, v19
	s_add_i32 s31, s30, s23
	v_mov_b32_e32 v2, 0
	s_mov_b64 s[18:19], 0
	v_mov_b32_e32 v22, s7
	v_mov_b32_e32 v20, 0
	s_branch .LBB260_5
.LBB260_3:                              ;   in Loop: Header=BB260_5 Depth=1
	s_or_b64 exec, exec, s[4:5]
	v_fmac_f32_e32 v24, v3, v7
	v_fmac_f32_e32 v23, v4, v7
	v_mul_f32_e64 v1, v17, -v23
	v_mul_f32_e32 v3, v17, v24
	v_fmac_f32_e32 v1, v24, v8
	v_fmac_f32_e32 v3, v23, v8
	v_sub_f32_e32 v5, v9, v1
	v_sub_f32_e32 v6, v10, v3
	v_mov_b32_e32 v8, s22
.LBB260_4:                              ;   in Loop: Header=BB260_5 Depth=1
	s_or_b64 exec, exec, s[2:3]
	v_add_u32_e32 v20, v8, v20
	v_cmp_le_i32_e32 vcc, s23, v20
	s_or_b64 s[18:19], vcc, s[18:19]
	s_andn2_b64 exec, exec, s[18:19]
	s_cbranch_execz .LBB260_20
.LBB260_5:                              ; =>This Inner Loop Header: Depth=1
	v_add_u32_e32 v15, v20, v0
	v_ashrrev_i32_e32 v16, 31, v15
	v_lshlrev_b64 v[3:4], 3, v[15:16]
	v_cmp_gt_u32_e64 s[0:1], s25, v20
	v_add_co_u32_e32 v3, vcc, s6, v3
	v_addc_co_u32_e32 v4, vcc, v22, v4, vcc
	global_load_dwordx2 v[7:8], v[3:4], off
	v_mov_b32_e32 v3, 0
	v_mov_b32_e32 v4, 0
	s_and_saveexec_b64 s[2:3], s[0:1]
	s_cbranch_execz .LBB260_7
; %bb.6:                                ;   in Loop: Header=BB260_5 Depth=1
	v_add_u32_e32 v3, v19, v20
	v_ashrrev_i32_e32 v4, 31, v3
	v_lshlrev_b64 v[3:4], 3, v[3:4]
	v_mov_b32_e32 v1, s13
	v_add_co_u32_e32 v3, vcc, s12, v3
	v_addc_co_u32_e32 v4, vcc, v1, v4, vcc
	global_load_dwordx2 v[3:4], v[3:4], off
.LBB260_7:                              ;   in Loop: Header=BB260_5 Depth=1
	s_or_b64 exec, exec, s[2:3]
	v_mov_b32_e32 v11, 0
	v_mov_b32_e32 v9, 0
	;; [unrolled: 1-line block ×3, first 2 shown]
	s_and_saveexec_b64 s[2:3], s[0:1]
	s_cbranch_execz .LBB260_9
; %bb.8:                                ;   in Loop: Header=BB260_5 Depth=1
	v_add_u32_e32 v9, v19, v20
	v_ashrrev_i32_e32 v10, 31, v9
	v_lshlrev_b64 v[9:10], 3, v[9:10]
	v_mov_b32_e32 v1, s15
	v_add_co_u32_e32 v9, vcc, s14, v9
	v_addc_co_u32_e32 v10, vcc, v1, v10, vcc
	global_load_dwordx2 v[9:10], v[9:10], off
.LBB260_9:                              ;   in Loop: Header=BB260_5 Depth=1
	s_or_b64 exec, exec, s[2:3]
	v_mov_b32_e32 v12, 0
	s_and_saveexec_b64 s[2:3], s[0:1]
	s_cbranch_execz .LBB260_11
; %bb.10:                               ;   in Loop: Header=BB260_5 Depth=1
	v_add_u32_e32 v11, v19, v20
	v_ashrrev_i32_e32 v12, 31, v11
	v_lshlrev_b64 v[11:12], 3, v[11:12]
	v_mov_b32_e32 v1, s7
	v_add_co_u32_e32 v11, vcc, s6, v11
	v_addc_co_u32_e32 v12, vcc, v1, v12, vcc
	global_load_dwordx2 v[11:12], v[11:12], off
.LBB260_11:                             ;   in Loop: Header=BB260_5 Depth=1
	s_or_b64 exec, exec, s[2:3]
	v_cmp_gt_u32_e64 s[2:3], s26, v20
	v_mov_b32_e32 v13, 0
	v_mov_b32_e32 v14, 0
	s_and_saveexec_b64 s[4:5], s[2:3]
	s_cbranch_execz .LBB260_13
; %bb.12:                               ;   in Loop: Header=BB260_5 Depth=1
	v_add_u32_e32 v13, v21, v20
	v_ashrrev_i32_e32 v14, 31, v13
	v_lshlrev_b64 v[13:14], 3, v[13:14]
	v_mov_b32_e32 v1, s13
	v_add_co_u32_e32 v13, vcc, s12, v13
	v_addc_co_u32_e32 v14, vcc, v1, v14, vcc
	global_load_dwordx2 v[13:14], v[13:14], off
.LBB260_13:                             ;   in Loop: Header=BB260_5 Depth=1
	s_or_b64 exec, exec, s[4:5]
	v_lshlrev_b64 v[16:17], 2, v[15:16]
	v_mov_b32_e32 v1, s17
	v_add_co_u32_e32 v16, vcc, s16, v16
	v_addc_co_u32_e32 v17, vcc, v1, v17, vcc
	global_load_dword v18, v[16:17], off
	v_cmp_ne_u32_e32 vcc, s25, v20
	s_waitcnt vmcnt(1)
	v_mul_f32_e64 v24, v8, -v4
	v_mul_f32_e32 v23, v3, v8
	v_add_u32_e32 v1, s28, v15
	v_add_u32_e32 v17, s29, v15
	;; [unrolled: 1-line block ×4, first 2 shown]
	s_waitcnt vmcnt(0)
	v_cmp_ne_u32_e64 s[4:5], 1, v18
	s_and_b64 s[4:5], vcc, s[4:5]
	s_and_saveexec_b64 s[20:21], s[4:5]
	s_xor_b64 s[20:21], exec, s[20:21]
	s_cbranch_execz .LBB260_17
; %bb.14:                               ;   in Loop: Header=BB260_5 Depth=1
	v_lshlrev_b64 v[25:26], 3, v[1:2]
	v_mov_b32_e32 v18, v2
	v_mov_b32_e32 v1, s9
	v_add_co_u32_e32 v25, vcc, s8, v25
	v_lshlrev_b64 v[17:18], 3, v[17:18]
	v_addc_co_u32_e32 v26, vcc, v1, v26, vcc
	v_add_co_u32_e32 v36, vcc, s8, v17
	v_mov_b32_e32 v17, v2
	v_lshlrev_b64 v[16:17], 3, v[16:17]
	v_addc_co_u32_e32 v37, vcc, v1, v18, vcc
	v_add_co_u32_e32 v38, vcc, s8, v16
	v_add_u32_e32 v33, v19, v20
	v_addc_co_u32_e32 v39, vcc, v1, v17, vcc
	v_add_u32_e32 v1, s28, v33
	v_lshlrev_b64 v[16:17], 3, v[1:2]
	v_mov_b32_e32 v1, s9
	v_add_co_u32_e32 v40, vcc, s8, v16
	v_addc_co_u32_e32 v41, vcc, v1, v17, vcc
	v_add_u32_e32 v1, s29, v33
	v_lshlrev_b64 v[29:30], 3, v[1:2]
	v_mul_f32_e32 v35, v5, v10
	v_mul_f32_e64 v31, v10, -v6
	v_fmac_f32_e32 v35, v6, v9
	v_fmac_f32_e32 v23, v4, v7
	v_mov_b32_e32 v1, s9
	v_fmac_f32_e32 v31, v5, v9
	v_fmac_f32_e32 v24, v3, v7
	v_add_co_u32_e32 v42, vcc, s8, v29
	v_sub_f32_e32 v29, v35, v23
	v_sub_f32_e32 v60, v31, v24
	v_addc_co_u32_e32 v43, vcc, v1, v30, vcc
	v_mul_f32_e32 v30, v29, v29
	v_fmac_f32_e32 v30, v60, v60
	v_div_scale_f32 v35, s[4:5], v30, v30, 1.0
	v_div_scale_f32 v54, vcc, 1.0, v30, 1.0
	global_load_dwordx2 v[27:28], v[25:26], off
	global_load_dwordx2 v[17:18], v[40:41], off
	;; [unrolled: 1-line block ×4, first 2 shown]
	v_add_u32_e32 v1, s30, v33
	v_lshlrev_b64 v[23:24], 3, v[1:2]
	v_mov_b32_e32 v1, s9
	v_add_co_u32_e64 v46, s[4:5], s8, v23
	v_mov_b32_e32 v16, v2
	v_addc_co_u32_e64 v47, s[4:5], v1, v24, s[4:5]
	v_rcp_f32_e32 v23, v35
	v_lshlrev_b64 v[15:16], 3, v[15:16]
	global_load_dwordx2 v[48:49], v[38:39], off
	global_load_dwordx2 v[50:51], v[46:47], off
	v_mov_b32_e32 v34, s9
	v_fma_f32 v24, -v35, v23, 1.0
	v_fmac_f32_e32 v23, v24, v23
	v_mul_f32_e32 v24, v54, v23
	v_add_co_u32_e64 v52, s[4:5], s8, v15
	v_add_u32_e32 v1, s31, v33
	v_fma_f32 v33, -v35, v24, v54
	v_addc_co_u32_e64 v53, s[4:5], v34, v16, s[4:5]
	v_lshlrev_b64 v[15:16], 3, v[1:2]
	v_fmac_f32_e32 v24, v33, v23
	v_fma_f32 v33, -v35, v24, v54
	v_mov_b32_e32 v1, s9
	v_div_fmas_f32 v23, v33, v23, v24
	global_load_dwordx2 v[54:55], v[52:53], off
	v_add_co_u32_e32 v56, vcc, s8, v15
	v_addc_co_u32_e32 v57, vcc, v1, v16, vcc
	global_load_dwordx2 v[58:59], v[56:57], off
	v_fma_f32 v16, v60, 0, -v29
	v_fma_f32 v15, 0, v29, v60
	v_div_fixup_f32 v1, v23, v30, 1.0
	v_mul_f32_e32 v16, v16, v1
	v_mul_f32_e32 v15, v15, v1
	s_waitcnt vmcnt(7)
	v_mul_f32_e64 v23, v16, -v28
	v_fmac_f32_e32 v23, v27, v15
	v_mul_f32_e32 v27, v16, v27
	v_fmac_f32_e32 v27, v28, v15
	s_waitcnt vmcnt(6)
	v_mul_f32_e32 v28, v16, v17
	v_mul_f32_e64 v24, v16, -v18
	v_fmac_f32_e32 v28, v18, v15
	v_fmac_f32_e32 v24, v17, v15
	v_mul_f32_e64 v1, v27, -v10
	v_mul_f32_e32 v18, v9, v27
	v_mul_f32_e64 v17, v28, -v8
	v_mul_f32_e32 v29, v28, v7
	v_fmac_f32_e32 v1, v9, v23
	v_fmac_f32_e32 v18, v10, v23
	;; [unrolled: 1-line block ×4, first 2 shown]
	s_waitcnt vmcnt(4)
	v_mul_f32_e32 v33, v16, v31
	v_mul_f32_e32 v35, v16, v44
	v_sub_f32_e32 v17, v1, v17
	v_sub_f32_e32 v18, v18, v29
	v_mul_f32_e64 v30, v16, -v32
	v_fmac_f32_e32 v33, v32, v15
	v_mul_f32_e64 v32, v16, -v45
	v_fmac_f32_e32 v35, v45, v15
	global_store_dwordx2 v[25:26], v[17:18], off
	v_fmac_f32_e32 v30, v31, v15
	v_fmac_f32_e32 v32, v44, v15
	v_mul_f32_e64 v1, v33, -v10
	v_mul_f32_e32 v18, v9, v33
	v_mul_f32_e64 v17, v35, -v8
	v_mul_f32_e32 v25, v35, v7
	v_fmac_f32_e32 v1, v9, v30
	v_fmac_f32_e32 v18, v10, v30
	;; [unrolled: 1-line block ×4, first 2 shown]
	v_sub_f32_e32 v17, v1, v17
	v_sub_f32_e32 v18, v18, v25
	s_waitcnt vmcnt(4)
	v_mul_f32_e32 v25, v16, v48
	s_waitcnt vmcnt(3)
	v_mul_f32_e32 v26, v16, v50
	global_store_dwordx2 v[36:37], v[17:18], off
	v_mul_f32_e64 v17, v16, -v49
	v_fmac_f32_e32 v25, v49, v15
	v_mul_f32_e64 v18, v16, -v51
	v_fmac_f32_e32 v26, v51, v15
	v_fmac_f32_e32 v17, v48, v15
	;; [unrolled: 1-line block ×3, first 2 shown]
	v_mul_f32_e32 v29, v9, v25
	v_mul_f32_e32 v34, v26, v7
	v_mul_f32_e64 v1, v25, -v10
	v_fmac_f32_e32 v29, v10, v17
	v_mul_f32_e64 v31, v26, -v8
	v_fmac_f32_e32 v34, v8, v18
	v_fmac_f32_e32 v1, v9, v17
	;; [unrolled: 1-line block ×3, first 2 shown]
	v_sub_f32_e32 v37, v29, v34
	s_waitcnt vmcnt(3)
	v_mul_f32_e32 v34, v16, v54
	v_sub_f32_e32 v36, v1, v31
	v_mul_f32_e64 v29, v16, -v55
	v_fmac_f32_e32 v34, v55, v15
	global_store_dwordx2 v[38:39], v[36:37], off
	v_fmac_f32_e32 v29, v54, v15
	s_waitcnt vmcnt(3)
	v_mul_f32_e32 v36, v16, v58
	v_mul_f32_e64 v1, v34, -v10
	v_mul_f32_e64 v31, v16, -v59
	v_fmac_f32_e32 v36, v59, v15
	v_fmac_f32_e32 v1, v9, v29
	v_mul_f32_e32 v9, v9, v34
	v_fmac_f32_e32 v31, v58, v15
	v_fmac_f32_e32 v9, v10, v29
	v_mul_f32_e64 v10, v36, -v8
	v_mul_f32_e32 v37, v36, v7
	v_fmac_f32_e32 v10, v7, v31
	v_fmac_f32_e32 v37, v8, v31
	v_sub_f32_e32 v7, v1, v10
	v_sub_f32_e32 v8, v9, v37
	global_store_dwordx2 v[52:53], v[7:8], off
	v_mul_f32_e64 v7, v27, -v3
	v_mul_f32_e32 v1, v4, v27
	v_fma_f32 v8, -v4, v23, v7
	v_mul_f32_e64 v7, v28, -v6
	v_mul_f32_e32 v9, v5, v28
	v_fma_f32 v1, -v3, v23, v1
	v_fmac_f32_e32 v7, v5, v24
	v_fmac_f32_e32 v9, v6, v24
	v_add_f32_e32 v7, v1, v7
	v_add_f32_e32 v8, v8, v9
	global_store_dwordx2 v[40:41], v[7:8], off
	v_mul_f32_e64 v7, v33, -v3
	v_mul_f32_e32 v1, v4, v33
	v_fma_f32 v8, -v4, v30, v7
	v_mul_f32_e64 v7, v35, -v6
	v_mul_f32_e32 v9, v5, v35
	v_fma_f32 v1, -v3, v30, v1
	v_fmac_f32_e32 v7, v5, v32
	v_fmac_f32_e32 v9, v6, v32
	v_add_f32_e32 v7, v1, v7
	v_add_f32_e32 v8, v8, v9
	;; [unrolled: 11-line block ×3, first 2 shown]
	global_store_dwordx2 v[46:47], v[7:8], off
	v_mul_f32_e32 v1, v4, v34
	v_mul_f32_e64 v7, v34, -v3
	v_mul_f32_e64 v8, v36, -v6
	v_mul_f32_e32 v9, v5, v36
	v_fma_f32 v1, -v3, v29, v1
	v_fma_f32 v7, -v4, v29, v7
	v_fmac_f32_e32 v8, v5, v31
	v_fmac_f32_e32 v9, v6, v31
	v_add_f32_e32 v8, v1, v8
	v_add_f32_e32 v9, v7, v9
	v_mov_b32_e32 v7, 0
	v_mov_b32_e32 v1, 0
	global_store_dwordx2 v[56:57], v[8:9], off
	s_and_saveexec_b64 s[4:5], s[2:3]
	s_cbranch_execz .LBB260_16
; %bb.15:                               ;   in Loop: Header=BB260_5 Depth=1
	v_add_u32_e32 v7, v21, v20
	v_add_u32_e32 v1, s28, v7
	v_lshlrev_b64 v[8:9], 3, v[1:2]
	v_mov_b32_e32 v1, s9
	v_add_co_u32_e32 v37, vcc, s8, v8
	v_addc_co_u32_e32 v38, vcc, v1, v9, vcc
	v_add_u32_e32 v1, s29, v7
	v_lshlrev_b64 v[39:40], 3, v[1:2]
	global_load_dwordx2 v[9:10], v[37:38], off
	v_mov_b32_e32 v1, s9
	v_add_co_u32_e32 v39, vcc, s8, v39
	v_addc_co_u32_e32 v40, vcc, v1, v40, vcc
	global_load_dwordx2 v[41:42], v[39:40], off
	v_mul_f32_e32 v1, v4, v14
	v_mul_f32_e64 v8, v14, -v3
	v_mul_f32_e64 v43, v14, -v6
	v_mul_f32_e32 v44, v5, v14
	v_fma_f32 v48, -v3, v13, v1
	v_fma_f32 v49, -v4, v13, v8
	v_fmac_f32_e32 v43, v5, v13
	v_fmac_f32_e32 v44, v6, v13
	v_ashrrev_i32_e32 v8, 31, v7
	v_mul_f32_e32 v1, v49, v27
	v_mul_f32_e64 v27, v27, -v48
	v_mul_f32_e64 v50, v28, -v44
	v_mul_f32_e32 v28, v43, v28
	v_mul_f32_e32 v51, v49, v33
	v_mul_f32_e64 v52, v35, -v44
	v_lshlrev_b64 v[3:4], 3, v[7:8]
	v_mul_f32_e32 v35, v43, v35
	v_fma_f32 v8, -v48, v23, v1
	v_fma_f32 v23, -v49, v23, v27
	v_fmac_f32_e32 v50, v43, v24
	v_fmac_f32_e32 v28, v44, v24
	v_fma_f32 v24, -v48, v30, v51
	v_fmac_f32_e32 v52, v43, v32
	v_add_u32_e32 v1, s30, v7
	v_mov_b32_e32 v47, s15
	v_mul_f32_e64 v33, v33, -v48
	v_fmac_f32_e32 v35, v44, v32
	v_sub_f32_e32 v28, v23, v28
	v_sub_f32_e32 v32, v24, v52
	v_lshlrev_b64 v[23:24], 3, v[1:2]
	v_add_co_u32_e32 v3, vcc, s14, v3
	v_fma_f32 v27, -v49, v30, v33
	v_sub_f32_e32 v30, v8, v50
	v_add_u32_e32 v1, s31, v7
	v_addc_co_u32_e32 v4, vcc, v47, v4, vcc
	v_mov_b32_e32 v45, s9
	v_lshlrev_b64 v[7:8], 3, v[1:2]
	v_add_co_u32_e32 v23, vcc, s8, v23
	v_sub_f32_e32 v33, v27, v35
	v_addc_co_u32_e32 v24, vcc, v45, v24, vcc
	v_mov_b32_e32 v46, s9
	v_add_co_u32_e32 v7, vcc, s8, v7
	v_addc_co_u32_e32 v8, vcc, v46, v8, vcc
	global_load_dwordx2 v[3:4], v[3:4], off
	v_mul_f32_e64 v1, v6, -v14
	v_mul_f32_e32 v6, v6, v13
	v_fmac_f32_e32 v1, v13, v5
	v_fmac_f32_e32 v6, v14, v5
	v_mul_f32_e32 v5, v49, v25
	v_mul_f32_e64 v13, v25, -v48
	v_mul_f32_e64 v14, v26, -v44
	v_mul_f32_e32 v25, v43, v26
	v_mul_f32_e32 v26, v49, v34
	v_fma_f32 v5, -v48, v17, v5
	v_fma_f32 v13, -v49, v17, v13
	v_fmac_f32_e32 v14, v43, v18
	v_fmac_f32_e32 v25, v44, v18
	v_fma_f32 v17, -v48, v29, v26
	v_sub_f32_e32 v5, v5, v14
	s_waitcnt vmcnt(2)
	v_add_f32_e32 v9, v30, v9
	v_add_f32_e32 v10, v28, v10
	global_store_dwordx2 v[37:38], v[9:10], off
	global_load_dwordx2 v[27:28], v[23:24], off
	v_mul_f32_e64 v30, v34, -v48
	v_mul_f32_e64 v34, v12, -v6
	s_waitcnt vmcnt(3)
	v_add_f32_e32 v9, v32, v41
	v_add_f32_e32 v10, v33, v42
	global_store_dwordx2 v[39:40], v[9:10], off
	global_load_dwordx2 v[9:10], v[7:8], off
	v_mul_f32_e64 v32, v36, -v44
	v_mul_f32_e32 v33, v43, v36
	v_mul_f32_e32 v12, v12, v1
	v_fma_f32 v18, -v49, v29, v30
	v_fmac_f32_e32 v32, v43, v31
	v_fmac_f32_e32 v33, v44, v31
	;; [unrolled: 1-line block ×4, first 2 shown]
	v_sub_f32_e32 v6, v13, v25
	v_sub_f32_e32 v11, v17, v32
	;; [unrolled: 1-line block ×3, first 2 shown]
	v_mul_f32_e64 v1, v16, -v12
	v_mul_f32_e32 v14, v16, v34
	v_fmac_f32_e32 v1, v34, v15
	v_fmac_f32_e32 v14, v12, v15
	s_waitcnt vmcnt(4)
	v_sub_f32_e32 v1, v3, v1
	s_waitcnt vmcnt(2)
	v_add_f32_e32 v5, v5, v27
	v_add_f32_e32 v6, v6, v28
	global_store_dwordx2 v[23:24], v[5:6], off
	s_waitcnt vmcnt(1)
	v_add_f32_e32 v5, v11, v9
	v_add_f32_e32 v6, v13, v10
	global_store_dwordx2 v[7:8], v[5:6], off
	v_sub_f32_e32 v7, v4, v14
.LBB260_16:                             ;   in Loop: Header=BB260_5 Depth=1
	s_or_b64 exec, exec, s[4:5]
	v_mov_b32_e32 v6, v7
	v_mov_b32_e32 v5, v1
                                        ; implicit-def: $vgpr7_vgpr8
                                        ; implicit-def: $vgpr3
                                        ; implicit-def: $vgpr9
                                        ; implicit-def: $vgpr24
                                        ; implicit-def: $vgpr23
                                        ; implicit-def: $vgpr17
                                        ; implicit-def: $vgpr16
                                        ; implicit-def: $vgpr15
.LBB260_17:                             ;   in Loop: Header=BB260_5 Depth=1
	s_or_saveexec_b64 s[2:3], s[20:21]
	v_mov_b32_e32 v8, s27
	s_xor_b64 exec, exec, s[2:3]
	s_cbranch_execz .LBB260_4
; %bb.18:                               ;   in Loop: Header=BB260_5 Depth=1
	v_lshlrev_b64 v[11:12], 3, v[1:2]
	v_mov_b32_e32 v18, v2
	v_mov_b32_e32 v1, s9
	v_lshlrev_b64 v[13:14], 3, v[17:18]
	v_add_co_u32_e32 v25, vcc, s8, v11
	v_addc_co_u32_e32 v26, vcc, v1, v12, vcc
	v_mov_b32_e32 v8, s9
	v_add_co_u32_e32 v27, vcc, s8, v13
	v_mov_b32_e32 v17, v2
	v_addc_co_u32_e32 v28, vcc, v8, v14, vcc
	v_lshlrev_b64 v[13:14], 3, v[16:17]
	v_mov_b32_e32 v16, v2
	v_add_co_u32_e32 v29, vcc, s8, v13
	v_addc_co_u32_e32 v30, vcc, v1, v14, vcc
	v_lshlrev_b64 v[13:14], 3, v[15:16]
	global_load_dwordx2 v[11:12], v[25:26], off
	v_add_co_u32_e32 v35, vcc, s8, v13
	v_addc_co_u32_e32 v36, vcc, v1, v14, vcc
	global_load_dwordx2 v[31:32], v[27:28], off
	global_load_dwordx2 v[33:34], v[29:30], off
	;; [unrolled: 1-line block ×3, first 2 shown]
	v_mul_f32_e32 v1, v6, v6
	v_fmac_f32_e32 v1, v5, v5
	v_div_scale_f32 v8, s[4:5], v1, v1, 1.0
	v_div_scale_f32 v13, vcc, 1.0, v1, 1.0
	v_rcp_f32_e32 v14, v8
	v_fma_f32 v15, -v8, v14, 1.0
	v_fmac_f32_e32 v14, v15, v14
	v_mul_f32_e32 v15, v13, v14
	v_fma_f32 v16, -v8, v15, v13
	v_fmac_f32_e32 v15, v16, v14
	v_fma_f32 v8, -v8, v15, v13
	v_div_fmas_f32 v8, v8, v14, v15
	v_fma_f32 v13, 0, v6, v5
	v_fma_f32 v5, v5, 0, -v6
	v_div_fixup_f32 v1, v8, v1, 1.0
	v_mul_f32_e32 v17, v5, v1
	v_mul_f32_e32 v8, v13, v1
	s_waitcnt vmcnt(3)
	v_mul_f32_e64 v15, v17, -v12
	v_mul_f32_e32 v16, v17, v11
	v_fmac_f32_e32 v15, v11, v8
	v_fmac_f32_e32 v16, v12, v8
	s_waitcnt vmcnt(2)
	v_mul_f32_e64 v13, v17, -v32
	v_mul_f32_e32 v14, v17, v31
	s_waitcnt vmcnt(1)
	v_mul_f32_e64 v11, v17, -v34
	v_mul_f32_e32 v12, v17, v33
	;; [unrolled: 3-line block ×3, first 2 shown]
	v_fmac_f32_e32 v13, v31, v8
	v_fmac_f32_e32 v14, v32, v8
	;; [unrolled: 1-line block ×6, first 2 shown]
	global_store_dwordx2 v[25:26], v[15:16], off
	global_store_dwordx2 v[27:28], v[13:14], off
	;; [unrolled: 1-line block ×4, first 2 shown]
	s_and_saveexec_b64 s[4:5], s[0:1]
	s_cbranch_execz .LBB260_3
; %bb.19:                               ;   in Loop: Header=BB260_5 Depth=1
	v_add_u32_e32 v18, v19, v20
	v_add_u32_e32 v1, s28, v18
	v_lshlrev_b64 v[25:26], 3, v[1:2]
	v_mov_b32_e32 v1, s9
	v_add_co_u32_e32 v25, vcc, s8, v25
	v_addc_co_u32_e32 v26, vcc, v1, v26, vcc
	global_load_dwordx2 v[27:28], v[25:26], off
	s_waitcnt vmcnt(0)
	v_fma_f32 v1, -v4, v15, v28
	v_fma_f32 v27, -v3, v15, v27
	v_fma_f32 v28, -v3, v16, v1
	v_add_u32_e32 v1, s29, v18
	v_fmac_f32_e32 v27, v4, v16
	v_lshlrev_b64 v[15:16], 3, v[1:2]
	v_mov_b32_e32 v1, s9
	v_add_co_u32_e32 v15, vcc, s8, v15
	v_addc_co_u32_e32 v16, vcc, v1, v16, vcc
	global_store_dwordx2 v[25:26], v[27:28], off
	global_load_dwordx2 v[25:26], v[15:16], off
	s_waitcnt vmcnt(0)
	v_fma_f32 v1, -v4, v13, v26
	v_fma_f32 v25, -v3, v13, v25
	v_fma_f32 v26, -v3, v14, v1
	v_add_u32_e32 v1, s30, v18
	v_fmac_f32_e32 v25, v4, v14
	v_lshlrev_b64 v[13:14], 3, v[1:2]
	v_mov_b32_e32 v1, s9
	v_add_co_u32_e32 v13, vcc, s8, v13
	v_addc_co_u32_e32 v14, vcc, v1, v14, vcc
	global_store_dwordx2 v[15:16], v[25:26], off
	;; [unrolled: 12-line block ×3, first 2 shown]
	global_load_dwordx2 v[13:14], v[11:12], off
	s_waitcnt vmcnt(0)
	v_fma_f32 v13, -v3, v5, v13
	v_fma_f32 v1, -v4, v5, v14
	v_fmac_f32_e32 v13, v4, v6
	v_fma_f32 v14, -v3, v6, v1
	global_store_dwordx2 v[11:12], v[13:14], off
	s_branch .LBB260_3
.LBB260_20:
	s_or_b64 exec, exec, s[18:19]
	s_branch .LBB260_22
.LBB260_21:
	v_mov_b32_e32 v20, 0
.LBB260_22:
	v_subrev_u32_e32 v3, s22, v20
	v_add_u32_e32 v1, v3, v0
	v_ashrrev_i32_e32 v2, 31, v1
	v_lshlrev_b64 v[1:2], 2, v[1:2]
	s_waitcnt lgkmcnt(0)
	v_mov_b32_e32 v4, s17
	v_add_co_u32_e32 v1, vcc, s16, v1
	v_addc_co_u32_e32 v2, vcc, v4, v2, vcc
	s_waitcnt vmcnt(0)
	buffer_wbinvl1_vol
	global_load_dword v1, v[1:2], off
	s_waitcnt vmcnt(0)
	v_mul_lo_u32 v1, v1, s22
	v_sub_u32_e32 v7, v3, v1
	v_cmp_lt_i32_e32 vcc, -1, v7
	s_and_b64 exec, exec, vcc
	s_cbranch_execz .LBB260_29
; %bb.23:
	s_lshl_b32 s4, s24, 2
	s_add_i32 s5, s4, s23
	s_add_i32 s6, s5, s23
	;; [unrolled: 1-line block ×3, first 2 shown]
	s_lshl_b32 s12, s22, 1
	s_mov_b64 s[0:1], 0
	v_mov_b32_e32 v8, s17
	v_mov_b32_e32 v9, s11
	;; [unrolled: 1-line block ×3, first 2 shown]
	s_branch .LBB260_25
.LBB260_24:                             ;   in Loop: Header=BB260_25 Depth=1
	s_or_b64 exec, exec, s[2:3]
	v_sub_u32_e32 v7, v7, v1
	v_cmp_gt_i32_e32 vcc, 0, v7
	s_or_b64 s[0:1], vcc, s[0:1]
	s_andn2_b64 exec, exec, s[0:1]
	s_cbranch_execz .LBB260_29
.LBB260_25:                             ; =>This Inner Loop Header: Depth=1
	v_add_u32_e32 v5, v7, v0
	v_ashrrev_i32_e32 v6, 31, v5
	s_waitcnt vmcnt(0)
	v_lshlrev_b64 v[3:4], 2, v[5:6]
	v_add_co_u32_e32 v3, vcc, s16, v3
	v_addc_co_u32_e32 v4, vcc, v8, v4, vcc
	global_load_dword v1, v[3:4], off
	v_lshlrev_b64 v[3:4], 3, v[5:6]
	v_add_co_u32_e32 v3, vcc, s10, v3
	v_addc_co_u32_e32 v4, vcc, v9, v4, vcc
	global_load_dwordx2 v[3:4], v[3:4], off
	s_waitcnt vmcnt(1)
	v_cmp_ne_u32_e32 vcc, 1, v1
	s_and_saveexec_b64 s[2:3], vcc
	s_xor_b64 s[2:3], exec, s[2:3]
	s_cbranch_execz .LBB260_27
; %bb.26:                               ;   in Loop: Header=BB260_25 Depth=1
	v_add_u32_e32 v6, v19, v7
	v_add_u32_e32 v1, s4, v6
	v_lshlrev_b64 v[10:11], 3, v[1:2]
	v_mov_b32_e32 v1, s9
	v_add_co_u32_e32 v10, vcc, s8, v10
	v_addc_co_u32_e32 v11, vcc, v1, v11, vcc
	v_add_u32_e32 v1, s5, v6
	v_lshlrev_b64 v[12:13], 3, v[1:2]
	v_add_u32_e32 v1, s6, v6
	v_lshlrev_b64 v[14:15], 3, v[1:2]
	;; [unrolled: 2-line block ×4, first 2 shown]
	v_mov_b32_e32 v1, s9
	v_add_co_u32_e32 v20, vcc, s8, v20
	v_addc_co_u32_e32 v21, vcc, v1, v21, vcc
	global_load_dwordx2 v[10:11], v[10:11], off
	v_add_co_u32_e32 v12, vcc, s8, v12
	global_load_dwordx2 v[22:23], v[20:21], off
	v_addc_co_u32_e32 v13, vcc, v1, v13, vcc
	v_mov_b32_e32 v6, s9
	v_add_co_u32_e32 v14, vcc, s8, v14
	v_addc_co_u32_e32 v15, vcc, v6, v15, vcc
	v_add_u32_e32 v1, s5, v5
	v_mov_b32_e32 v18, s9
	v_add_co_u32_e32 v16, vcc, s8, v16
	v_lshlrev_b64 v[24:25], 3, v[1:2]
	v_addc_co_u32_e32 v17, vcc, v18, v17, vcc
	global_load_dwordx2 v[26:27], v[12:13], off
	global_load_dwordx2 v[28:29], v[14:15], off
	;; [unrolled: 1-line block ×3, first 2 shown]
	v_mov_b32_e32 v32, s9
	v_add_co_u32_e32 v12, vcc, s8, v24
	v_addc_co_u32_e32 v13, vcc, v32, v25, vcc
	s_waitcnt vmcnt(3)
	v_fma_f32 v14, -v3, v10, v22
	v_fma_f32 v1, -v4, v10, v23
	v_fmac_f32_e32 v14, v4, v11
	v_fma_f32 v15, -v3, v11, v1
	global_store_dwordx2 v[20:21], v[14:15], off
	global_load_dwordx2 v[14:15], v[12:13], off
	v_add_u32_e32 v1, s6, v5
	v_lshlrev_b64 v[16:17], 3, v[1:2]
	v_mov_b32_e32 v20, s9
	v_add_co_u32_e32 v16, vcc, s8, v16
	v_addc_co_u32_e32 v17, vcc, v6, v17, vcc
	s_waitcnt vmcnt(0)
	v_fma_f32 v14, -v3, v26, v14
	v_fma_f32 v1, -v4, v26, v15
	v_fmac_f32_e32 v14, v4, v27
	v_fma_f32 v15, -v3, v27, v1
	global_store_dwordx2 v[12:13], v[14:15], off
	global_load_dwordx2 v[12:13], v[16:17], off
	v_add_u32_e32 v1, s7, v5
	v_lshlrev_b64 v[5:6], 3, v[1:2]
	v_mov_b32_e32 v14, s9
	v_add_co_u32_e32 v5, vcc, s8, v5
	v_addc_co_u32_e32 v6, vcc, v14, v6, vcc
	s_waitcnt vmcnt(0)
	v_fma_f32 v12, -v3, v28, v12
	v_fma_f32 v1, -v4, v28, v13
	v_fmac_f32_e32 v12, v4, v29
	v_fma_f32 v13, -v3, v29, v1
	global_store_dwordx2 v[16:17], v[12:13], off
	global_load_dwordx2 v[12:13], v[5:6], off
	v_subrev_u32_e32 v1, s22, v7
	v_add_u32_e32 v14, v1, v0
	v_ashrrev_i32_e32 v15, 31, v14
	v_lshlrev_b64 v[15:16], 3, v[14:15]
	v_mov_b32_e32 v17, s11
	v_add_co_u32_e32 v15, vcc, s10, v15
	v_add_u32_e32 v1, s4, v14
	v_addc_co_u32_e32 v16, vcc, v17, v16, vcc
	v_lshlrev_b64 v[17:18], 3, v[1:2]
	global_load_dwordx2 v[15:16], v[15:16], off
	v_add_co_u32_e32 v17, vcc, s8, v17
	v_addc_co_u32_e32 v18, vcc, v20, v18, vcc
	s_waitcnt vmcnt(1)
	v_fma_f32 v12, -v3, v30, v12
	v_fma_f32 v1, -v4, v30, v13
	v_fmac_f32_e32 v12, v4, v31
	v_fma_f32 v13, -v3, v31, v1
	global_store_dwordx2 v[5:6], v[12:13], off
	global_load_dwordx2 v[3:4], v[17:18], off
	v_add_u32_e32 v1, s5, v14
	v_lshlrev_b64 v[5:6], 3, v[1:2]
	v_mov_b32_e32 v12, s9
	v_add_co_u32_e32 v5, vcc, s8, v5
	v_addc_co_u32_e32 v6, vcc, v12, v6, vcc
	s_waitcnt vmcnt(0)
	v_fma_f32 v3, -v15, v10, v3
	v_fma_f32 v1, -v16, v10, v4
	v_fmac_f32_e32 v3, v16, v11
	v_fma_f32 v4, -v15, v11, v1
	global_store_dwordx2 v[17:18], v[3:4], off
	global_load_dwordx2 v[3:4], v[5:6], off
	v_add_u32_e32 v1, s6, v14
	v_lshlrev_b64 v[10:11], 3, v[1:2]
	v_add_co_u32_e32 v10, vcc, s8, v10
	v_addc_co_u32_e32 v11, vcc, v12, v11, vcc
	s_waitcnt vmcnt(0)
	v_fma_f32 v3, -v15, v26, v3
	v_fma_f32 v1, -v16, v26, v4
	v_fmac_f32_e32 v3, v16, v27
	v_fma_f32 v4, -v15, v27, v1
	global_store_dwordx2 v[5:6], v[3:4], off
	global_load_dwordx2 v[3:4], v[10:11], off
	v_add_u32_e32 v1, s7, v14
	v_lshlrev_b64 v[5:6], 3, v[1:2]
	v_add_co_u32_e32 v5, vcc, s8, v5
	v_addc_co_u32_e32 v6, vcc, v12, v6, vcc
	s_waitcnt vmcnt(0)
	v_fma_f32 v3, -v15, v28, v3
	v_fma_f32 v1, -v16, v28, v4
	v_fmac_f32_e32 v3, v16, v29
	v_fma_f32 v4, -v15, v29, v1
	global_store_dwordx2 v[10:11], v[3:4], off
	global_load_dwordx2 v[3:4], v[5:6], off
	s_waitcnt vmcnt(0)
	v_fma_f32 v3, -v15, v30, v3
	v_fma_f32 v1, -v16, v30, v4
	v_fmac_f32_e32 v3, v16, v31
	v_fma_f32 v4, -v15, v31, v1
	global_store_dwordx2 v[5:6], v[3:4], off
                                        ; implicit-def: $vgpr5
                                        ; implicit-def: $vgpr3_vgpr4
.LBB260_27:                             ;   in Loop: Header=BB260_25 Depth=1
	s_or_saveexec_b64 s[2:3], s[2:3]
	v_mov_b32_e32 v1, s12
	s_xor_b64 exec, exec, s[2:3]
	s_cbranch_execz .LBB260_24
; %bb.28:                               ;   in Loop: Header=BB260_25 Depth=1
	v_add_u32_e32 v6, v19, v7
	v_add_u32_e32 v1, s4, v6
	v_lshlrev_b64 v[10:11], 3, v[1:2]
	v_mov_b32_e32 v1, s9
	v_add_co_u32_e32 v10, vcc, s8, v10
	v_addc_co_u32_e32 v11, vcc, v1, v11, vcc
	v_add_u32_e32 v1, s4, v5
	v_lshlrev_b64 v[12:13], 3, v[1:2]
	v_mov_b32_e32 v1, s9
	v_add_co_u32_e32 v12, vcc, s8, v12
	v_addc_co_u32_e32 v13, vcc, v1, v13, vcc
	global_load_dwordx2 v[14:15], v[10:11], off
	global_load_dwordx2 v[16:17], v[12:13], off
	v_add_u32_e32 v1, s5, v6
	v_lshlrev_b64 v[10:11], 3, v[1:2]
	v_add_u32_e32 v1, s5, v5
	v_mov_b32_e32 v18, s9
	v_lshlrev_b64 v[20:21], 3, v[1:2]
	v_add_co_u32_e32 v10, vcc, s8, v10
	v_addc_co_u32_e32 v11, vcc, v18, v11, vcc
	v_mov_b32_e32 v22, s9
	v_add_co_u32_e32 v20, vcc, s8, v20
	v_addc_co_u32_e32 v21, vcc, v22, v21, vcc
	s_waitcnt vmcnt(0)
	v_fma_f32 v16, -v3, v14, v16
	v_fma_f32 v1, -v4, v14, v17
	v_fmac_f32_e32 v16, v4, v15
	v_fma_f32 v17, -v3, v15, v1
	global_store_dwordx2 v[12:13], v[16:17], off
	global_load_dwordx2 v[12:13], v[10:11], off
	s_nop 0
	global_load_dwordx2 v[14:15], v[20:21], off
	v_add_u32_e32 v1, s6, v6
	v_lshlrev_b64 v[10:11], 3, v[1:2]
	v_add_u32_e32 v1, s6, v5
	v_lshlrev_b64 v[16:17], 3, v[1:2]
	v_add_co_u32_e32 v10, vcc, s8, v10
	v_addc_co_u32_e32 v11, vcc, v18, v11, vcc
	v_add_co_u32_e32 v16, vcc, s8, v16
	v_addc_co_u32_e32 v17, vcc, v22, v17, vcc
	s_waitcnt vmcnt(0)
	v_fma_f32 v14, -v3, v12, v14
	v_fma_f32 v1, -v4, v12, v15
	v_fmac_f32_e32 v14, v4, v13
	v_fma_f32 v15, -v3, v13, v1
	global_store_dwordx2 v[20:21], v[14:15], off
	global_load_dwordx2 v[12:13], v[10:11], off
	s_nop 0
	global_load_dwordx2 v[14:15], v[16:17], off
	v_add_u32_e32 v1, s7, v6
	v_lshlrev_b64 v[10:11], 3, v[1:2]
	v_add_u32_e32 v1, s7, v5
	v_lshlrev_b64 v[5:6], 3, v[1:2]
	v_add_co_u32_e32 v10, vcc, s8, v10
	v_addc_co_u32_e32 v11, vcc, v18, v11, vcc
	v_mov_b32_e32 v20, s9
	v_add_co_u32_e32 v5, vcc, s8, v5
	v_addc_co_u32_e32 v6, vcc, v20, v6, vcc
	s_waitcnt vmcnt(0)
	v_fma_f32 v14, -v3, v12, v14
	v_fma_f32 v1, -v4, v12, v15
	v_fmac_f32_e32 v14, v4, v13
	v_fma_f32 v15, -v3, v13, v1
	global_store_dwordx2 v[16:17], v[14:15], off
	global_load_dwordx2 v[12:13], v[10:11], off
	s_nop 0
	global_load_dwordx2 v[14:15], v[5:6], off
	s_waitcnt vmcnt(0)
	v_fma_f32 v10, -v3, v12, v14
	v_fma_f32 v1, -v4, v12, v15
	v_fmac_f32_e32 v10, v4, v13
	v_fma_f32 v11, -v3, v13, v1
	v_mov_b32_e32 v1, s22
	global_store_dwordx2 v[5:6], v[10:11], off
	s_branch .LBB260_24
.LBB260_29:
	s_endpgm
	.section	.rodata,"a",@progbits
	.p2align	6, 0x0
	.amdhsa_kernel _ZN9rocsparseL19gtsv_LBM_rhs_kernelILj256ELj256ELj4E21rocsparse_complex_numIfEEEviiiPKT2_S5_S5_PS3_S5_PKi
		.amdhsa_group_segment_fixed_size 0
		.amdhsa_private_segment_fixed_size 0
		.amdhsa_kernarg_size 64
		.amdhsa_user_sgpr_count 6
		.amdhsa_user_sgpr_private_segment_buffer 1
		.amdhsa_user_sgpr_dispatch_ptr 0
		.amdhsa_user_sgpr_queue_ptr 0
		.amdhsa_user_sgpr_kernarg_segment_ptr 1
		.amdhsa_user_sgpr_dispatch_id 0
		.amdhsa_user_sgpr_flat_scratch_init 0
		.amdhsa_user_sgpr_private_segment_size 0
		.amdhsa_uses_dynamic_stack 0
		.amdhsa_system_sgpr_private_segment_wavefront_offset 0
		.amdhsa_system_sgpr_workgroup_id_x 1
		.amdhsa_system_sgpr_workgroup_id_y 1
		.amdhsa_system_sgpr_workgroup_id_z 0
		.amdhsa_system_sgpr_workgroup_info 0
		.amdhsa_system_vgpr_workitem_id 0
		.amdhsa_next_free_vgpr 61
		.amdhsa_next_free_sgpr 32
		.amdhsa_reserve_vcc 1
		.amdhsa_reserve_flat_scratch 0
		.amdhsa_float_round_mode_32 0
		.amdhsa_float_round_mode_16_64 0
		.amdhsa_float_denorm_mode_32 3
		.amdhsa_float_denorm_mode_16_64 3
		.amdhsa_dx10_clamp 1
		.amdhsa_ieee_mode 1
		.amdhsa_fp16_overflow 0
		.amdhsa_exception_fp_ieee_invalid_op 0
		.amdhsa_exception_fp_denorm_src 0
		.amdhsa_exception_fp_ieee_div_zero 0
		.amdhsa_exception_fp_ieee_overflow 0
		.amdhsa_exception_fp_ieee_underflow 0
		.amdhsa_exception_fp_ieee_inexact 0
		.amdhsa_exception_int_div_zero 0
	.end_amdhsa_kernel
	.section	.text._ZN9rocsparseL19gtsv_LBM_rhs_kernelILj256ELj256ELj4E21rocsparse_complex_numIfEEEviiiPKT2_S5_S5_PS3_S5_PKi,"axG",@progbits,_ZN9rocsparseL19gtsv_LBM_rhs_kernelILj256ELj256ELj4E21rocsparse_complex_numIfEEEviiiPKT2_S5_S5_PS3_S5_PKi,comdat
.Lfunc_end260:
	.size	_ZN9rocsparseL19gtsv_LBM_rhs_kernelILj256ELj256ELj4E21rocsparse_complex_numIfEEEviiiPKT2_S5_S5_PS3_S5_PKi, .Lfunc_end260-_ZN9rocsparseL19gtsv_LBM_rhs_kernelILj256ELj256ELj4E21rocsparse_complex_numIfEEEviiiPKT2_S5_S5_PS3_S5_PKi
                                        ; -- End function
	.set _ZN9rocsparseL19gtsv_LBM_rhs_kernelILj256ELj256ELj4E21rocsparse_complex_numIfEEEviiiPKT2_S5_S5_PS3_S5_PKi.num_vgpr, 61
	.set _ZN9rocsparseL19gtsv_LBM_rhs_kernelILj256ELj256ELj4E21rocsparse_complex_numIfEEEviiiPKT2_S5_S5_PS3_S5_PKi.num_agpr, 0
	.set _ZN9rocsparseL19gtsv_LBM_rhs_kernelILj256ELj256ELj4E21rocsparse_complex_numIfEEEviiiPKT2_S5_S5_PS3_S5_PKi.numbered_sgpr, 32
	.set _ZN9rocsparseL19gtsv_LBM_rhs_kernelILj256ELj256ELj4E21rocsparse_complex_numIfEEEviiiPKT2_S5_S5_PS3_S5_PKi.num_named_barrier, 0
	.set _ZN9rocsparseL19gtsv_LBM_rhs_kernelILj256ELj256ELj4E21rocsparse_complex_numIfEEEviiiPKT2_S5_S5_PS3_S5_PKi.private_seg_size, 0
	.set _ZN9rocsparseL19gtsv_LBM_rhs_kernelILj256ELj256ELj4E21rocsparse_complex_numIfEEEviiiPKT2_S5_S5_PS3_S5_PKi.uses_vcc, 1
	.set _ZN9rocsparseL19gtsv_LBM_rhs_kernelILj256ELj256ELj4E21rocsparse_complex_numIfEEEviiiPKT2_S5_S5_PS3_S5_PKi.uses_flat_scratch, 0
	.set _ZN9rocsparseL19gtsv_LBM_rhs_kernelILj256ELj256ELj4E21rocsparse_complex_numIfEEEviiiPKT2_S5_S5_PS3_S5_PKi.has_dyn_sized_stack, 0
	.set _ZN9rocsparseL19gtsv_LBM_rhs_kernelILj256ELj256ELj4E21rocsparse_complex_numIfEEEviiiPKT2_S5_S5_PS3_S5_PKi.has_recursion, 0
	.set _ZN9rocsparseL19gtsv_LBM_rhs_kernelILj256ELj256ELj4E21rocsparse_complex_numIfEEEviiiPKT2_S5_S5_PS3_S5_PKi.has_indirect_call, 0
	.section	.AMDGPU.csdata,"",@progbits
; Kernel info:
; codeLenInByte = 4388
; TotalNumSgprs: 36
; NumVgprs: 61
; ScratchSize: 0
; MemoryBound: 0
; FloatMode: 240
; IeeeMode: 1
; LDSByteSize: 0 bytes/workgroup (compile time only)
; SGPRBlocks: 4
; VGPRBlocks: 15
; NumSGPRsForWavesPerEU: 36
; NumVGPRsForWavesPerEU: 61
; Occupancy: 4
; WaveLimiterHint : 0
; COMPUTE_PGM_RSRC2:SCRATCH_EN: 0
; COMPUTE_PGM_RSRC2:USER_SGPR: 6
; COMPUTE_PGM_RSRC2:TRAP_HANDLER: 0
; COMPUTE_PGM_RSRC2:TGID_X_EN: 1
; COMPUTE_PGM_RSRC2:TGID_Y_EN: 1
; COMPUTE_PGM_RSRC2:TGID_Z_EN: 0
; COMPUTE_PGM_RSRC2:TIDIG_COMP_CNT: 0
	.section	.text._ZN9rocsparseL19gtsv_LBM_rhs_kernelILj256ELj256ELj2E21rocsparse_complex_numIfEEEviiiPKT2_S5_S5_PS3_S5_PKi,"axG",@progbits,_ZN9rocsparseL19gtsv_LBM_rhs_kernelILj256ELj256ELj2E21rocsparse_complex_numIfEEEviiiPKT2_S5_S5_PS3_S5_PKi,comdat
	.globl	_ZN9rocsparseL19gtsv_LBM_rhs_kernelILj256ELj256ELj2E21rocsparse_complex_numIfEEEviiiPKT2_S5_S5_PS3_S5_PKi ; -- Begin function _ZN9rocsparseL19gtsv_LBM_rhs_kernelILj256ELj256ELj2E21rocsparse_complex_numIfEEEviiiPKT2_S5_S5_PS3_S5_PKi
	.p2align	8
	.type	_ZN9rocsparseL19gtsv_LBM_rhs_kernelILj256ELj256ELj2E21rocsparse_complex_numIfEEEviiiPKT2_S5_S5_PS3_S5_PKi,@function
_ZN9rocsparseL19gtsv_LBM_rhs_kernelILj256ELj256ELj2E21rocsparse_complex_numIfEEEviiiPKT2_S5_S5_PS3_S5_PKi: ; @_ZN9rocsparseL19gtsv_LBM_rhs_kernelILj256ELj256ELj2E21rocsparse_complex_numIfEEEviiiPKT2_S5_S5_PS3_S5_PKi
; %bb.0:
	s_load_dword s23, s[4:5], 0x0
	v_lshl_or_b32 v0, s6, 8, v0
	s_waitcnt lgkmcnt(0)
	s_lshr_b32 s22, s23, 8
	v_cmp_gt_i32_e32 vcc, s22, v0
	s_and_saveexec_b64 s[0:1], vcc
	s_cbranch_execz .LBB261_29
; %bb.1:
	s_load_dwordx4 s[8:11], s[4:5], 0x28
	s_load_dwordx2 s[16:17], s[4:5], 0x38
	s_cmp_lt_i32 s23, 1
	v_add_u32_e32 v17, s22, v0
	s_mul_i32 s24, s7, s23
	s_cbranch_scc1 .LBB261_21
; %bb.2:
	s_load_dwordx4 s[12:15], s[4:5], 0x10
	s_load_dwordx2 s[6:7], s[4:5], 0x20
	v_ashrrev_i32_e32 v1, 31, v0
	v_lshlrev_b64 v[1:2], 3, v[0:1]
	s_lshl_b32 s28, s24, 1
	s_waitcnt lgkmcnt(0)
	v_mov_b32_e32 v3, s15
	v_add_co_u32_e32 v1, vcc, s14, v1
	v_addc_co_u32_e32 v2, vcc, v3, v2, vcc
	global_load_dwordx2 v[5:6], v[1:2], off
	s_mul_i32 s25, s22, 0xff
	s_mul_i32 s26, s22, 0xfe
	s_lshl_b32 s27, s22, 1
	v_add_u32_e32 v19, s22, v17
	s_add_i32 s29, s28, s23
	v_mov_b32_e32 v2, 0
	s_mov_b64 s[18:19], 0
	v_mov_b32_e32 v20, s7
	v_mov_b32_e32 v18, 0
	s_branch .LBB261_5
.LBB261_3:                              ;   in Loop: Header=BB261_5 Depth=1
	s_or_b64 exec, exec, s[4:5]
	v_fmac_f32_e32 v22, v3, v7
	v_fmac_f32_e32 v21, v4, v7
	v_mul_f32_e64 v1, v13, -v21
	v_mul_f32_e32 v3, v13, v22
	v_fmac_f32_e32 v1, v22, v10
	v_fmac_f32_e32 v3, v21, v10
	v_sub_f32_e32 v5, v11, v1
	v_sub_f32_e32 v6, v12, v3
	v_mov_b32_e32 v8, s22
.LBB261_4:                              ;   in Loop: Header=BB261_5 Depth=1
	s_or_b64 exec, exec, s[2:3]
	v_add_u32_e32 v18, v8, v18
	v_cmp_le_i32_e32 vcc, s23, v18
	s_or_b64 s[18:19], vcc, s[18:19]
	s_andn2_b64 exec, exec, s[18:19]
	s_cbranch_execz .LBB261_20
.LBB261_5:                              ; =>This Inner Loop Header: Depth=1
	v_add_u32_e32 v15, v18, v0
	v_ashrrev_i32_e32 v16, 31, v15
	v_lshlrev_b64 v[3:4], 3, v[15:16]
	v_cmp_gt_u32_e64 s[0:1], s25, v18
	v_add_co_u32_e32 v3, vcc, s6, v3
	v_addc_co_u32_e32 v4, vcc, v20, v4, vcc
	global_load_dwordx2 v[7:8], v[3:4], off
	v_mov_b32_e32 v3, 0
	v_mov_b32_e32 v4, 0
	s_and_saveexec_b64 s[2:3], s[0:1]
	s_cbranch_execz .LBB261_7
; %bb.6:                                ;   in Loop: Header=BB261_5 Depth=1
	v_add_u32_e32 v3, v17, v18
	v_ashrrev_i32_e32 v4, 31, v3
	v_lshlrev_b64 v[3:4], 3, v[3:4]
	v_mov_b32_e32 v1, s13
	v_add_co_u32_e32 v3, vcc, s12, v3
	v_addc_co_u32_e32 v4, vcc, v1, v4, vcc
	global_load_dwordx2 v[3:4], v[3:4], off
.LBB261_7:                              ;   in Loop: Header=BB261_5 Depth=1
	s_or_b64 exec, exec, s[2:3]
	v_mov_b32_e32 v9, 0
	v_mov_b32_e32 v11, 0
	;; [unrolled: 1-line block ×3, first 2 shown]
	s_and_saveexec_b64 s[2:3], s[0:1]
	s_cbranch_execz .LBB261_9
; %bb.8:                                ;   in Loop: Header=BB261_5 Depth=1
	v_add_u32_e32 v10, v17, v18
	v_ashrrev_i32_e32 v11, 31, v10
	v_lshlrev_b64 v[10:11], 3, v[10:11]
	v_mov_b32_e32 v1, s15
	v_add_co_u32_e32 v10, vcc, s14, v10
	v_addc_co_u32_e32 v11, vcc, v1, v11, vcc
	global_load_dwordx2 v[11:12], v[10:11], off
.LBB261_9:                              ;   in Loop: Header=BB261_5 Depth=1
	s_or_b64 exec, exec, s[2:3]
	v_mov_b32_e32 v10, 0
	s_and_saveexec_b64 s[2:3], s[0:1]
	s_cbranch_execz .LBB261_11
; %bb.10:                               ;   in Loop: Header=BB261_5 Depth=1
	v_add_u32_e32 v9, v17, v18
	v_ashrrev_i32_e32 v10, 31, v9
	v_lshlrev_b64 v[9:10], 3, v[9:10]
	v_mov_b32_e32 v1, s7
	v_add_co_u32_e32 v9, vcc, s6, v9
	v_addc_co_u32_e32 v10, vcc, v1, v10, vcc
	global_load_dwordx2 v[9:10], v[9:10], off
.LBB261_11:                             ;   in Loop: Header=BB261_5 Depth=1
	s_or_b64 exec, exec, s[2:3]
	v_cmp_gt_u32_e64 s[2:3], s26, v18
	v_mov_b32_e32 v13, 0
	v_mov_b32_e32 v14, 0
	s_and_saveexec_b64 s[4:5], s[2:3]
	s_cbranch_execz .LBB261_13
; %bb.12:                               ;   in Loop: Header=BB261_5 Depth=1
	v_add_u32_e32 v13, v19, v18
	v_ashrrev_i32_e32 v14, 31, v13
	v_lshlrev_b64 v[13:14], 3, v[13:14]
	v_mov_b32_e32 v1, s13
	v_add_co_u32_e32 v13, vcc, s12, v13
	v_addc_co_u32_e32 v14, vcc, v1, v14, vcc
	global_load_dwordx2 v[13:14], v[13:14], off
.LBB261_13:                             ;   in Loop: Header=BB261_5 Depth=1
	s_or_b64 exec, exec, s[4:5]
	v_lshlrev_b64 v[21:22], 2, v[15:16]
	v_mov_b32_e32 v1, s17
	v_add_co_u32_e32 v21, vcc, s16, v21
	v_addc_co_u32_e32 v22, vcc, v1, v22, vcc
	global_load_dword v16, v[21:22], off
	v_cmp_ne_u32_e32 vcc, s25, v18
	s_waitcnt vmcnt(1)
	v_mul_f32_e64 v22, v8, -v4
	v_mul_f32_e32 v21, v3, v8
	v_add_u32_e32 v1, s28, v15
	v_add_u32_e32 v15, s29, v15
	s_waitcnt vmcnt(0)
	v_cmp_ne_u32_e64 s[4:5], 1, v16
	s_and_b64 s[4:5], vcc, s[4:5]
	s_and_saveexec_b64 s[20:21], s[4:5]
	s_xor_b64 s[20:21], exec, s[20:21]
	s_cbranch_execz .LBB261_17
; %bb.14:                               ;   in Loop: Header=BB261_5 Depth=1
	v_lshlrev_b64 v[23:24], 3, v[1:2]
	v_mov_b32_e32 v16, v2
	v_mov_b32_e32 v1, s9
	v_add_co_u32_e32 v25, vcc, s8, v23
	v_lshlrev_b64 v[15:16], 3, v[15:16]
	v_addc_co_u32_e32 v26, vcc, v1, v24, vcc
	v_mul_f32_e32 v23, v5, v12
	v_add_co_u32_e32 v29, vcc, s8, v15
	v_mul_f32_e64 v15, v12, -v6
	v_fmac_f32_e32 v23, v6, v11
	v_fmac_f32_e32 v21, v4, v7
	;; [unrolled: 1-line block ×4, first 2 shown]
	v_sub_f32_e32 v21, v23, v21
	v_sub_f32_e32 v22, v15, v22
	v_mul_f32_e32 v23, v21, v21
	v_fmac_f32_e32 v23, v22, v22
	v_div_scale_f32 v24, s[4:5], v23, v23, 1.0
	v_addc_co_u32_e32 v30, vcc, v1, v16, vcc
	v_div_scale_f32 v35, vcc, 1.0, v23, 1.0
	v_add_u32_e32 v27, v17, v18
	v_add_u32_e32 v1, s28, v27
	v_lshlrev_b64 v[15:16], 3, v[1:2]
	v_mov_b32_e32 v1, s9
	v_add_co_u32_e64 v31, s[4:5], s8, v15
	v_addc_co_u32_e64 v32, s[4:5], v1, v16, s[4:5]
	v_add_u32_e32 v1, s29, v27
	v_lshlrev_b64 v[15:16], 3, v[1:2]
	v_rcp_f32_e32 v36, v24
	v_mov_b32_e32 v1, s9
	v_add_co_u32_e64 v33, s[4:5], s8, v15
	v_addc_co_u32_e64 v34, s[4:5], v1, v16, s[4:5]
	v_fma_f32 v1, -v24, v36, 1.0
	v_fmac_f32_e32 v36, v1, v36
	v_mul_f32_e32 v1, v35, v36
	v_fma_f32 v15, -v24, v1, v35
	v_fmac_f32_e32 v1, v15, v36
	v_fma_f32 v15, -v24, v1, v35
	global_load_dwordx2 v[27:28], v[25:26], off
	v_div_fmas_f32 v1, v15, v36, v1
	global_load_dwordx2 v[35:36], v[31:32], off
	v_fma_f32 v16, v22, 0, -v21
	v_fma_f32 v15, 0, v21, v22
	v_div_fixup_f32 v1, v1, v23, 1.0
	v_mul_f32_e32 v16, v16, v1
	v_mul_f32_e32 v15, v15, v1
	s_waitcnt vmcnt(1)
	v_mul_f32_e32 v23, v16, v27
	v_mul_f32_e64 v22, v16, -v28
	s_waitcnt vmcnt(0)
	v_mul_f32_e32 v24, v16, v35
	v_fmac_f32_e32 v23, v28, v15
	v_mul_f32_e64 v21, v16, -v36
	v_fmac_f32_e32 v24, v36, v15
	v_fmac_f32_e32 v22, v27, v15
	;; [unrolled: 1-line block ×3, first 2 shown]
	v_mul_f32_e32 v28, v11, v23
	v_mul_f32_e32 v35, v24, v7
	v_fmac_f32_e32 v28, v12, v22
	v_fmac_f32_e32 v35, v8, v21
	v_sub_f32_e32 v28, v28, v35
	global_load_dwordx2 v[35:36], v[29:30], off
	global_load_dwordx2 v[37:38], v[33:34], off
	v_mul_f32_e64 v1, v23, -v12
	v_mul_f32_e64 v27, v24, -v8
	v_fmac_f32_e32 v1, v11, v22
	v_fmac_f32_e32 v27, v7, v21
	v_sub_f32_e32 v27, v1, v27
	global_store_dwordx2 v[25:26], v[27:28], off
	s_waitcnt vmcnt(2)
	v_mul_f32_e32 v27, v16, v35
	v_mul_f32_e64 v25, v16, -v36
	v_fmac_f32_e32 v27, v36, v15
	v_fmac_f32_e32 v25, v35, v15
	s_waitcnt vmcnt(1)
	v_mul_f32_e32 v28, v16, v37
	v_mul_f32_e64 v1, v27, -v12
	v_mul_f32_e64 v26, v16, -v38
	v_fmac_f32_e32 v28, v38, v15
	v_fmac_f32_e32 v1, v11, v25
	v_mul_f32_e32 v11, v11, v27
	v_fmac_f32_e32 v26, v37, v15
	v_fmac_f32_e32 v11, v12, v25
	v_mul_f32_e64 v12, v28, -v8
	v_mul_f32_e32 v35, v28, v7
	v_fmac_f32_e32 v12, v7, v26
	v_fmac_f32_e32 v35, v8, v26
	v_sub_f32_e32 v7, v1, v12
	v_sub_f32_e32 v8, v11, v35
	global_store_dwordx2 v[29:30], v[7:8], off
	v_mul_f32_e64 v7, v23, -v3
	v_mul_f32_e32 v1, v4, v23
	v_fma_f32 v8, -v4, v22, v7
	v_mul_f32_e64 v7, v24, -v6
	v_mul_f32_e32 v11, v5, v24
	v_fma_f32 v1, -v3, v22, v1
	v_fmac_f32_e32 v7, v5, v21
	v_fmac_f32_e32 v11, v6, v21
	v_add_f32_e32 v7, v1, v7
	v_add_f32_e32 v8, v8, v11
	global_store_dwordx2 v[31:32], v[7:8], off
	v_mul_f32_e32 v1, v4, v27
	v_mul_f32_e64 v7, v27, -v3
	v_mul_f32_e64 v8, v28, -v6
	v_mul_f32_e32 v12, v5, v28
	v_fma_f32 v1, -v3, v25, v1
	v_fma_f32 v7, -v4, v25, v7
	v_fmac_f32_e32 v8, v5, v26
	v_fmac_f32_e32 v12, v6, v26
	v_add_f32_e32 v11, v1, v8
	v_add_f32_e32 v12, v7, v12
	v_mov_b32_e32 v7, 0
	v_mov_b32_e32 v1, 0
	global_store_dwordx2 v[33:34], v[11:12], off
	s_and_saveexec_b64 s[4:5], s[2:3]
	s_cbranch_execz .LBB261_16
; %bb.15:                               ;   in Loop: Header=BB261_5 Depth=1
	v_add_u32_e32 v7, v19, v18
	v_add_u32_e32 v1, s28, v7
	v_lshlrev_b64 v[11:12], 3, v[1:2]
	v_mov_b32_e32 v1, s9
	v_add_co_u32_e32 v11, vcc, s8, v11
	v_ashrrev_i32_e32 v8, 31, v7
	v_addc_co_u32_e32 v12, vcc, v1, v12, vcc
	v_add_u32_e32 v1, s29, v7
	v_lshlrev_b64 v[7:8], 3, v[7:8]
	v_mov_b32_e32 v29, s15
	v_add_co_u32_e32 v7, vcc, s14, v7
	v_addc_co_u32_e32 v8, vcc, v29, v8, vcc
	v_lshlrev_b64 v[29:30], 3, v[1:2]
	v_mov_b32_e32 v1, s9
	global_load_dwordx2 v[31:32], v[11:12], off
	global_load_dwordx2 v[33:34], v[7:8], off
	v_add_co_u32_e32 v7, vcc, s8, v29
	v_addc_co_u32_e32 v8, vcc, v1, v30, vcc
	global_load_dwordx2 v[29:30], v[7:8], off
	v_mul_f32_e32 v1, v4, v14
	v_mul_f32_e64 v35, v14, -v3
	v_mul_f32_e64 v36, v14, -v6
	v_mul_f32_e32 v37, v5, v14
	v_fma_f32 v1, -v3, v13, v1
	v_fma_f32 v3, -v4, v13, v35
	v_mul_f32_e64 v4, v6, -v14
	v_mul_f32_e32 v35, v6, v13
	v_fmac_f32_e32 v36, v5, v13
	v_fmac_f32_e32 v37, v6, v13
	;; [unrolled: 1-line block ×4, first 2 shown]
	v_mul_f32_e32 v5, v3, v23
	v_mul_f32_e64 v6, v23, -v1
	v_mul_f32_e64 v23, v24, -v37
	v_mul_f32_e32 v24, v36, v24
	v_mul_f32_e32 v13, v3, v27
	v_mul_f32_e64 v14, v27, -v1
	v_mul_f32_e64 v27, v28, -v37
	v_mul_f32_e32 v28, v36, v28
	v_fma_f32 v5, -v1, v22, v5
	v_fma_f32 v6, -v3, v22, v6
	v_mul_f32_e64 v22, v10, -v35
	v_mul_f32_e32 v10, v10, v4
	v_fmac_f32_e32 v23, v36, v21
	v_fmac_f32_e32 v24, v37, v21
	v_fma_f32 v1, -v1, v25, v13
	v_fma_f32 v3, -v3, v25, v14
	v_fmac_f32_e32 v27, v36, v26
	v_fmac_f32_e32 v28, v37, v26
	;; [unrolled: 1-line block ×4, first 2 shown]
	v_sub_f32_e32 v4, v5, v23
	v_sub_f32_e32 v5, v6, v24
	;; [unrolled: 1-line block ×4, first 2 shown]
	v_mul_f32_e64 v1, v16, -v10
	v_mul_f32_e32 v13, v16, v22
	v_fmac_f32_e32 v1, v22, v15
	v_fmac_f32_e32 v13, v10, v15
	s_waitcnt vmcnt(2)
	v_add_f32_e32 v3, v4, v31
	v_add_f32_e32 v4, v5, v32
	global_store_dwordx2 v[11:12], v[3:4], off
	s_waitcnt vmcnt(2)
	v_sub_f32_e32 v1, v33, v1
	s_waitcnt vmcnt(1)
	v_add_f32_e32 v3, v6, v29
	v_add_f32_e32 v4, v9, v30
	global_store_dwordx2 v[7:8], v[3:4], off
	v_sub_f32_e32 v7, v34, v13
.LBB261_16:                             ;   in Loop: Header=BB261_5 Depth=1
	s_or_b64 exec, exec, s[4:5]
	v_mov_b32_e32 v6, v7
	v_mov_b32_e32 v5, v1
                                        ; implicit-def: $vgpr7_vgpr8
                                        ; implicit-def: $vgpr3
                                        ; implicit-def: $vgpr11
                                        ; implicit-def: $vgpr22
                                        ; implicit-def: $vgpr21
                                        ; implicit-def: $vgpr15
.LBB261_17:                             ;   in Loop: Header=BB261_5 Depth=1
	s_or_saveexec_b64 s[2:3], s[20:21]
	v_mov_b32_e32 v8, s27
	s_xor_b64 exec, exec, s[2:3]
	s_cbranch_execz .LBB261_4
; %bb.18:                               ;   in Loop: Header=BB261_5 Depth=1
	v_mul_f32_e32 v8, v6, v6
	v_fmac_f32_e32 v8, v5, v5
	v_div_scale_f32 v9, s[4:5], v8, v8, 1.0
	v_rcp_f32_e32 v10, v9
	v_fma_f32 v13, -v9, v10, 1.0
	v_fmac_f32_e32 v10, v13, v10
	v_div_scale_f32 v13, vcc, 1.0, v8, 1.0
	v_mul_f32_e32 v14, v13, v10
	v_fma_f32 v16, -v9, v14, v13
	v_fmac_f32_e32 v14, v16, v10
	v_fma_f32 v9, -v9, v14, v13
	v_div_fmas_f32 v9, v9, v10, v14
	v_mov_b32_e32 v16, v2
	v_div_fixup_f32 v8, v9, v8, 1.0
	v_fma_f32 v9, 0, v6, v5
	v_fma_f32 v5, v5, 0, -v6
	v_mul_f32_e32 v13, v5, v8
	v_lshlrev_b64 v[5:6], 3, v[1:2]
	v_mov_b32_e32 v1, s9
	v_add_co_u32_e32 v23, vcc, s8, v5
	v_addc_co_u32_e32 v24, vcc, v1, v6, vcc
	v_mul_f32_e32 v10, v9, v8
	global_load_dwordx2 v[8:9], v[23:24], off
	s_waitcnt vmcnt(0)
	v_mul_f32_e64 v5, v13, -v9
	v_mul_f32_e32 v6, v13, v8
	v_fmac_f32_e32 v5, v8, v10
	v_fmac_f32_e32 v6, v9, v10
	v_lshlrev_b64 v[8:9], 3, v[15:16]
	v_add_co_u32_e32 v14, vcc, s8, v8
	v_addc_co_u32_e32 v15, vcc, v1, v9, vcc
	global_load_dwordx2 v[25:26], v[14:15], off
	s_waitcnt vmcnt(0)
	v_mul_f32_e64 v8, v13, -v26
	v_mul_f32_e32 v9, v13, v25
	v_fmac_f32_e32 v8, v25, v10
	v_fmac_f32_e32 v9, v26, v10
	global_store_dwordx2 v[23:24], v[5:6], off
	global_store_dwordx2 v[14:15], v[8:9], off
	s_and_saveexec_b64 s[4:5], s[0:1]
	s_cbranch_execz .LBB261_3
; %bb.19:                               ;   in Loop: Header=BB261_5 Depth=1
	v_add_u32_e32 v16, v17, v18
	v_add_u32_e32 v1, s28, v16
	v_lshlrev_b64 v[14:15], 3, v[1:2]
	v_mov_b32_e32 v1, s9
	v_add_co_u32_e32 v14, vcc, s8, v14
	v_addc_co_u32_e32 v15, vcc, v1, v15, vcc
	v_add_u32_e32 v1, s29, v16
	v_lshlrev_b64 v[25:26], 3, v[1:2]
	v_mov_b32_e32 v1, s9
	v_add_co_u32_e32 v25, vcc, s8, v25
	global_load_dwordx2 v[23:24], v[14:15], off
	v_addc_co_u32_e32 v26, vcc, v1, v26, vcc
	global_load_dwordx2 v[27:28], v[25:26], off
	s_waitcnt vmcnt(1)
	v_fma_f32 v1, -v4, v5, v24
	v_fma_f32 v23, -v3, v5, v23
	;; [unrolled: 1-line block ×3, first 2 shown]
	s_waitcnt vmcnt(0)
	v_fma_f32 v5, -v3, v8, v27
	v_fma_f32 v1, -v4, v8, v28
	v_fmac_f32_e32 v23, v4, v6
	v_fmac_f32_e32 v5, v4, v9
	v_fma_f32 v6, -v3, v9, v1
	global_store_dwordx2 v[14:15], v[23:24], off
	global_store_dwordx2 v[25:26], v[5:6], off
	s_branch .LBB261_3
.LBB261_20:
	s_or_b64 exec, exec, s[18:19]
	s_branch .LBB261_22
.LBB261_21:
	v_mov_b32_e32 v18, 0
.LBB261_22:
	v_subrev_u32_e32 v3, s22, v18
	v_add_u32_e32 v1, v3, v0
	v_ashrrev_i32_e32 v2, 31, v1
	v_lshlrev_b64 v[1:2], 2, v[1:2]
	s_waitcnt lgkmcnt(0)
	v_mov_b32_e32 v4, s17
	v_add_co_u32_e32 v1, vcc, s16, v1
	v_addc_co_u32_e32 v2, vcc, v4, v2, vcc
	s_waitcnt vmcnt(0)
	buffer_wbinvl1_vol
	global_load_dword v1, v[1:2], off
	s_waitcnt vmcnt(0)
	v_mul_lo_u32 v1, v1, s22
	v_sub_u32_e32 v7, v3, v1
	v_cmp_lt_i32_e32 vcc, -1, v7
	s_and_b64 exec, exec, vcc
	s_cbranch_execz .LBB261_29
; %bb.23:
	s_lshl_b32 s4, s24, 1
	s_add_i32 s5, s4, s23
	s_lshl_b32 s6, s22, 1
	s_mov_b64 s[0:1], 0
	v_mov_b32_e32 v8, s17
	v_mov_b32_e32 v9, s11
	;; [unrolled: 1-line block ×3, first 2 shown]
	s_branch .LBB261_25
.LBB261_24:                             ;   in Loop: Header=BB261_25 Depth=1
	s_or_b64 exec, exec, s[2:3]
	v_sub_u32_e32 v7, v7, v1
	v_cmp_gt_i32_e32 vcc, 0, v7
	s_or_b64 s[0:1], vcc, s[0:1]
	s_andn2_b64 exec, exec, s[0:1]
	s_cbranch_execz .LBB261_29
.LBB261_25:                             ; =>This Inner Loop Header: Depth=1
	v_add_u32_e32 v5, v7, v0
	v_ashrrev_i32_e32 v6, 31, v5
	s_waitcnt vmcnt(0)
	v_lshlrev_b64 v[3:4], 2, v[5:6]
	v_add_co_u32_e32 v3, vcc, s16, v3
	v_addc_co_u32_e32 v4, vcc, v8, v4, vcc
	global_load_dword v1, v[3:4], off
	v_lshlrev_b64 v[3:4], 3, v[5:6]
	v_add_co_u32_e32 v3, vcc, s10, v3
	v_addc_co_u32_e32 v4, vcc, v9, v4, vcc
	global_load_dwordx2 v[3:4], v[3:4], off
	s_waitcnt vmcnt(1)
	v_cmp_ne_u32_e32 vcc, 1, v1
	s_and_saveexec_b64 s[2:3], vcc
	s_xor_b64 s[2:3], exec, s[2:3]
	s_cbranch_execz .LBB261_27
; %bb.26:                               ;   in Loop: Header=BB261_25 Depth=1
	v_add_u32_e32 v6, v17, v7
	v_add_u32_e32 v1, s4, v6
	v_lshlrev_b64 v[10:11], 3, v[1:2]
	v_mov_b32_e32 v1, s9
	v_add_co_u32_e32 v10, vcc, s8, v10
	v_addc_co_u32_e32 v11, vcc, v1, v11, vcc
	v_add_u32_e32 v1, s5, v6
	v_lshlrev_b64 v[12:13], 3, v[1:2]
	v_add_u32_e32 v1, s4, v5
	v_lshlrev_b64 v[14:15], 3, v[1:2]
	v_mov_b32_e32 v1, s9
	v_add_co_u32_e32 v14, vcc, s8, v14
	v_addc_co_u32_e32 v15, vcc, v1, v15, vcc
	global_load_dwordx2 v[18:19], v[10:11], off
	global_load_dwordx2 v[20:21], v[14:15], off
	v_add_co_u32_e32 v10, vcc, s8, v12
	v_addc_co_u32_e32 v11, vcc, v1, v13, vcc
	v_add_u32_e32 v1, s5, v5
	v_lshlrev_b64 v[5:6], 3, v[1:2]
	v_mov_b32_e32 v12, s9
	v_add_co_u32_e32 v5, vcc, s8, v5
	v_addc_co_u32_e32 v6, vcc, v12, v6, vcc
	global_load_dwordx2 v[10:11], v[10:11], off
	v_mov_b32_e32 v22, s9
	s_waitcnt vmcnt(1)
	v_fma_f32 v12, -v3, v18, v20
	v_fma_f32 v1, -v4, v18, v21
	v_fmac_f32_e32 v12, v4, v19
	v_fma_f32 v13, -v3, v19, v1
	global_store_dwordx2 v[14:15], v[12:13], off
	global_load_dwordx2 v[12:13], v[5:6], off
	v_subrev_u32_e32 v1, s22, v7
	v_add_u32_e32 v14, v1, v0
	v_ashrrev_i32_e32 v15, 31, v14
	v_lshlrev_b64 v[15:16], 3, v[14:15]
	v_mov_b32_e32 v20, s11
	v_add_co_u32_e32 v15, vcc, s10, v15
	v_add_u32_e32 v1, s4, v14
	v_addc_co_u32_e32 v16, vcc, v20, v16, vcc
	v_lshlrev_b64 v[20:21], 3, v[1:2]
	global_load_dwordx2 v[15:16], v[15:16], off
	v_add_co_u32_e32 v20, vcc, s8, v20
	v_addc_co_u32_e32 v21, vcc, v22, v21, vcc
	s_waitcnt vmcnt(1)
	v_fma_f32 v12, -v3, v10, v12
	v_fma_f32 v1, -v4, v10, v13
	v_fmac_f32_e32 v12, v4, v11
	v_fma_f32 v13, -v3, v11, v1
	global_store_dwordx2 v[5:6], v[12:13], off
	global_load_dwordx2 v[3:4], v[20:21], off
	v_add_u32_e32 v1, s5, v14
	v_lshlrev_b64 v[5:6], 3, v[1:2]
	v_mov_b32_e32 v12, s9
	v_add_co_u32_e32 v5, vcc, s8, v5
	v_addc_co_u32_e32 v6, vcc, v12, v6, vcc
	s_waitcnt vmcnt(0)
	v_fma_f32 v3, -v15, v18, v3
	v_fma_f32 v1, -v16, v18, v4
	v_fmac_f32_e32 v3, v16, v19
	v_fma_f32 v4, -v15, v19, v1
	global_store_dwordx2 v[20:21], v[3:4], off
	global_load_dwordx2 v[3:4], v[5:6], off
	s_waitcnt vmcnt(0)
	v_fma_f32 v3, -v15, v10, v3
	v_fma_f32 v1, -v16, v10, v4
	v_fmac_f32_e32 v3, v16, v11
	v_fma_f32 v4, -v15, v11, v1
	global_store_dwordx2 v[5:6], v[3:4], off
                                        ; implicit-def: $vgpr5
                                        ; implicit-def: $vgpr3_vgpr4
.LBB261_27:                             ;   in Loop: Header=BB261_25 Depth=1
	s_or_saveexec_b64 s[2:3], s[2:3]
	v_mov_b32_e32 v1, s6
	s_xor_b64 exec, exec, s[2:3]
	s_cbranch_execz .LBB261_24
; %bb.28:                               ;   in Loop: Header=BB261_25 Depth=1
	v_add_u32_e32 v6, v17, v7
	v_add_u32_e32 v1, s4, v6
	v_lshlrev_b64 v[10:11], 3, v[1:2]
	v_mov_b32_e32 v1, s9
	v_add_co_u32_e32 v10, vcc, s8, v10
	v_addc_co_u32_e32 v11, vcc, v1, v11, vcc
	v_add_u32_e32 v1, s4, v5
	v_lshlrev_b64 v[12:13], 3, v[1:2]
	v_mov_b32_e32 v1, s9
	v_add_co_u32_e32 v12, vcc, s8, v12
	v_addc_co_u32_e32 v13, vcc, v1, v13, vcc
	global_load_dwordx2 v[14:15], v[10:11], off
	global_load_dwordx2 v[18:19], v[12:13], off
	v_add_u32_e32 v1, s5, v6
	v_lshlrev_b64 v[10:11], 3, v[1:2]
	v_add_u32_e32 v1, s5, v5
	v_mov_b32_e32 v16, s9
	v_lshlrev_b64 v[5:6], 3, v[1:2]
	v_add_co_u32_e32 v10, vcc, s8, v10
	v_addc_co_u32_e32 v11, vcc, v16, v11, vcc
	v_mov_b32_e32 v20, s9
	v_add_co_u32_e32 v5, vcc, s8, v5
	v_addc_co_u32_e32 v6, vcc, v20, v6, vcc
	s_waitcnt vmcnt(0)
	v_fma_f32 v18, -v3, v14, v18
	v_fma_f32 v1, -v4, v14, v19
	v_fmac_f32_e32 v18, v4, v15
	v_fma_f32 v19, -v3, v15, v1
	global_store_dwordx2 v[12:13], v[18:19], off
	global_load_dwordx2 v[12:13], v[10:11], off
	s_nop 0
	global_load_dwordx2 v[14:15], v[5:6], off
	s_waitcnt vmcnt(0)
	v_fma_f32 v10, -v3, v12, v14
	v_fma_f32 v1, -v4, v12, v15
	v_fmac_f32_e32 v10, v4, v13
	v_fma_f32 v11, -v3, v13, v1
	v_mov_b32_e32 v1, s22
	global_store_dwordx2 v[5:6], v[10:11], off
	s_branch .LBB261_24
.LBB261_29:
	s_endpgm
	.section	.rodata,"a",@progbits
	.p2align	6, 0x0
	.amdhsa_kernel _ZN9rocsparseL19gtsv_LBM_rhs_kernelILj256ELj256ELj2E21rocsparse_complex_numIfEEEviiiPKT2_S5_S5_PS3_S5_PKi
		.amdhsa_group_segment_fixed_size 0
		.amdhsa_private_segment_fixed_size 0
		.amdhsa_kernarg_size 64
		.amdhsa_user_sgpr_count 6
		.amdhsa_user_sgpr_private_segment_buffer 1
		.amdhsa_user_sgpr_dispatch_ptr 0
		.amdhsa_user_sgpr_queue_ptr 0
		.amdhsa_user_sgpr_kernarg_segment_ptr 1
		.amdhsa_user_sgpr_dispatch_id 0
		.amdhsa_user_sgpr_flat_scratch_init 0
		.amdhsa_user_sgpr_private_segment_size 0
		.amdhsa_uses_dynamic_stack 0
		.amdhsa_system_sgpr_private_segment_wavefront_offset 0
		.amdhsa_system_sgpr_workgroup_id_x 1
		.amdhsa_system_sgpr_workgroup_id_y 1
		.amdhsa_system_sgpr_workgroup_id_z 0
		.amdhsa_system_sgpr_workgroup_info 0
		.amdhsa_system_vgpr_workitem_id 0
		.amdhsa_next_free_vgpr 39
		.amdhsa_next_free_sgpr 30
		.amdhsa_reserve_vcc 1
		.amdhsa_reserve_flat_scratch 0
		.amdhsa_float_round_mode_32 0
		.amdhsa_float_round_mode_16_64 0
		.amdhsa_float_denorm_mode_32 3
		.amdhsa_float_denorm_mode_16_64 3
		.amdhsa_dx10_clamp 1
		.amdhsa_ieee_mode 1
		.amdhsa_fp16_overflow 0
		.amdhsa_exception_fp_ieee_invalid_op 0
		.amdhsa_exception_fp_denorm_src 0
		.amdhsa_exception_fp_ieee_div_zero 0
		.amdhsa_exception_fp_ieee_overflow 0
		.amdhsa_exception_fp_ieee_underflow 0
		.amdhsa_exception_fp_ieee_inexact 0
		.amdhsa_exception_int_div_zero 0
	.end_amdhsa_kernel
	.section	.text._ZN9rocsparseL19gtsv_LBM_rhs_kernelILj256ELj256ELj2E21rocsparse_complex_numIfEEEviiiPKT2_S5_S5_PS3_S5_PKi,"axG",@progbits,_ZN9rocsparseL19gtsv_LBM_rhs_kernelILj256ELj256ELj2E21rocsparse_complex_numIfEEEviiiPKT2_S5_S5_PS3_S5_PKi,comdat
.Lfunc_end261:
	.size	_ZN9rocsparseL19gtsv_LBM_rhs_kernelILj256ELj256ELj2E21rocsparse_complex_numIfEEEviiiPKT2_S5_S5_PS3_S5_PKi, .Lfunc_end261-_ZN9rocsparseL19gtsv_LBM_rhs_kernelILj256ELj256ELj2E21rocsparse_complex_numIfEEEviiiPKT2_S5_S5_PS3_S5_PKi
                                        ; -- End function
	.set _ZN9rocsparseL19gtsv_LBM_rhs_kernelILj256ELj256ELj2E21rocsparse_complex_numIfEEEviiiPKT2_S5_S5_PS3_S5_PKi.num_vgpr, 39
	.set _ZN9rocsparseL19gtsv_LBM_rhs_kernelILj256ELj256ELj2E21rocsparse_complex_numIfEEEviiiPKT2_S5_S5_PS3_S5_PKi.num_agpr, 0
	.set _ZN9rocsparseL19gtsv_LBM_rhs_kernelILj256ELj256ELj2E21rocsparse_complex_numIfEEEviiiPKT2_S5_S5_PS3_S5_PKi.numbered_sgpr, 30
	.set _ZN9rocsparseL19gtsv_LBM_rhs_kernelILj256ELj256ELj2E21rocsparse_complex_numIfEEEviiiPKT2_S5_S5_PS3_S5_PKi.num_named_barrier, 0
	.set _ZN9rocsparseL19gtsv_LBM_rhs_kernelILj256ELj256ELj2E21rocsparse_complex_numIfEEEviiiPKT2_S5_S5_PS3_S5_PKi.private_seg_size, 0
	.set _ZN9rocsparseL19gtsv_LBM_rhs_kernelILj256ELj256ELj2E21rocsparse_complex_numIfEEEviiiPKT2_S5_S5_PS3_S5_PKi.uses_vcc, 1
	.set _ZN9rocsparseL19gtsv_LBM_rhs_kernelILj256ELj256ELj2E21rocsparse_complex_numIfEEEviiiPKT2_S5_S5_PS3_S5_PKi.uses_flat_scratch, 0
	.set _ZN9rocsparseL19gtsv_LBM_rhs_kernelILj256ELj256ELj2E21rocsparse_complex_numIfEEEviiiPKT2_S5_S5_PS3_S5_PKi.has_dyn_sized_stack, 0
	.set _ZN9rocsparseL19gtsv_LBM_rhs_kernelILj256ELj256ELj2E21rocsparse_complex_numIfEEEviiiPKT2_S5_S5_PS3_S5_PKi.has_recursion, 0
	.set _ZN9rocsparseL19gtsv_LBM_rhs_kernelILj256ELj256ELj2E21rocsparse_complex_numIfEEEviiiPKT2_S5_S5_PS3_S5_PKi.has_indirect_call, 0
	.section	.AMDGPU.csdata,"",@progbits
; Kernel info:
; codeLenInByte = 2880
; TotalNumSgprs: 34
; NumVgprs: 39
; ScratchSize: 0
; MemoryBound: 0
; FloatMode: 240
; IeeeMode: 1
; LDSByteSize: 0 bytes/workgroup (compile time only)
; SGPRBlocks: 4
; VGPRBlocks: 9
; NumSGPRsForWavesPerEU: 34
; NumVGPRsForWavesPerEU: 39
; Occupancy: 6
; WaveLimiterHint : 0
; COMPUTE_PGM_RSRC2:SCRATCH_EN: 0
; COMPUTE_PGM_RSRC2:USER_SGPR: 6
; COMPUTE_PGM_RSRC2:TRAP_HANDLER: 0
; COMPUTE_PGM_RSRC2:TGID_X_EN: 1
; COMPUTE_PGM_RSRC2:TGID_Y_EN: 1
; COMPUTE_PGM_RSRC2:TGID_Z_EN: 0
; COMPUTE_PGM_RSRC2:TIDIG_COMP_CNT: 0
	.section	.text._ZN9rocsparseL19gtsv_LBM_rhs_kernelILj256ELj256ELj1E21rocsparse_complex_numIfEEEviiiPKT2_S5_S5_PS3_S5_PKi,"axG",@progbits,_ZN9rocsparseL19gtsv_LBM_rhs_kernelILj256ELj256ELj1E21rocsparse_complex_numIfEEEviiiPKT2_S5_S5_PS3_S5_PKi,comdat
	.globl	_ZN9rocsparseL19gtsv_LBM_rhs_kernelILj256ELj256ELj1E21rocsparse_complex_numIfEEEviiiPKT2_S5_S5_PS3_S5_PKi ; -- Begin function _ZN9rocsparseL19gtsv_LBM_rhs_kernelILj256ELj256ELj1E21rocsparse_complex_numIfEEEviiiPKT2_S5_S5_PS3_S5_PKi
	.p2align	8
	.type	_ZN9rocsparseL19gtsv_LBM_rhs_kernelILj256ELj256ELj1E21rocsparse_complex_numIfEEEviiiPKT2_S5_S5_PS3_S5_PKi,@function
_ZN9rocsparseL19gtsv_LBM_rhs_kernelILj256ELj256ELj1E21rocsparse_complex_numIfEEEviiiPKT2_S5_S5_PS3_S5_PKi: ; @_ZN9rocsparseL19gtsv_LBM_rhs_kernelILj256ELj256ELj1E21rocsparse_complex_numIfEEEviiiPKT2_S5_S5_PS3_S5_PKi
; %bb.0:
	s_load_dword s24, s[4:5], 0x0
	v_lshl_or_b32 v0, s6, 8, v0
	s_waitcnt lgkmcnt(0)
	s_lshr_b32 s22, s24, 8
	v_cmp_gt_i32_e32 vcc, s22, v0
	s_and_saveexec_b64 s[0:1], vcc
	s_cbranch_execz .LBB262_29
; %bb.1:
	s_load_dwordx4 s[8:11], s[4:5], 0x28
	s_load_dwordx2 s[16:17], s[4:5], 0x38
	s_cmp_lt_i32 s24, 1
	s_mul_i32 s23, s24, s7
	s_cbranch_scc1 .LBB262_21
; %bb.2:
	s_load_dwordx4 s[12:15], s[4:5], 0x10
	s_load_dwordx2 s[6:7], s[4:5], 0x20
	v_ashrrev_i32_e32 v1, 31, v0
	v_lshlrev_b64 v[1:2], 3, v[0:1]
	v_add_u32_e32 v18, s22, v0
	s_waitcnt lgkmcnt(0)
	v_mov_b32_e32 v3, s15
	v_add_co_u32_e32 v1, vcc, s14, v1
	v_addc_co_u32_e32 v2, vcc, v3, v2, vcc
	global_load_dwordx2 v[5:6], v[1:2], off
	s_mul_i32 s25, s22, 0xff
	s_mul_i32 s26, s22, 0xfe
	s_lshl_b32 s27, s22, 1
	v_add_u32_e32 v19, s22, v18
	v_add_u32_e32 v20, s23, v18
	v_mov_b32_e32 v2, 0
	s_mov_b64 s[18:19], 0
	v_mov_b32_e32 v21, s7
	v_mov_b32_e32 v17, 0
	s_branch .LBB262_5
.LBB262_3:                              ;   in Loop: Header=BB262_5 Depth=1
	s_or_b64 exec, exec, s[4:5]
	v_fmac_f32_e32 v22, v3, v9
	v_fmac_f32_e32 v16, v4, v9
	v_mul_f32_e64 v1, v8, -v16
	v_mul_f32_e32 v3, v8, v22
	v_fmac_f32_e32 v1, v22, v7
	v_fmac_f32_e32 v3, v16, v7
	v_sub_f32_e32 v5, v11, v1
	v_sub_f32_e32 v6, v12, v3
	v_mov_b32_e32 v7, s22
.LBB262_4:                              ;   in Loop: Header=BB262_5 Depth=1
	s_or_b64 exec, exec, s[2:3]
	v_add_u32_e32 v17, v7, v17
	v_cmp_le_i32_e32 vcc, s24, v17
	s_or_b64 s[18:19], vcc, s[18:19]
	s_andn2_b64 exec, exec, s[18:19]
	s_cbranch_execz .LBB262_20
.LBB262_5:                              ; =>This Inner Loop Header: Depth=1
	v_add_u32_e32 v15, v17, v0
	v_ashrrev_i32_e32 v16, 31, v15
	v_lshlrev_b64 v[3:4], 3, v[15:16]
	v_cmp_gt_u32_e64 s[0:1], s25, v17
	v_add_co_u32_e32 v3, vcc, s6, v3
	v_addc_co_u32_e32 v4, vcc, v21, v4, vcc
	global_load_dwordx2 v[9:10], v[3:4], off
	v_add_u32_e32 v13, v18, v17
	v_mov_b32_e32 v3, 0
	v_mov_b32_e32 v4, 0
	s_and_saveexec_b64 s[2:3], s[0:1]
	s_cbranch_execz .LBB262_7
; %bb.6:                                ;   in Loop: Header=BB262_5 Depth=1
	v_ashrrev_i32_e32 v14, 31, v13
	v_lshlrev_b64 v[3:4], 3, v[13:14]
	v_mov_b32_e32 v1, s13
	v_add_co_u32_e32 v3, vcc, s12, v3
	v_addc_co_u32_e32 v4, vcc, v1, v4, vcc
	global_load_dwordx2 v[3:4], v[3:4], off
.LBB262_7:                              ;   in Loop: Header=BB262_5 Depth=1
	s_or_b64 exec, exec, s[2:3]
	v_mov_b32_e32 v7, 0
	v_mov_b32_e32 v11, 0
	;; [unrolled: 1-line block ×3, first 2 shown]
	s_and_saveexec_b64 s[2:3], s[0:1]
	s_cbranch_execz .LBB262_9
; %bb.8:                                ;   in Loop: Header=BB262_5 Depth=1
	v_ashrrev_i32_e32 v14, 31, v13
	v_lshlrev_b64 v[11:12], 3, v[13:14]
	v_mov_b32_e32 v1, s15
	v_add_co_u32_e32 v11, vcc, s14, v11
	v_addc_co_u32_e32 v12, vcc, v1, v12, vcc
	global_load_dwordx2 v[11:12], v[11:12], off
.LBB262_9:                              ;   in Loop: Header=BB262_5 Depth=1
	s_or_b64 exec, exec, s[2:3]
	v_mov_b32_e32 v8, 0
	s_and_saveexec_b64 s[2:3], s[0:1]
	s_cbranch_execz .LBB262_11
; %bb.10:                               ;   in Loop: Header=BB262_5 Depth=1
	v_ashrrev_i32_e32 v14, 31, v13
	v_lshlrev_b64 v[7:8], 3, v[13:14]
	v_mov_b32_e32 v1, s7
	v_add_co_u32_e32 v7, vcc, s6, v7
	v_addc_co_u32_e32 v8, vcc, v1, v8, vcc
	global_load_dwordx2 v[7:8], v[7:8], off
.LBB262_11:                             ;   in Loop: Header=BB262_5 Depth=1
	s_or_b64 exec, exec, s[2:3]
	v_cmp_gt_u32_e64 s[2:3], s26, v17
	v_mov_b32_e32 v13, 0
	v_mov_b32_e32 v14, 0
	s_and_saveexec_b64 s[4:5], s[2:3]
	s_cbranch_execz .LBB262_13
; %bb.12:                               ;   in Loop: Header=BB262_5 Depth=1
	v_add_u32_e32 v13, v19, v17
	v_ashrrev_i32_e32 v14, 31, v13
	v_lshlrev_b64 v[13:14], 3, v[13:14]
	v_mov_b32_e32 v1, s13
	v_add_co_u32_e32 v13, vcc, s12, v13
	v_addc_co_u32_e32 v14, vcc, v1, v14, vcc
	global_load_dwordx2 v[13:14], v[13:14], off
.LBB262_13:                             ;   in Loop: Header=BB262_5 Depth=1
	s_or_b64 exec, exec, s[4:5]
	v_lshlrev_b64 v[22:23], 2, v[15:16]
	v_mov_b32_e32 v1, s17
	v_add_co_u32_e32 v22, vcc, s16, v22
	v_addc_co_u32_e32 v23, vcc, v1, v23, vcc
	global_load_dword v1, v[22:23], off
	v_cmp_ne_u32_e32 vcc, s25, v17
	s_waitcnt vmcnt(1)
	v_mul_f32_e64 v22, v10, -v4
	v_mul_f32_e32 v16, v3, v10
	s_waitcnt vmcnt(0)
	v_cmp_ne_u32_e64 s[4:5], 1, v1
	s_and_b64 s[4:5], vcc, s[4:5]
	v_add_u32_e32 v1, s23, v15
	s_and_saveexec_b64 s[20:21], s[4:5]
	s_xor_b64 s[4:5], exec, s[20:21]
	s_cbranch_execz .LBB262_17
; %bb.14:                               ;   in Loop: Header=BB262_5 Depth=1
	v_lshlrev_b64 v[23:24], 3, v[1:2]
	v_mov_b32_e32 v1, s9
	v_add_co_u32_e32 v26, vcc, s8, v23
	v_addc_co_u32_e32 v27, vcc, v1, v24, vcc
	v_add_u32_e32 v1, v20, v17
	v_lshlrev_b64 v[23:24], 3, v[1:2]
	v_mov_b32_e32 v15, s9
	v_add_co_u32_e32 v28, vcc, s8, v23
	v_addc_co_u32_e32 v29, vcc, v15, v24, vcc
	v_mul_f32_e32 v15, v5, v12
	v_mul_f32_e64 v1, v12, -v6
	v_fmac_f32_e32 v15, v6, v11
	v_fmac_f32_e32 v16, v4, v9
	;; [unrolled: 1-line block ×4, first 2 shown]
	v_sub_f32_e32 v15, v15, v16
	v_sub_f32_e32 v1, v1, v22
	v_mul_f32_e32 v16, v15, v15
	v_fmac_f32_e32 v16, v1, v1
	v_div_scale_f32 v22, s[20:21], v16, v16, 1.0
	v_rcp_f32_e32 v23, v22
	v_fma_f32 v24, -v22, v23, 1.0
	v_fmac_f32_e32 v23, v24, v23
	v_div_scale_f32 v24, vcc, 1.0, v16, 1.0
	v_mul_f32_e32 v25, v24, v23
	v_fma_f32 v30, -v22, v25, v24
	v_fmac_f32_e32 v25, v30, v23
	v_fma_f32 v22, -v22, v25, v24
	v_div_fmas_f32 v22, v22, v23, v25
	v_fma_f32 v23, 0, v15, v1
	v_fma_f32 v1, v1, 0, -v15
	global_load_dwordx2 v[30:31], v[28:29], off
	v_div_fixup_f32 v16, v22, v16, 1.0
	v_mul_f32_e32 v15, v23, v16
	global_load_dwordx2 v[23:24], v[26:27], off
	v_mul_f32_e32 v16, v1, v16
	s_waitcnt vmcnt(1)
	v_mul_f32_e32 v25, v16, v30
	v_fmac_f32_e32 v25, v31, v15
	s_waitcnt vmcnt(0)
	v_mul_f32_e64 v22, v16, -v24
	v_fmac_f32_e32 v22, v23, v15
	v_mul_f32_e32 v23, v16, v23
	v_fmac_f32_e32 v23, v24, v15
	v_mul_f32_e64 v1, v23, -v12
	v_mul_f32_e64 v24, v16, -v31
	v_fmac_f32_e32 v1, v11, v22
	v_mul_f32_e32 v11, v11, v23
	v_fmac_f32_e32 v24, v30, v15
	v_fmac_f32_e32 v11, v12, v22
	v_mul_f32_e64 v12, v25, -v10
	v_mul_f32_e32 v30, v25, v9
	v_fmac_f32_e32 v12, v9, v24
	v_fmac_f32_e32 v30, v10, v24
	v_sub_f32_e32 v9, v1, v12
	v_sub_f32_e32 v10, v11, v30
	global_store_dwordx2 v[26:27], v[9:10], off
	v_mul_f32_e64 v9, v23, -v3
	v_mul_f32_e32 v1, v4, v23
	v_fma_f32 v10, -v4, v22, v9
	v_mul_f32_e64 v9, v25, -v6
	v_mul_f32_e32 v11, v5, v25
	v_fma_f32 v1, -v3, v22, v1
	v_fmac_f32_e32 v9, v5, v24
	v_fmac_f32_e32 v11, v6, v24
	v_add_f32_e32 v9, v1, v9
	v_add_f32_e32 v10, v10, v11
	global_store_dwordx2 v[28:29], v[9:10], off
	v_mov_b32_e32 v1, 0
	v_mov_b32_e32 v9, 0
	s_and_saveexec_b64 s[20:21], s[2:3]
	s_cbranch_execz .LBB262_16
; %bb.15:                               ;   in Loop: Header=BB262_5 Depth=1
	v_add_u32_e32 v9, v19, v17
	v_add_u32_e32 v1, s23, v9
	v_lshlrev_b64 v[10:11], 3, v[1:2]
	v_mov_b32_e32 v1, s9
	v_add_co_u32_e32 v26, vcc, s8, v10
	v_ashrrev_i32_e32 v10, 31, v9
	v_lshlrev_b64 v[9:10], 3, v[9:10]
	v_addc_co_u32_e32 v27, vcc, v1, v11, vcc
	v_mov_b32_e32 v1, s15
	v_add_co_u32_e32 v9, vcc, s14, v9
	v_addc_co_u32_e32 v10, vcc, v1, v10, vcc
	global_load_dwordx2 v[11:12], v[26:27], off
	v_mul_f32_e32 v1, v4, v14
	global_load_dwordx2 v[9:10], v[9:10], off
	v_mul_f32_e64 v28, v14, -v3
	v_fma_f32 v1, -v3, v13, v1
	v_fma_f32 v3, -v4, v13, v28
	v_mul_f32_e64 v4, v6, -v14
	v_mul_f32_e32 v28, v6, v13
	v_mul_f32_e64 v29, v14, -v6
	v_mul_f32_e32 v30, v5, v14
	v_fmac_f32_e32 v4, v13, v5
	v_fmac_f32_e32 v28, v14, v5
	;; [unrolled: 1-line block ×4, first 2 shown]
	v_mul_f32_e32 v5, v3, v23
	v_mul_f32_e64 v6, v23, -v1
	v_mul_f32_e64 v23, v8, -v28
	v_mul_f32_e32 v8, v8, v4
	v_mul_f32_e64 v13, v25, -v30
	v_mul_f32_e32 v14, v29, v25
	v_fmac_f32_e32 v23, v4, v7
	v_fmac_f32_e32 v8, v28, v7
	v_fma_f32 v1, -v1, v22, v5
	v_fma_f32 v3, -v3, v22, v6
	v_fmac_f32_e32 v13, v29, v24
	v_fmac_f32_e32 v14, v30, v24
	v_mul_f32_e64 v5, v16, -v8
	v_mul_f32_e32 v6, v16, v23
	v_sub_f32_e32 v1, v1, v13
	v_sub_f32_e32 v4, v3, v14
	v_fmac_f32_e32 v5, v23, v15
	v_fmac_f32_e32 v6, v8, v15
	s_waitcnt vmcnt(1)
	v_add_f32_e32 v3, v1, v11
	v_add_f32_e32 v4, v4, v12
	s_waitcnt vmcnt(0)
	v_sub_f32_e32 v9, v9, v5
	v_sub_f32_e32 v1, v10, v6
	global_store_dwordx2 v[26:27], v[3:4], off
.LBB262_16:                             ;   in Loop: Header=BB262_5 Depth=1
	s_or_b64 exec, exec, s[20:21]
	v_mov_b32_e32 v6, v1
	v_mov_b32_e32 v5, v9
                                        ; implicit-def: $vgpr9_vgpr10
                                        ; implicit-def: $vgpr3
                                        ; implicit-def: $vgpr11
                                        ; implicit-def: $vgpr22
                                        ; implicit-def: $vgpr16
.LBB262_17:                             ;   in Loop: Header=BB262_5 Depth=1
	s_or_saveexec_b64 s[2:3], s[4:5]
	v_mov_b32_e32 v7, s27
	s_xor_b64 exec, exec, s[2:3]
	s_cbranch_execz .LBB262_4
; %bb.18:                               ;   in Loop: Header=BB262_5 Depth=1
	v_mul_f32_e32 v7, v6, v6
	v_fmac_f32_e32 v7, v5, v5
	v_div_scale_f32 v8, s[4:5], v7, v7, 1.0
	v_rcp_f32_e32 v10, v8
	v_fma_f32 v13, -v8, v10, 1.0
	v_fmac_f32_e32 v10, v13, v10
	v_div_scale_f32 v13, vcc, 1.0, v7, 1.0
	v_mul_f32_e32 v14, v13, v10
	v_fma_f32 v15, -v8, v14, v13
	v_fmac_f32_e32 v14, v15, v10
	v_fma_f32 v8, -v8, v14, v13
	v_div_fmas_f32 v8, v8, v10, v14
	v_div_fixup_f32 v8, v8, v7, 1.0
	v_fma_f32 v7, 0, v6, v5
	v_fma_f32 v5, v5, 0, -v6
	v_mul_f32_e32 v7, v7, v8
	v_mul_f32_e32 v8, v5, v8
	v_lshlrev_b64 v[5:6], 3, v[1:2]
	v_mov_b32_e32 v1, s9
	v_add_co_u32_e32 v13, vcc, s8, v5
	v_addc_co_u32_e32 v14, vcc, v1, v6, vcc
	global_load_dwordx2 v[23:24], v[13:14], off
	s_waitcnt vmcnt(0)
	v_mul_f32_e64 v5, v8, -v24
	v_mul_f32_e32 v6, v8, v23
	v_fmac_f32_e32 v5, v23, v7
	v_fmac_f32_e32 v6, v24, v7
	global_store_dwordx2 v[13:14], v[5:6], off
	s_and_saveexec_b64 s[4:5], s[0:1]
	s_cbranch_execz .LBB262_3
; %bb.19:                               ;   in Loop: Header=BB262_5 Depth=1
	v_add_u32_e32 v1, v20, v17
	v_lshlrev_b64 v[13:14], 3, v[1:2]
	v_mov_b32_e32 v1, s9
	v_add_co_u32_e32 v13, vcc, s8, v13
	v_addc_co_u32_e32 v14, vcc, v1, v14, vcc
	global_load_dwordx2 v[23:24], v[13:14], off
	s_waitcnt vmcnt(0)
	v_fma_f32 v23, -v3, v5, v23
	v_fma_f32 v1, -v4, v5, v24
	v_fmac_f32_e32 v23, v4, v6
	v_fma_f32 v24, -v3, v6, v1
	global_store_dwordx2 v[13:14], v[23:24], off
	s_branch .LBB262_3
.LBB262_20:
	s_or_b64 exec, exec, s[18:19]
	s_branch .LBB262_22
.LBB262_21:
	v_mov_b32_e32 v17, 0
.LBB262_22:
	v_subrev_u32_e32 v3, s22, v17
	v_add_u32_e32 v1, v3, v0
	v_ashrrev_i32_e32 v2, 31, v1
	v_lshlrev_b64 v[1:2], 2, v[1:2]
	s_waitcnt lgkmcnt(0)
	v_mov_b32_e32 v4, s17
	v_add_co_u32_e32 v1, vcc, s16, v1
	v_addc_co_u32_e32 v2, vcc, v4, v2, vcc
	s_waitcnt vmcnt(0)
	buffer_wbinvl1_vol
	global_load_dword v1, v[1:2], off
	s_waitcnt vmcnt(0)
	v_mul_lo_u32 v1, v1, s22
	v_sub_u32_e32 v7, v3, v1
	v_cmp_lt_i32_e32 vcc, -1, v7
	s_and_b64 exec, exec, vcc
	s_cbranch_execz .LBB262_29
; %bb.23:
	s_add_i32 s0, s23, s22
	v_add_u32_e32 v8, s0, v0
	s_lshl_b32 s4, s22, 1
	s_mov_b64 s[0:1], 0
	v_mov_b32_e32 v9, s17
	v_mov_b32_e32 v10, s11
	;; [unrolled: 1-line block ×3, first 2 shown]
	s_branch .LBB262_25
.LBB262_24:                             ;   in Loop: Header=BB262_25 Depth=1
	s_or_b64 exec, exec, s[2:3]
	v_sub_u32_e32 v7, v7, v1
	v_cmp_gt_i32_e32 vcc, 0, v7
	s_or_b64 s[0:1], vcc, s[0:1]
	s_andn2_b64 exec, exec, s[0:1]
	s_cbranch_execz .LBB262_29
.LBB262_25:                             ; =>This Inner Loop Header: Depth=1
	v_add_u32_e32 v5, v7, v0
	v_ashrrev_i32_e32 v6, 31, v5
	s_waitcnt vmcnt(0)
	v_lshlrev_b64 v[3:4], 2, v[5:6]
	v_add_co_u32_e32 v3, vcc, s16, v3
	v_addc_co_u32_e32 v4, vcc, v9, v4, vcc
	global_load_dword v1, v[3:4], off
	v_lshlrev_b64 v[3:4], 3, v[5:6]
	v_add_co_u32_e32 v3, vcc, s10, v3
	v_addc_co_u32_e32 v4, vcc, v10, v4, vcc
	global_load_dwordx2 v[3:4], v[3:4], off
	s_waitcnt vmcnt(1)
	v_cmp_ne_u32_e32 vcc, 1, v1
	s_and_saveexec_b64 s[2:3], vcc
	s_xor_b64 s[2:3], exec, s[2:3]
	s_cbranch_execz .LBB262_27
; %bb.26:                               ;   in Loop: Header=BB262_25 Depth=1
	v_add_u32_e32 v1, v8, v7
	v_lshlrev_b64 v[11:12], 3, v[1:2]
	v_mov_b32_e32 v1, s9
	v_add_co_u32_e32 v11, vcc, s8, v11
	v_addc_co_u32_e32 v12, vcc, v1, v12, vcc
	v_add_u32_e32 v1, s23, v5
	v_lshlrev_b64 v[5:6], 3, v[1:2]
	v_mov_b32_e32 v1, s9
	v_add_co_u32_e32 v5, vcc, s8, v5
	v_addc_co_u32_e32 v6, vcc, v1, v6, vcc
	global_load_dwordx2 v[13:14], v[11:12], off
	global_load_dwordx2 v[15:16], v[5:6], off
	v_subrev_u32_e32 v1, s22, v7
	v_add_u32_e32 v11, v1, v0
	v_ashrrev_i32_e32 v12, 31, v11
	v_add_u32_e32 v1, s23, v11
	v_lshlrev_b64 v[11:12], 3, v[11:12]
	v_mov_b32_e32 v19, s11
	v_lshlrev_b64 v[17:18], 3, v[1:2]
	v_add_co_u32_e32 v11, vcc, s10, v11
	v_addc_co_u32_e32 v12, vcc, v19, v12, vcc
	v_mov_b32_e32 v20, s9
	v_add_co_u32_e32 v17, vcc, s8, v17
	v_addc_co_u32_e32 v18, vcc, v20, v18, vcc
	global_load_dwordx2 v[11:12], v[11:12], off
	s_waitcnt vmcnt(1)
	v_fma_f32 v15, -v3, v13, v15
	v_fma_f32 v1, -v4, v13, v16
	v_fmac_f32_e32 v15, v4, v14
	v_fma_f32 v16, -v3, v14, v1
	global_store_dwordx2 v[5:6], v[15:16], off
	global_load_dwordx2 v[3:4], v[17:18], off
                                        ; implicit-def: $vgpr5
	s_waitcnt vmcnt(0)
	v_fma_f32 v3, -v11, v13, v3
	v_fma_f32 v1, -v12, v13, v4
	v_fmac_f32_e32 v3, v12, v14
	v_fma_f32 v4, -v11, v14, v1
	global_store_dwordx2 v[17:18], v[3:4], off
                                        ; implicit-def: $vgpr3_vgpr4
.LBB262_27:                             ;   in Loop: Header=BB262_25 Depth=1
	s_or_saveexec_b64 s[2:3], s[2:3]
	v_mov_b32_e32 v1, s4
	s_xor_b64 exec, exec, s[2:3]
	s_cbranch_execz .LBB262_24
; %bb.28:                               ;   in Loop: Header=BB262_25 Depth=1
	v_add_u32_e32 v1, v8, v7
	v_lshlrev_b64 v[11:12], 3, v[1:2]
	v_mov_b32_e32 v1, s9
	v_add_co_u32_e32 v11, vcc, s8, v11
	v_addc_co_u32_e32 v12, vcc, v1, v12, vcc
	v_add_u32_e32 v1, s23, v5
	v_lshlrev_b64 v[5:6], 3, v[1:2]
	v_mov_b32_e32 v1, s9
	v_add_co_u32_e32 v5, vcc, s8, v5
	v_addc_co_u32_e32 v6, vcc, v1, v6, vcc
	global_load_dwordx2 v[13:14], v[11:12], off
	global_load_dwordx2 v[15:16], v[5:6], off
	s_waitcnt vmcnt(0)
	v_fma_f32 v11, -v3, v13, v15
	v_fma_f32 v1, -v4, v13, v16
	v_fmac_f32_e32 v11, v4, v14
	v_fma_f32 v12, -v3, v14, v1
	v_mov_b32_e32 v1, s22
	global_store_dwordx2 v[5:6], v[11:12], off
	s_branch .LBB262_24
.LBB262_29:
	s_endpgm
	.section	.rodata,"a",@progbits
	.p2align	6, 0x0
	.amdhsa_kernel _ZN9rocsparseL19gtsv_LBM_rhs_kernelILj256ELj256ELj1E21rocsparse_complex_numIfEEEviiiPKT2_S5_S5_PS3_S5_PKi
		.amdhsa_group_segment_fixed_size 0
		.amdhsa_private_segment_fixed_size 0
		.amdhsa_kernarg_size 64
		.amdhsa_user_sgpr_count 6
		.amdhsa_user_sgpr_private_segment_buffer 1
		.amdhsa_user_sgpr_dispatch_ptr 0
		.amdhsa_user_sgpr_queue_ptr 0
		.amdhsa_user_sgpr_kernarg_segment_ptr 1
		.amdhsa_user_sgpr_dispatch_id 0
		.amdhsa_user_sgpr_flat_scratch_init 0
		.amdhsa_user_sgpr_private_segment_size 0
		.amdhsa_uses_dynamic_stack 0
		.amdhsa_system_sgpr_private_segment_wavefront_offset 0
		.amdhsa_system_sgpr_workgroup_id_x 1
		.amdhsa_system_sgpr_workgroup_id_y 1
		.amdhsa_system_sgpr_workgroup_id_z 0
		.amdhsa_system_sgpr_workgroup_info 0
		.amdhsa_system_vgpr_workitem_id 0
		.amdhsa_next_free_vgpr 32
		.amdhsa_next_free_sgpr 28
		.amdhsa_reserve_vcc 1
		.amdhsa_reserve_flat_scratch 0
		.amdhsa_float_round_mode_32 0
		.amdhsa_float_round_mode_16_64 0
		.amdhsa_float_denorm_mode_32 3
		.amdhsa_float_denorm_mode_16_64 3
		.amdhsa_dx10_clamp 1
		.amdhsa_ieee_mode 1
		.amdhsa_fp16_overflow 0
		.amdhsa_exception_fp_ieee_invalid_op 0
		.amdhsa_exception_fp_denorm_src 0
		.amdhsa_exception_fp_ieee_div_zero 0
		.amdhsa_exception_fp_ieee_overflow 0
		.amdhsa_exception_fp_ieee_underflow 0
		.amdhsa_exception_fp_ieee_inexact 0
		.amdhsa_exception_int_div_zero 0
	.end_amdhsa_kernel
	.section	.text._ZN9rocsparseL19gtsv_LBM_rhs_kernelILj256ELj256ELj1E21rocsparse_complex_numIfEEEviiiPKT2_S5_S5_PS3_S5_PKi,"axG",@progbits,_ZN9rocsparseL19gtsv_LBM_rhs_kernelILj256ELj256ELj1E21rocsparse_complex_numIfEEEviiiPKT2_S5_S5_PS3_S5_PKi,comdat
.Lfunc_end262:
	.size	_ZN9rocsparseL19gtsv_LBM_rhs_kernelILj256ELj256ELj1E21rocsparse_complex_numIfEEEviiiPKT2_S5_S5_PS3_S5_PKi, .Lfunc_end262-_ZN9rocsparseL19gtsv_LBM_rhs_kernelILj256ELj256ELj1E21rocsparse_complex_numIfEEEviiiPKT2_S5_S5_PS3_S5_PKi
                                        ; -- End function
	.set _ZN9rocsparseL19gtsv_LBM_rhs_kernelILj256ELj256ELj1E21rocsparse_complex_numIfEEEviiiPKT2_S5_S5_PS3_S5_PKi.num_vgpr, 32
	.set _ZN9rocsparseL19gtsv_LBM_rhs_kernelILj256ELj256ELj1E21rocsparse_complex_numIfEEEviiiPKT2_S5_S5_PS3_S5_PKi.num_agpr, 0
	.set _ZN9rocsparseL19gtsv_LBM_rhs_kernelILj256ELj256ELj1E21rocsparse_complex_numIfEEEviiiPKT2_S5_S5_PS3_S5_PKi.numbered_sgpr, 28
	.set _ZN9rocsparseL19gtsv_LBM_rhs_kernelILj256ELj256ELj1E21rocsparse_complex_numIfEEEviiiPKT2_S5_S5_PS3_S5_PKi.num_named_barrier, 0
	.set _ZN9rocsparseL19gtsv_LBM_rhs_kernelILj256ELj256ELj1E21rocsparse_complex_numIfEEEviiiPKT2_S5_S5_PS3_S5_PKi.private_seg_size, 0
	.set _ZN9rocsparseL19gtsv_LBM_rhs_kernelILj256ELj256ELj1E21rocsparse_complex_numIfEEEviiiPKT2_S5_S5_PS3_S5_PKi.uses_vcc, 1
	.set _ZN9rocsparseL19gtsv_LBM_rhs_kernelILj256ELj256ELj1E21rocsparse_complex_numIfEEEviiiPKT2_S5_S5_PS3_S5_PKi.uses_flat_scratch, 0
	.set _ZN9rocsparseL19gtsv_LBM_rhs_kernelILj256ELj256ELj1E21rocsparse_complex_numIfEEEviiiPKT2_S5_S5_PS3_S5_PKi.has_dyn_sized_stack, 0
	.set _ZN9rocsparseL19gtsv_LBM_rhs_kernelILj256ELj256ELj1E21rocsparse_complex_numIfEEEviiiPKT2_S5_S5_PS3_S5_PKi.has_recursion, 0
	.set _ZN9rocsparseL19gtsv_LBM_rhs_kernelILj256ELj256ELj1E21rocsparse_complex_numIfEEEviiiPKT2_S5_S5_PS3_S5_PKi.has_indirect_call, 0
	.section	.AMDGPU.csdata,"",@progbits
; Kernel info:
; codeLenInByte = 2084
; TotalNumSgprs: 32
; NumVgprs: 32
; ScratchSize: 0
; MemoryBound: 0
; FloatMode: 240
; IeeeMode: 1
; LDSByteSize: 0 bytes/workgroup (compile time only)
; SGPRBlocks: 3
; VGPRBlocks: 7
; NumSGPRsForWavesPerEU: 32
; NumVGPRsForWavesPerEU: 32
; Occupancy: 8
; WaveLimiterHint : 0
; COMPUTE_PGM_RSRC2:SCRATCH_EN: 0
; COMPUTE_PGM_RSRC2:USER_SGPR: 6
; COMPUTE_PGM_RSRC2:TRAP_HANDLER: 0
; COMPUTE_PGM_RSRC2:TGID_X_EN: 1
; COMPUTE_PGM_RSRC2:TGID_Y_EN: 1
; COMPUTE_PGM_RSRC2:TGID_Z_EN: 0
; COMPUTE_PGM_RSRC2:TIDIG_COMP_CNT: 0
	.section	.text._ZN9rocsparseL29gtsv_spike_block_level_kernelILj256ELj256E21rocsparse_complex_numIfEEEviiiPT1_PKS3_S6_S4_S4_S4_S4_S4_,"axG",@progbits,_ZN9rocsparseL29gtsv_spike_block_level_kernelILj256ELj256E21rocsparse_complex_numIfEEEviiiPT1_PKS3_S6_S4_S4_S4_S4_S4_,comdat
	.globl	_ZN9rocsparseL29gtsv_spike_block_level_kernelILj256ELj256E21rocsparse_complex_numIfEEEviiiPT1_PKS3_S6_S4_S4_S4_S4_S4_ ; -- Begin function _ZN9rocsparseL29gtsv_spike_block_level_kernelILj256ELj256E21rocsparse_complex_numIfEEEviiiPT1_PKS3_S6_S4_S4_S4_S4_S4_
	.p2align	8
	.type	_ZN9rocsparseL29gtsv_spike_block_level_kernelILj256ELj256E21rocsparse_complex_numIfEEEviiiPT1_PKS3_S6_S4_S4_S4_S4_S4_,@function
_ZN9rocsparseL29gtsv_spike_block_level_kernelILj256ELj256E21rocsparse_complex_numIfEEEviiiPT1_PKS3_S6_S4_S4_S4_S4_S4_: ; @_ZN9rocsparseL29gtsv_spike_block_level_kernelILj256ELj256E21rocsparse_complex_numIfEEEviiiPT1_PKS3_S6_S4_S4_S4_S4_S4_
; %bb.0:
	s_load_dword s12, s[4:5], 0x0
	s_load_dwordx2 s[8:9], s[4:5], 0x18
	v_lshl_or_b32 v1, s6, 8, v0
	v_mov_b32_e32 v3, 0
	v_mov_b32_e32 v4, 0
	s_waitcnt lgkmcnt(0)
	s_lshr_b32 s21, s12, 8
	v_cmp_gt_i32_e64 s[0:1], s21, v1
	v_mov_b32_e32 v5, 0
	s_and_saveexec_b64 s[2:3], s[0:1]
	s_cbranch_execz .LBB263_2
; %bb.1:
	v_ashrrev_i32_e32 v2, 31, v1
	v_lshlrev_b64 v[4:5], 3, v[1:2]
	v_mov_b32_e32 v2, s9
	v_add_co_u32_e32 v4, vcc, s8, v4
	v_addc_co_u32_e32 v5, vcc, v2, v5, vcc
	global_load_dwordx2 v[4:5], v[4:5], off
.LBB263_2:
	s_or_b64 exec, exec, s[2:3]
	s_load_dwordx2 s[2:3], s[4:5], 0x20
	v_lshlrev_b32_e32 v8, 3, v0
	v_or_b32_e32 v9, 0x1000, v8
	s_waitcnt vmcnt(0)
	ds_write_b64 v8, v[4:5] offset:4096
	s_mul_i32 s20, s21, 0xff
	v_mov_b32_e32 v4, 0
	s_and_saveexec_b64 s[10:11], s[0:1]
	s_cbranch_execz .LBB263_4
; %bb.3:
	s_mul_i32 s13, s21, 0xff
	v_add_u32_e32 v2, s13, v1
	v_mov_b32_e32 v3, 0
	v_lshlrev_b64 v[2:3], 3, v[2:3]
	v_mov_b32_e32 v4, s9
	v_add_co_u32_e32 v2, vcc, s8, v2
	v_addc_co_u32_e32 v3, vcc, v4, v3, vcc
	global_load_dwordx2 v[3:4], v[2:3], off
.LBB263_4:
	s_or_b64 exec, exec, s[10:11]
	s_waitcnt vmcnt(0)
	ds_write_b64 v9, v[3:4] offset:2048
	v_mov_b32_e32 v3, 0
	v_mov_b32_e32 v4, 0
	v_mov_b32_e32 v5, 0
	s_and_saveexec_b64 s[8:9], s[0:1]
	s_cbranch_execz .LBB263_6
; %bb.5:
	v_ashrrev_i32_e32 v2, 31, v1
	v_lshlrev_b64 v[4:5], 3, v[1:2]
	s_waitcnt lgkmcnt(0)
	v_mov_b32_e32 v2, s3
	v_add_co_u32_e32 v4, vcc, s2, v4
	v_addc_co_u32_e32 v5, vcc, v2, v5, vcc
	global_load_dwordx2 v[4:5], v[4:5], off
.LBB263_6:
	s_or_b64 exec, exec, s[8:9]
	s_load_dwordx2 s[16:17], s[4:5], 0x10
	s_waitcnt vmcnt(0)
	ds_write_b64 v8, v[4:5]
	v_mov_b32_e32 v4, 0
	s_and_saveexec_b64 s[8:9], s[0:1]
	s_cbranch_execz .LBB263_8
; %bb.7:
	s_mul_i32 s10, s21, 0xff
	v_add_u32_e32 v2, s10, v1
	v_mov_b32_e32 v3, 0
	v_lshlrev_b64 v[2:3], 3, v[2:3]
	s_waitcnt lgkmcnt(0)
	v_mov_b32_e32 v4, s3
	v_add_co_u32_e32 v2, vcc, s2, v2
	v_addc_co_u32_e32 v3, vcc, v4, v3, vcc
	global_load_dwordx2 v[3:4], v[2:3], off
.LBB263_8:
	s_or_b64 exec, exec, s[8:9]
	s_mul_i32 s22, s12, s7
	s_waitcnt vmcnt(0)
	ds_write_b64 v8, v[3:4] offset:2048
	v_mov_b32_e32 v5, 0
	v_add_u32_e32 v3, s22, v1
	v_mov_b32_e32 v6, 0
	v_mov_b32_e32 v7, 0
	s_waitcnt lgkmcnt(0)
	s_and_saveexec_b64 s[2:3], s[0:1]
	s_cbranch_execz .LBB263_10
; %bb.9:
	v_ashrrev_i32_e32 v4, 31, v3
	v_lshlrev_b64 v[6:7], 3, v[3:4]
	v_mov_b32_e32 v2, s17
	v_add_co_u32_e32 v6, vcc, s16, v6
	v_addc_co_u32_e32 v7, vcc, v2, v7, vcc
	global_load_dwordx2 v[6:7], v[6:7], off
.LBB263_10:
	s_or_b64 exec, exec, s[2:3]
	s_load_dwordx2 s[2:3], s[4:5], 0x48
	s_load_dwordx8 s[8:15], s[4:5], 0x28
	v_or_b32_e32 v10, 0x2000, v8
	s_waitcnt vmcnt(0)
	ds_write_b64 v8, v[6:7] offset:8192
	v_mov_b32_e32 v6, 0
	s_and_saveexec_b64 s[18:19], s[0:1]
	s_cbranch_execz .LBB263_12
; %bb.11:
	s_mul_i32 s23, s21, 0xff
	s_add_i32 s23, s23, s22
	v_add_u32_e32 v4, s23, v1
	v_mov_b32_e32 v5, 0
	v_lshlrev_b64 v[4:5], 3, v[4:5]
	v_mov_b32_e32 v2, s17
	v_add_co_u32_e32 v4, vcc, s16, v4
	v_addc_co_u32_e32 v5, vcc, v2, v5, vcc
	global_load_dwordx2 v[5:6], v[4:5], off
.LBB263_12:
	s_or_b64 exec, exec, s[18:19]
	s_mov_b32 s22, 2
	s_waitcnt vmcnt(0)
	ds_write_b64 v10, v[5:6] offset:2048
	s_waitcnt lgkmcnt(0)
	s_barrier
	s_branch .LBB263_14
.LBB263_13:                             ;   in Loop: Header=BB263_14 Depth=1
	s_or_b64 exec, exec, s[18:19]
	s_lshl_b32 s18, s22, 1
	s_cmpk_lt_u32 s22, 0x81
	s_mov_b32 s22, s18
	s_waitcnt lgkmcnt(0)
	s_barrier
	s_cbranch_scc0 .LBB263_16
.LBB263_14:                             ; =>This Inner Loop Header: Depth=1
	s_ff1_i32_b32 s18, s22
	s_lshr_b32 s18, 0x100, s18
	v_cmp_gt_u32_e32 vcc, s18, v0
	s_and_saveexec_b64 s[18:19], vcc
	s_cbranch_execz .LBB263_13
; %bb.15:                               ;   in Loop: Header=BB263_14 Depth=1
	v_mul_lo_u32 v2, s22, v0
	s_lshr_b32 s23, s22, 1
	v_add_u32_e32 v15, s23, v2
	v_lshlrev_b32_e32 v23, 3, v15
	v_add_u32_e32 v24, 0x1000, v23
	ds_read2_b64 v[4:7], v23 offset1:255
	ds_read2_b64 v[11:14], v24 offset1:255
	v_add_u32_e32 v30, 0x2000, v23
	v_add_lshl_u32 v29, v15, s23, 3
	v_lshlrev_b32_e32 v2, 3, v2
	ds_read_b64 v[19:20], v2
	s_waitcnt lgkmcnt(1)
	v_mul_f32_e64 v16, v7, -v12
	v_mul_f32_e32 v21, v7, v11
	v_fmac_f32_e32 v16, v11, v6
	v_fmac_f32_e32 v21, v12, v6
	v_sub_f32_e32 v22, 1.0, v16
	v_mul_f32_e64 v25, -v21, -v21
	v_fmac_f32_e32 v25, v22, v22
	v_div_scale_f32 v26, s[24:25], v25, v25, 1.0
	v_div_scale_f32 v27, vcc, 1.0, v25, 1.0
	ds_read2_b64 v[15:18], v30 offset1:255
	v_sub_f32_e32 v21, 0, v21
	v_rcp_f32_e32 v28, v26
	v_fma_f32 v31, -v26, v28, 1.0
	v_fmac_f32_e32 v28, v31, v28
	v_mul_f32_e32 v31, v27, v28
	v_fma_f32 v32, -v26, v31, v27
	v_fmac_f32_e32 v31, v32, v28
	v_fma_f32 v26, -v26, v31, v27
	v_div_fmas_f32 v26, v26, v28, v31
	s_waitcnt lgkmcnt(0)
	v_mul_f32_e64 v27, v16, -v7
	v_mul_f32_e32 v32, v12, v17
	v_mul_f32_e32 v28, v16, v6
	v_mul_f32_e64 v31, v12, -v18
	v_fmac_f32_e32 v27, v6, v15
	v_fmac_f32_e32 v32, v18, v11
	;; [unrolled: 1-line block ×4, first 2 shown]
	v_sub_f32_e32 v27, v17, v27
	v_sub_f32_e32 v32, v16, v32
	v_fma_f32 v16, v22, 0, -v21
	v_sub_f32_e32 v28, v18, v28
	v_sub_f32_e32 v31, v15, v31
	v_fma_f32 v15, 0, v21, v22
	v_div_fixup_f32 v17, v26, v25, 1.0
	v_mul_f32_e32 v26, v16, v17
	v_mul_f32_e32 v25, v15, v17
	v_mul_f32_e64 v15, v26, -v28
	v_mul_f32_e32 v16, v26, v27
	v_mul_f32_e64 v17, v26, -v32
	v_mul_f32_e32 v18, v26, v31
	v_fmac_f32_e32 v15, v27, v25
	v_fmac_f32_e32 v16, v28, v25
	;; [unrolled: 1-line block ×4, first 2 shown]
	ds_write2_b64 v30, v[17:18], v[15:16] offset1:255
	v_mul_f32_e64 v27, v18, -v20
	v_mul_f32_e32 v28, v18, v19
	v_mul_f32_e32 v18, v5, v6
	v_fmac_f32_e32 v27, v19, v17
	v_fmac_f32_e32 v28, v20, v17
	v_mul_f32_e64 v17, v5, -v7
	v_fmac_f32_e32 v18, v7, v4
	v_fmac_f32_e32 v17, v6, v4
	v_mul_f32_e32 v6, v26, v18
	v_mul_f32_e64 v7, v18, -v25
	v_fma_f32 v6, -v25, v17, v6
	v_fma_f32 v7, -v26, v17, v7
	v_mul_f32_e64 v17, v5, -v26
	v_mul_f32_e32 v18, v25, v5
	v_mul_f32_e32 v5, v12, v13
	v_fmac_f32_e32 v17, v25, v4
	v_fmac_f32_e32 v18, v26, v4
	v_mul_f32_e64 v4, v12, -v14
	v_fmac_f32_e32 v5, v14, v11
	ds_read_b64 v[15:16], v2 offset:8192
	ds_read_b64 v[21:22], v29 offset:6136
	ds_write2_b64 v23, v[17:18], v[6:7] offset1:255
	v_fmac_f32_e32 v4, v13, v11
	v_mul_f32_e32 v6, v26, v5
	v_mul_f32_e64 v5, v5, -v25
	v_fma_f32 v11, -v25, v4, v6
	v_fma_f32 v12, -v26, v4, v5
	v_mul_f32_e64 v4, v14, -v26
	v_mul_f32_e32 v5, v25, v14
	v_fmac_f32_e32 v4, v25, v13
	v_fmac_f32_e32 v5, v26, v13
	ds_write2_b64 v24, v[11:12], v[4:5] offset1:255
	ds_read2st64_b64 v[4:7], v2 offset1:8
	s_waitcnt lgkmcnt(4)
	v_sub_f32_e32 v13, v15, v27
	v_sub_f32_e32 v14, v16, v28
	ds_write_b64 v2, v[13:14] offset:8192
	ds_read_b64 v[13:14], v23 offset:10232
	s_waitcnt lgkmcnt(2)
	v_mul_f32_e64 v15, v12, -v5
	v_mul_f32_e32 v12, v12, v4
	v_fmac_f32_e32 v15, v4, v11
	v_fmac_f32_e32 v12, v5, v11
	v_mul_f32_e32 v11, v18, v5
	v_fma_f32 v11, -v4, v17, v11
	v_mul_f32_e64 v4, v18, -v4
	v_sub_f32_e32 v6, v6, v15
	v_sub_f32_e32 v7, v7, v12
	v_fma_f32 v12, -v5, v17, v4
	ds_write2st64_b64 v2, v[11:12], v[6:7] offset1:8
	ds_read_b64 v[4:5], v23 offset:2040
	ds_read_b64 v[6:7], v29 offset:2040
	;; [unrolled: 1-line block ×5, first 2 shown]
	s_waitcnt lgkmcnt(6)
	v_mul_f32_e64 v2, v14, -v22
	v_fmac_f32_e32 v2, v21, v13
	v_mul_f32_e32 v14, v14, v21
	v_fmac_f32_e32 v14, v22, v13
	s_waitcnt lgkmcnt(1)
	v_sub_f32_e32 v13, v15, v2
	s_waitcnt lgkmcnt(0)
	v_mul_f32_e64 v2, v18, -v5
	v_sub_f32_e32 v14, v16, v14
	v_fmac_f32_e32 v2, v4, v17
	ds_write_b64 v29, v[13:14] offset:10232
	v_mul_f32_e32 v13, v18, v4
	v_sub_f32_e32 v4, v6, v2
	v_mul_f32_e32 v2, v18, v12
	v_fmac_f32_e32 v13, v5, v17
	v_fma_f32 v6, -v17, v11, v2
	v_mul_f32_e64 v2, v12, -v17
	v_sub_f32_e32 v5, v7, v13
	v_fma_f32 v7, -v18, v11, v2
	v_add_u32_e32 v2, 0x1f8, v29
	ds_write2st64_b64 v2, v[4:5], v[6:7] offset0:3 offset1:11
	s_branch .LBB263_13
.LBB263_16:
	s_and_saveexec_b64 s[18:19], s[0:1]
	s_cbranch_execnz .LBB263_19
; %bb.17:
	s_or_b64 exec, exec, s[18:19]
	v_cmp_eq_u32_e32 vcc, 0, v0
	s_and_saveexec_b64 s[0:1], vcc
	s_cbranch_execnz .LBB263_23
.LBB263_18:
	s_endpgm
.LBB263_19:
	s_cmp_eq_u32 s7, 0
	s_cbranch_scc1 .LBB263_27
; %bb.20:
	s_mulk_i32 s21, 0xff
	s_cbranch_execnz .LBB263_22
.LBB263_21:
	v_ashrrev_i32_e32 v2, 31, v1
	v_lshlrev_b64 v[11:12], 3, v[1:2]
	ds_read2st64_b64 v[4:7], v9 offset1:4
	v_mov_b32_e32 v2, s9
	v_add_co_u32_e32 v13, vcc, s8, v11
	v_addc_co_u32_e32 v14, vcc, v2, v12, vcc
	v_add_u32_e32 v1, s20, v1
	v_mov_b32_e32 v2, 0
	v_lshlrev_b64 v[1:2], 3, v[1:2]
	s_waitcnt lgkmcnt(0)
	global_store_dwordx2 v[13:14], v[4:5], off
	v_mov_b32_e32 v5, s9
	v_add_co_u32_e32 v4, vcc, s8, v1
	v_addc_co_u32_e32 v5, vcc, v5, v2, vcc
	global_store_dwordx2 v[4:5], v[6:7], off
	ds_read2st64_b64 v[4:7], v8 offset1:4
	v_mov_b32_e32 v9, s11
	v_add_co_u32_e32 v8, vcc, s10, v11
	v_addc_co_u32_e32 v9, vcc, v9, v12, vcc
	s_waitcnt lgkmcnt(0)
	global_store_dwordx2 v[8:9], v[4:5], off
	v_mov_b32_e32 v4, s11
	v_add_co_u32_e32 v1, vcc, s10, v1
	v_addc_co_u32_e32 v2, vcc, v4, v2, vcc
	s_mov_b32 s21, s20
	global_store_dwordx2 v[1:2], v[6:7], off
.LBB263_22:
	v_ashrrev_i32_e32 v4, 31, v3
	v_lshlrev_b64 v[1:2], 3, v[3:4]
	ds_read2st64_b64 v[4:7], v10 offset1:4
	v_mov_b32_e32 v8, s17
	v_add_co_u32_e32 v1, vcc, s16, v1
	v_addc_co_u32_e32 v2, vcc, v8, v2, vcc
	s_waitcnt lgkmcnt(0)
	global_store_dwordx2 v[1:2], v[4:5], off
	v_add_u32_e32 v1, s21, v3
	v_mov_b32_e32 v2, 0
	v_lshlrev_b64 v[1:2], 3, v[1:2]
	v_mov_b32_e32 v3, s17
	v_add_co_u32_e32 v1, vcc, s16, v1
	v_addc_co_u32_e32 v2, vcc, v3, v2, vcc
	global_store_dwordx2 v[1:2], v[6:7], off
	s_or_b64 exec, exec, s[18:19]
	v_cmp_eq_u32_e32 vcc, 0, v0
	s_and_saveexec_b64 s[0:1], vcc
	s_cbranch_execz .LBB263_18
.LBB263_23:
	s_cmp_eq_u32 s7, 0
	s_cbranch_scc1 .LBB263_28
; %bb.24:
	s_load_dword s8, s[4:5], 0x50
	s_cbranch_execnz .LBB263_26
.LBB263_25:
	v_mov_b32_e32 v0, 0xff8
	ds_read2_b64 v[0:3], v0 offset1:1
	s_mov_b32 s0, s7
	s_ashr_i32 s7, s6, 31
	s_waitcnt lgkmcnt(0)
	s_load_dword s8, s[4:5], 0x50
	s_lshl_b64 s[10:11], s[6:7], 3
	s_mov_b32 s7, s0
	s_add_u32 s0, s14, s10
	s_addc_u32 s1, s15, s11
	v_mov_b32_e32 v6, 0
	ds_read_b64 v[4:5], v6
	global_store_dwordx2 v6, v[2:3], s[0:1]
	ds_read_b64 v[2:3], v6 offset:8184
	s_waitcnt lgkmcnt(0)
	s_add_i32 s0, s8, s6
	s_mov_b32 s1, 0
	s_lshl_b64 s[0:1], s[0:1], 3
	s_add_u32 s4, s14, s0
	s_addc_u32 s5, s15, s1
	global_store_dwordx2 v6, v[2:3], s[4:5]
	s_add_u32 s4, s2, s10
	s_addc_u32 s5, s3, s11
	s_add_u32 s0, s2, s0
	s_addc_u32 s1, s3, s1
	global_store_dwordx2 v6, v[4:5], s[4:5]
	global_store_dwordx2 v6, v[0:1], s[0:1]
.LBB263_26:
	s_waitcnt lgkmcnt(0)
	s_mul_i32 s0, s8, s7
	s_lshl_b32 s0, s0, 1
	s_add_i32 s0, s0, s6
	s_mov_b32 s1, 0
	v_mov_b32_e32 v4, 0
	s_lshl_b64 s[2:3], s[0:1], 3
	ds_read_b64 v[0:1], v4 offset:8192
	ds_read_b64 v[2:3], v4 offset:12280
	s_add_u32 s2, s12, s2
	s_addc_u32 s3, s13, s3
	s_add_i32 s0, s0, s8
	s_lshl_b64 s[0:1], s[0:1], 3
	s_add_u32 s0, s12, s0
	s_addc_u32 s1, s13, s1
	s_waitcnt lgkmcnt(1)
	global_store_dwordx2 v4, v[0:1], s[2:3]
	s_waitcnt lgkmcnt(0)
	global_store_dwordx2 v4, v[2:3], s[0:1]
	s_endpgm
.LBB263_27:
                                        ; implicit-def: $sgpr21
	s_branch .LBB263_21
.LBB263_28:
                                        ; implicit-def: $sgpr8
	s_branch .LBB263_25
	.section	.rodata,"a",@progbits
	.p2align	6, 0x0
	.amdhsa_kernel _ZN9rocsparseL29gtsv_spike_block_level_kernelILj256ELj256E21rocsparse_complex_numIfEEEviiiPT1_PKS3_S6_S4_S4_S4_S4_S4_
		.amdhsa_group_segment_fixed_size 12288
		.amdhsa_private_segment_fixed_size 0
		.amdhsa_kernarg_size 336
		.amdhsa_user_sgpr_count 6
		.amdhsa_user_sgpr_private_segment_buffer 1
		.amdhsa_user_sgpr_dispatch_ptr 0
		.amdhsa_user_sgpr_queue_ptr 0
		.amdhsa_user_sgpr_kernarg_segment_ptr 1
		.amdhsa_user_sgpr_dispatch_id 0
		.amdhsa_user_sgpr_flat_scratch_init 0
		.amdhsa_user_sgpr_private_segment_size 0
		.amdhsa_uses_dynamic_stack 0
		.amdhsa_system_sgpr_private_segment_wavefront_offset 0
		.amdhsa_system_sgpr_workgroup_id_x 1
		.amdhsa_system_sgpr_workgroup_id_y 1
		.amdhsa_system_sgpr_workgroup_id_z 0
		.amdhsa_system_sgpr_workgroup_info 0
		.amdhsa_system_vgpr_workitem_id 0
		.amdhsa_next_free_vgpr 41
		.amdhsa_next_free_sgpr 98
		.amdhsa_reserve_vcc 1
		.amdhsa_reserve_flat_scratch 0
		.amdhsa_float_round_mode_32 0
		.amdhsa_float_round_mode_16_64 0
		.amdhsa_float_denorm_mode_32 3
		.amdhsa_float_denorm_mode_16_64 3
		.amdhsa_dx10_clamp 1
		.amdhsa_ieee_mode 1
		.amdhsa_fp16_overflow 0
		.amdhsa_exception_fp_ieee_invalid_op 0
		.amdhsa_exception_fp_denorm_src 0
		.amdhsa_exception_fp_ieee_div_zero 0
		.amdhsa_exception_fp_ieee_overflow 0
		.amdhsa_exception_fp_ieee_underflow 0
		.amdhsa_exception_fp_ieee_inexact 0
		.amdhsa_exception_int_div_zero 0
	.end_amdhsa_kernel
	.section	.text._ZN9rocsparseL29gtsv_spike_block_level_kernelILj256ELj256E21rocsparse_complex_numIfEEEviiiPT1_PKS3_S6_S4_S4_S4_S4_S4_,"axG",@progbits,_ZN9rocsparseL29gtsv_spike_block_level_kernelILj256ELj256E21rocsparse_complex_numIfEEEviiiPT1_PKS3_S6_S4_S4_S4_S4_S4_,comdat
.Lfunc_end263:
	.size	_ZN9rocsparseL29gtsv_spike_block_level_kernelILj256ELj256E21rocsparse_complex_numIfEEEviiiPT1_PKS3_S6_S4_S4_S4_S4_S4_, .Lfunc_end263-_ZN9rocsparseL29gtsv_spike_block_level_kernelILj256ELj256E21rocsparse_complex_numIfEEEviiiPT1_PKS3_S6_S4_S4_S4_S4_S4_
                                        ; -- End function
	.set _ZN9rocsparseL29gtsv_spike_block_level_kernelILj256ELj256E21rocsparse_complex_numIfEEEviiiPT1_PKS3_S6_S4_S4_S4_S4_S4_.num_vgpr, 33
	.set _ZN9rocsparseL29gtsv_spike_block_level_kernelILj256ELj256E21rocsparse_complex_numIfEEEviiiPT1_PKS3_S6_S4_S4_S4_S4_S4_.num_agpr, 0
	.set _ZN9rocsparseL29gtsv_spike_block_level_kernelILj256ELj256E21rocsparse_complex_numIfEEEviiiPT1_PKS3_S6_S4_S4_S4_S4_S4_.numbered_sgpr, 26
	.set _ZN9rocsparseL29gtsv_spike_block_level_kernelILj256ELj256E21rocsparse_complex_numIfEEEviiiPT1_PKS3_S6_S4_S4_S4_S4_S4_.num_named_barrier, 0
	.set _ZN9rocsparseL29gtsv_spike_block_level_kernelILj256ELj256E21rocsparse_complex_numIfEEEviiiPT1_PKS3_S6_S4_S4_S4_S4_S4_.private_seg_size, 0
	.set _ZN9rocsparseL29gtsv_spike_block_level_kernelILj256ELj256E21rocsparse_complex_numIfEEEviiiPT1_PKS3_S6_S4_S4_S4_S4_S4_.uses_vcc, 1
	.set _ZN9rocsparseL29gtsv_spike_block_level_kernelILj256ELj256E21rocsparse_complex_numIfEEEviiiPT1_PKS3_S6_S4_S4_S4_S4_S4_.uses_flat_scratch, 0
	.set _ZN9rocsparseL29gtsv_spike_block_level_kernelILj256ELj256E21rocsparse_complex_numIfEEEviiiPT1_PKS3_S6_S4_S4_S4_S4_S4_.has_dyn_sized_stack, 0
	.set _ZN9rocsparseL29gtsv_spike_block_level_kernelILj256ELj256E21rocsparse_complex_numIfEEEviiiPT1_PKS3_S6_S4_S4_S4_S4_S4_.has_recursion, 0
	.set _ZN9rocsparseL29gtsv_spike_block_level_kernelILj256ELj256E21rocsparse_complex_numIfEEEviiiPT1_PKS3_S6_S4_S4_S4_S4_S4_.has_indirect_call, 0
	.section	.AMDGPU.csdata,"",@progbits
; Kernel info:
; codeLenInByte = 1940
; TotalNumSgprs: 30
; NumVgprs: 33
; ScratchSize: 0
; MemoryBound: 0
; FloatMode: 240
; IeeeMode: 1
; LDSByteSize: 12288 bytes/workgroup (compile time only)
; SGPRBlocks: 12
; VGPRBlocks: 10
; NumSGPRsForWavesPerEU: 102
; NumVGPRsForWavesPerEU: 41
; Occupancy: 5
; WaveLimiterHint : 0
; COMPUTE_PGM_RSRC2:SCRATCH_EN: 0
; COMPUTE_PGM_RSRC2:USER_SGPR: 6
; COMPUTE_PGM_RSRC2:TRAP_HANDLER: 0
; COMPUTE_PGM_RSRC2:TGID_X_EN: 1
; COMPUTE_PGM_RSRC2:TGID_Y_EN: 1
; COMPUTE_PGM_RSRC2:TGID_Z_EN: 0
; COMPUTE_PGM_RSRC2:TIDIG_COMP_CNT: 0
	.section	.text._ZN9rocsparseL33gtsv_solve_spike_propagate_kernelILj256ELj256E21rocsparse_complex_numIfEEEviiiPT1_PKS3_S6_S6_,"axG",@progbits,_ZN9rocsparseL33gtsv_solve_spike_propagate_kernelILj256ELj256E21rocsparse_complex_numIfEEEviiiPT1_PKS3_S6_S6_,comdat
	.globl	_ZN9rocsparseL33gtsv_solve_spike_propagate_kernelILj256ELj256E21rocsparse_complex_numIfEEEviiiPT1_PKS3_S6_S6_ ; -- Begin function _ZN9rocsparseL33gtsv_solve_spike_propagate_kernelILj256ELj256E21rocsparse_complex_numIfEEEviiiPT1_PKS3_S6_S6_
	.p2align	8
	.type	_ZN9rocsparseL33gtsv_solve_spike_propagate_kernelILj256ELj256E21rocsparse_complex_numIfEEEviiiPT1_PKS3_S6_S6_,@function
_ZN9rocsparseL33gtsv_solve_spike_propagate_kernelILj256ELj256E21rocsparse_complex_numIfEEEviiiPT1_PKS3_S6_S6_: ; @_ZN9rocsparseL33gtsv_solve_spike_propagate_kernelILj256ELj256E21rocsparse_complex_numIfEEEviiiPT1_PKS3_S6_S6_
; %bb.0:
	s_load_dword s10, s[4:5], 0x0
	v_lshl_or_b32 v1, s6, 8, v0
	v_lshlrev_b32_e32 v6, 3, v0
	s_waitcnt lgkmcnt(0)
	s_lshr_b32 s14, s10, 8
	v_cmp_gt_i32_e32 vcc, s14, v1
	v_cmp_le_i32_e64 s[0:1], s14, v1
	s_and_saveexec_b64 s[2:3], s[0:1]
	s_xor_b64 s[2:3], exec, s[2:3]
; %bb.1:
	v_mov_b32_e32 v2, 0
	v_mov_b32_e32 v3, v2
	ds_write_b64 v6, v[2:3] offset:8208
; %bb.2:
	s_or_saveexec_b64 s[8:9], s[2:3]
	v_mov_b32_e32 v3, 0
	v_ashrrev_i32_e32 v2, 31, v1
	s_mulk_i32 s14, 0xff
	v_mov_b32_e32 v4, 0
	s_xor_b64 exec, exec, s[8:9]
	s_cbranch_execz .LBB264_4
; %bb.3:
	s_load_dwordx2 s[12:13], s[4:5], 0x18
	v_lshlrev_b64 v[3:4], 3, v[1:2]
	s_waitcnt lgkmcnt(0)
	v_mov_b32_e32 v5, s13
	v_add_co_u32_e64 v7, s[2:3], s12, v3
	v_addc_co_u32_e64 v8, s[2:3], v5, v4, s[2:3]
	v_add_u32_e32 v3, s14, v1
	v_mov_b32_e32 v4, 0
	v_lshlrev_b64 v[3:4], 3, v[3:4]
	v_add_co_u32_e64 v9, s[2:3], s12, v3
	v_addc_co_u32_e64 v10, s[2:3], v5, v4, s[2:3]
	global_load_dwordx2 v[11:12], v[7:8], off
	global_load_dwordx2 v[3:4], v[9:10], off
	s_waitcnt vmcnt(1)
	ds_write_b64 v6, v[11:12] offset:8208
.LBB264_4:
	s_or_b64 exec, exec, s[8:9]
	s_load_dwordx2 s[2:3], s[4:5], 0x10
	s_waitcnt vmcnt(0)
	ds_write_b64 v6, v[3:4] offset:10256
	s_and_saveexec_b64 s[8:9], s[0:1]
	s_xor_b64 s[0:1], exec, s[8:9]
	s_cbranch_execz .LBB264_6
; %bb.5:
	s_mov_b32 s8, 0
	s_mov_b32 s9, s8
	v_mov_b32_e32 v2, s8
	v_mov_b32_e32 v3, s9
	v_add_u32_e32 v4, 16, v6
	ds_write2st64_b64 v4, v[2:3], v[2:3] offset0:8 offset1:12
.LBB264_6:
	s_or_saveexec_b64 s[8:9], s[0:1]
	v_mov_b32_e32 v3, 0
	s_mul_i32 s10, s10, s7
	v_mov_b32_e32 v5, 0
	v_mov_b32_e32 v4, 0
	s_xor_b64 exec, exec, s[8:9]
	s_cbranch_execz .LBB264_8
; %bb.7:
	s_load_dwordx2 s[12:13], s[4:5], 0x20
	v_lshlrev_b64 v[4:5], 3, v[1:2]
	v_add_u32_e32 v7, s14, v1
	v_mov_b32_e32 v8, 0
	v_lshlrev_b64 v[9:10], 3, v[7:8]
	s_waitcnt lgkmcnt(0)
	v_mov_b32_e32 v2, s13
	v_add_co_u32_e64 v4, s[0:1], s12, v4
	v_addc_co_u32_e64 v5, s[0:1], v2, v5, s[0:1]
	v_add_co_u32_e64 v9, s[0:1], s12, v9
	v_add_u32_e32 v7, s10, v7
	v_addc_co_u32_e64 v10, s[0:1], v2, v10, s[0:1]
	global_load_dwordx2 v[11:12], v[4:5], off
	global_load_dwordx2 v[13:14], v[9:10], off
	v_lshlrev_b64 v[4:5], 3, v[7:8]
	v_mov_b32_e32 v2, s3
	v_add_co_u32_e64 v4, s[0:1], s2, v4
	v_addc_co_u32_e64 v5, s[0:1], v2, v5, s[0:1]
	global_load_dwordx2 v[4:5], v[4:5], off
	v_add_u32_e32 v2, 16, v6
	s_waitcnt vmcnt(1)
	ds_write2st64_b64 v2, v[11:12], v[13:14] offset0:8 offset1:12
.LBB264_8:
	s_or_b64 exec, exec, s[8:9]
	v_add_u32_e32 v1, s10, v1
	v_mov_b32_e32 v2, 0
	s_waitcnt vmcnt(0)
	ds_write_b64 v6, v[4:5] offset:8
	s_and_saveexec_b64 s[8:9], vcc
	s_cbranch_execz .LBB264_10
; %bb.9:
	v_ashrrev_i32_e32 v2, 31, v1
	v_lshlrev_b64 v[2:3], 3, v[1:2]
	s_waitcnt lgkmcnt(0)
	v_mov_b32_e32 v4, s3
	v_add_co_u32_e64 v2, s[0:1], s2, v2
	v_addc_co_u32_e64 v3, s[0:1], v4, v3, s[0:1]
	global_load_dwordx2 v[2:3], v[2:3], off
.LBB264_10:
	s_or_b64 exec, exec, s[8:9]
	s_mov_b32 s13, 0
	v_cmp_eq_u32_e64 s[0:1], 0, v0
	s_waitcnt vmcnt(0)
	ds_write_b64 v6, v[2:3] offset:2056
	s_waitcnt lgkmcnt(0)
	s_barrier
	s_and_saveexec_b64 s[8:9], s[0:1]
	s_cbranch_execz .LBB264_16
; %bb.11:
	s_load_dword s15, s[4:5], 0x30
	s_load_dwordx2 s[10:11], s[4:5], 0x28
	s_cmp_lt_i32 s6, 1
	s_mov_b32 s12, 0
	s_waitcnt lgkmcnt(0)
	s_mul_i32 s7, s7, s15
	s_cbranch_scc1 .LBB264_13
; %bb.12:
	s_lshl_b32 s4, s7, 1
	s_add_i32 s5, s6, s15
	s_add_i32 s4, s5, s4
	s_add_i32 s4, s4, -1
	s_mov_b32 s5, 0
	s_lshl_b64 s[4:5], s[4:5], 3
	s_add_u32 s4, s10, s4
	s_addc_u32 s5, s11, s5
	s_load_dwordx2 s[12:13], s[4:5], 0x0
.LBB264_13:
	s_add_i32 s4, s15, -1
	s_waitcnt lgkmcnt(0)
	v_mov_b32_e32 v3, s12
	v_mov_b32_e32 v4, s13
	;; [unrolled: 1-line block ×3, first 2 shown]
	s_mov_b32 s5, 0
	s_cmp_ge_u32 s6, s4
	s_mov_b32 s13, 0
	s_mov_b32 s12, 0
	ds_write_b64 v2, v[3:4]
	s_cbranch_scc1 .LBB264_15
; %bb.14:
	s_lshl_b32 s4, s7, 1
	s_add_i32 s4, s6, s4
	s_add_i32 s12, s4, 1
	s_lshl_b64 s[12:13], s[12:13], 3
	s_add_u32 s16, s10, s12
	s_addc_u32 s17, s11, s13
	s_load_dwordx2 s[12:13], s[16:17], 0x0
.LBB264_15:
	s_lshl_b32 s4, s7, 1
	s_add_i32 s4, s4, s6
	s_lshl_b64 s[6:7], s[4:5], 3
	s_add_u32 s6, s10, s6
	s_addc_u32 s7, s11, s7
	s_add_i32 s4, s4, s15
	s_lshl_b64 s[4:5], s[4:5], 3
	s_add_u32 s4, s10, s4
	s_addc_u32 s5, s11, s5
	s_load_dwordx2 s[10:11], s[4:5], 0x0
	s_load_dwordx2 s[16:17], s[6:7], 0x0
	s_waitcnt lgkmcnt(0)
	v_mov_b32_e32 v3, s12
	v_mov_b32_e32 v4, s13
	ds_write_b64 v2, v[3:4] offset:4104
	v_mov_b32_e32 v7, s10
	v_mov_b32_e32 v8, s11
	;; [unrolled: 1-line block ×4, first 2 shown]
	ds_write_b128 v2, v[7:10] offset:2048
.LBB264_16:
	s_or_b64 exec, exec, s[8:9]
	s_waitcnt lgkmcnt(0)
	s_barrier
	s_and_saveexec_b64 s[4:5], s[0:1]
	s_cbranch_execz .LBB264_18
; %bb.17:
	s_movk_i32 s0, 0x1410
	v_add_u32_e64 v7, s0, 0
	v_add_u32_e64 v2, 8, 0
	ds_read2st64_b64 v[2:5], v2 offset0:6 offset1:8
	ds_read2_b64 v[7:10], v7 offset1:255
	s_movk_i32 s0, 0x2410
	v_mov_b32_e32 v19, 0
	v_add_u32_e64 v15, s0, 0
	ds_read2st64_b64 v[11:14], v19 offset1:2
	ds_read2_b64 v[15:18], v15 offset1:255
	s_waitcnt lgkmcnt(2)
	v_mul_f32_e64 v20, v5, -v10
	v_fmac_f32_e32 v20, v9, v4
	v_mul_f32_e32 v9, v5, v9
	v_fmac_f32_e32 v9, v10, v4
	s_waitcnt lgkmcnt(1)
	v_sub_f32_e32 v10, v13, v20
	v_sub_f32_e32 v13, v14, v9
	s_waitcnt lgkmcnt(0)
	v_mul_f32_e64 v9, v12, -v18
	v_mul_f32_e32 v14, v12, v17
	v_fmac_f32_e32 v9, v17, v11
	v_fmac_f32_e32 v14, v18, v11
	v_sub_f32_e32 v9, v10, v9
	v_sub_f32_e32 v10, v13, v14
	ds_write_b64 v19, v[9:10] offset:1024
	v_mul_f32_e64 v9, v5, -v8
	v_mul_f32_e32 v5, v5, v7
	v_fmac_f32_e32 v5, v8, v4
	v_fmac_f32_e32 v9, v7, v4
	v_sub_f32_e32 v3, v3, v5
	v_mul_f32_e64 v4, v12, -v16
	v_mul_f32_e32 v5, v12, v15
	v_sub_f32_e32 v2, v2, v9
	v_fmac_f32_e32 v4, v15, v11
	v_fmac_f32_e32 v5, v16, v11
	v_sub_f32_e32 v2, v2, v4
	v_sub_f32_e32 v3, v3, v5
	ds_write_b64 v19, v[2:3] offset:3080
.LBB264_18:
	s_or_b64 exec, exec, s[4:5]
	v_cmp_gt_u32_e64 s[0:1], 2, v0
	s_waitcnt lgkmcnt(0)
	s_barrier
	s_and_saveexec_b64 s[4:5], s[0:1]
	s_cbranch_execz .LBB264_20
; %bb.19:
	v_lshlrev_b32_e32 v19, 10, v0
	v_add_u32_e32 v2, 0x1210, v19
	ds_read2_b64 v[2:5], v2 offset1:255
	v_add_u32_e32 v7, 8, v19
	ds_read2st64_b64 v[7:10], v7 offset0:5 offset1:6
	ds_read2st64_b64 v[11:14], v19 offset1:1
	v_add_u32_e32 v15, 0x2210, v19
	ds_read2_b64 v[15:18], v15 offset1:255
	s_waitcnt lgkmcnt(2)
	v_mul_f32_e64 v20, v10, -v5
	v_fmac_f32_e32 v20, v4, v9
	v_mul_f32_e32 v4, v10, v4
	v_fmac_f32_e32 v4, v5, v9
	s_waitcnt lgkmcnt(1)
	v_sub_f32_e32 v5, v13, v20
	v_sub_f32_e32 v13, v14, v4
	s_waitcnt lgkmcnt(0)
	v_mul_f32_e64 v4, v12, -v18
	v_mul_f32_e32 v14, v12, v17
	v_fmac_f32_e32 v4, v17, v11
	v_fmac_f32_e32 v14, v18, v11
	v_sub_f32_e32 v4, v5, v4
	v_sub_f32_e32 v5, v13, v14
	ds_write_b64 v19, v[4:5] offset:512
	v_mul_f32_e64 v4, v10, -v3
	v_fmac_f32_e32 v4, v2, v9
	v_mul_f32_e32 v2, v10, v2
	v_fmac_f32_e32 v2, v3, v9
	v_sub_f32_e32 v3, v7, v4
	v_sub_f32_e32 v4, v8, v2
	v_mul_f32_e64 v2, v12, -v16
	v_mul_f32_e32 v5, v12, v15
	v_fmac_f32_e32 v2, v15, v11
	v_fmac_f32_e32 v5, v16, v11
	v_sub_f32_e32 v2, v3, v2
	v_sub_f32_e32 v3, v4, v5
	ds_write_b64 v19, v[2:3] offset:2568
.LBB264_20:
	s_or_b64 exec, exec, s[4:5]
	v_cmp_gt_u32_e64 s[0:1], 4, v0
	s_waitcnt lgkmcnt(0)
	s_barrier
	s_and_saveexec_b64 s[4:5], s[0:1]
	s_cbranch_execz .LBB264_22
; %bb.21:
	v_lshlrev_b32_e32 v19, 9, v0
	v_add_u32_e32 v2, 0x1110, v19
	ds_read2_b64 v[2:5], v2 offset1:255
	v_add_u32_e32 v7, 0x800, v19
	ds_read2_b64 v[7:10], v7 offset0:33 offset1:65
	ds_read2_b64 v[11:14], v19 offset1:32
	v_add_u32_e32 v15, 0x2110, v19
	ds_read2_b64 v[15:18], v15 offset1:255
	s_waitcnt lgkmcnt(2)
	v_mul_f32_e64 v20, v10, -v5
	v_fmac_f32_e32 v20, v4, v9
	v_mul_f32_e32 v4, v10, v4
	v_fmac_f32_e32 v4, v5, v9
	s_waitcnt lgkmcnt(1)
	v_sub_f32_e32 v5, v13, v20
	v_sub_f32_e32 v13, v14, v4
	s_waitcnt lgkmcnt(0)
	v_mul_f32_e64 v4, v12, -v18
	v_mul_f32_e32 v14, v12, v17
	v_fmac_f32_e32 v4, v17, v11
	v_fmac_f32_e32 v14, v18, v11
	v_sub_f32_e32 v4, v5, v4
	v_sub_f32_e32 v5, v13, v14
	ds_write_b64 v19, v[4:5] offset:256
	v_mul_f32_e64 v4, v10, -v3
	v_fmac_f32_e32 v4, v2, v9
	v_mul_f32_e32 v2, v10, v2
	v_fmac_f32_e32 v2, v3, v9
	v_sub_f32_e32 v3, v7, v4
	v_sub_f32_e32 v4, v8, v2
	v_mul_f32_e64 v2, v12, -v16
	v_mul_f32_e32 v5, v12, v15
	v_fmac_f32_e32 v2, v15, v11
	v_fmac_f32_e32 v5, v16, v11
	v_sub_f32_e32 v2, v3, v2
	v_sub_f32_e32 v3, v4, v5
	ds_write_b64 v19, v[2:3] offset:2312
.LBB264_22:
	s_or_b64 exec, exec, s[4:5]
	v_cmp_gt_u32_e64 s[0:1], 8, v0
	s_waitcnt lgkmcnt(0)
	s_barrier
	s_and_saveexec_b64 s[4:5], s[0:1]
	s_cbranch_execz .LBB264_24
; %bb.23:
	v_lshlrev_b32_e32 v19, 8, v0
	v_add_u32_e32 v2, 0x1090, v19
	ds_read2_b64 v[2:5], v2 offset1:255
	v_add_u32_e32 v7, 0x800, v19
	ds_read2_b64 v[7:10], v7 offset0:17 offset1:33
	ds_read2_b64 v[11:14], v19 offset1:16
	v_add_u32_e32 v15, 0x2090, v19
	ds_read2_b64 v[15:18], v15 offset1:255
	s_waitcnt lgkmcnt(2)
	v_mul_f32_e64 v20, v10, -v5
	v_fmac_f32_e32 v20, v4, v9
	v_mul_f32_e32 v4, v10, v4
	v_fmac_f32_e32 v4, v5, v9
	s_waitcnt lgkmcnt(1)
	v_sub_f32_e32 v5, v13, v20
	v_sub_f32_e32 v13, v14, v4
	s_waitcnt lgkmcnt(0)
	v_mul_f32_e64 v4, v12, -v18
	v_mul_f32_e32 v14, v12, v17
	v_fmac_f32_e32 v4, v17, v11
	v_fmac_f32_e32 v14, v18, v11
	v_sub_f32_e32 v4, v5, v4
	v_sub_f32_e32 v5, v13, v14
	ds_write_b64 v19, v[4:5] offset:128
	v_mul_f32_e64 v4, v10, -v3
	v_fmac_f32_e32 v4, v2, v9
	v_mul_f32_e32 v2, v10, v2
	v_fmac_f32_e32 v2, v3, v9
	v_sub_f32_e32 v3, v7, v4
	v_sub_f32_e32 v4, v8, v2
	v_mul_f32_e64 v2, v12, -v16
	v_mul_f32_e32 v5, v12, v15
	v_fmac_f32_e32 v2, v15, v11
	v_fmac_f32_e32 v5, v16, v11
	v_sub_f32_e32 v2, v3, v2
	v_sub_f32_e32 v3, v4, v5
	ds_write_b64 v19, v[2:3] offset:2184
.LBB264_24:
	;; [unrolled: 45-line block ×5, first 2 shown]
	s_or_b64 exec, exec, s[4:5]
	s_movk_i32 s0, 0x80
	v_cmp_gt_u32_e64 s[0:1], s0, v0
	s_waitcnt lgkmcnt(0)
	s_barrier
	s_and_saveexec_b64 s[4:5], s[0:1]
	s_cbranch_execz .LBB264_32
; %bb.31:
	v_lshlrev_b32_e32 v0, 4, v0
	v_add_u32_e32 v2, 0x1018, v0
	ds_read2_b64 v[2:5], v2 offset1:255
	v_add_u32_e32 v7, 0x800, v0
	ds_read2_b64 v[7:10], v7 offset0:2 offset1:3
	ds_read2_b64 v[11:14], v0 offset1:1
	v_add_u32_e32 v15, 0x2018, v0
	ds_read2_b64 v[15:18], v15 offset1:255
	s_waitcnt lgkmcnt(2)
	v_mul_f32_e64 v19, v10, -v5
	v_fmac_f32_e32 v19, v4, v9
	v_mul_f32_e32 v4, v10, v4
	v_fmac_f32_e32 v4, v5, v9
	s_waitcnt lgkmcnt(1)
	v_sub_f32_e32 v5, v13, v19
	v_sub_f32_e32 v13, v14, v4
	s_waitcnt lgkmcnt(0)
	v_mul_f32_e64 v4, v12, -v18
	v_mul_f32_e32 v14, v12, v17
	v_fmac_f32_e32 v4, v17, v11
	v_fmac_f32_e32 v14, v18, v11
	v_sub_f32_e32 v4, v5, v4
	v_sub_f32_e32 v5, v13, v14
	ds_write_b64 v0, v[4:5] offset:8
	v_mul_f32_e64 v4, v10, -v3
	v_fmac_f32_e32 v4, v2, v9
	v_mul_f32_e32 v2, v10, v2
	v_fmac_f32_e32 v2, v3, v9
	v_sub_f32_e32 v3, v7, v4
	v_sub_f32_e32 v4, v8, v2
	v_mul_f32_e64 v2, v12, -v16
	v_mul_f32_e32 v5, v12, v15
	v_fmac_f32_e32 v2, v15, v11
	v_fmac_f32_e32 v5, v16, v11
	v_sub_f32_e32 v2, v3, v2
	v_sub_f32_e32 v3, v4, v5
	ds_write_b64 v0, v[2:3] offset:2064
.LBB264_32:
	s_or_b64 exec, exec, s[4:5]
	s_waitcnt lgkmcnt(0)
	s_barrier
	s_and_saveexec_b64 s[0:1], vcc
	s_cbranch_execz .LBB264_34
; %bb.33:
	v_ashrrev_i32_e32 v2, 31, v1
	v_lshlrev_b64 v[7:8], 3, v[1:2]
	v_add_u32_e32 v2, 8, v6
	ds_read2st64_b64 v[2:5], v2 offset1:4
	v_mov_b32_e32 v0, s3
	v_add_co_u32_e32 v6, vcc, s2, v7
	v_addc_co_u32_e32 v7, vcc, v0, v8, vcc
	v_add_u32_e32 v0, s14, v1
	v_mov_b32_e32 v1, 0
	v_lshlrev_b64 v[0:1], 3, v[0:1]
	s_waitcnt lgkmcnt(0)
	global_store_dwordx2 v[6:7], v[4:5], off
	v_mov_b32_e32 v4, s3
	v_add_co_u32_e32 v0, vcc, s2, v0
	v_addc_co_u32_e32 v1, vcc, v4, v1, vcc
	global_store_dwordx2 v[0:1], v[2:3], off
.LBB264_34:
	s_endpgm
	.section	.rodata,"a",@progbits
	.p2align	6, 0x0
	.amdhsa_kernel _ZN9rocsparseL33gtsv_solve_spike_propagate_kernelILj256ELj256E21rocsparse_complex_numIfEEEviiiPT1_PKS3_S6_S6_
		.amdhsa_group_segment_fixed_size 12304
		.amdhsa_private_segment_fixed_size 0
		.amdhsa_kernarg_size 304
		.amdhsa_user_sgpr_count 6
		.amdhsa_user_sgpr_private_segment_buffer 1
		.amdhsa_user_sgpr_dispatch_ptr 0
		.amdhsa_user_sgpr_queue_ptr 0
		.amdhsa_user_sgpr_kernarg_segment_ptr 1
		.amdhsa_user_sgpr_dispatch_id 0
		.amdhsa_user_sgpr_flat_scratch_init 0
		.amdhsa_user_sgpr_private_segment_size 0
		.amdhsa_uses_dynamic_stack 0
		.amdhsa_system_sgpr_private_segment_wavefront_offset 0
		.amdhsa_system_sgpr_workgroup_id_x 1
		.amdhsa_system_sgpr_workgroup_id_y 1
		.amdhsa_system_sgpr_workgroup_id_z 0
		.amdhsa_system_sgpr_workgroup_info 0
		.amdhsa_system_vgpr_workitem_id 0
		.amdhsa_next_free_vgpr 41
		.amdhsa_next_free_sgpr 98
		.amdhsa_reserve_vcc 1
		.amdhsa_reserve_flat_scratch 0
		.amdhsa_float_round_mode_32 0
		.amdhsa_float_round_mode_16_64 0
		.amdhsa_float_denorm_mode_32 3
		.amdhsa_float_denorm_mode_16_64 3
		.amdhsa_dx10_clamp 1
		.amdhsa_ieee_mode 1
		.amdhsa_fp16_overflow 0
		.amdhsa_exception_fp_ieee_invalid_op 0
		.amdhsa_exception_fp_denorm_src 0
		.amdhsa_exception_fp_ieee_div_zero 0
		.amdhsa_exception_fp_ieee_overflow 0
		.amdhsa_exception_fp_ieee_underflow 0
		.amdhsa_exception_fp_ieee_inexact 0
		.amdhsa_exception_int_div_zero 0
	.end_amdhsa_kernel
	.section	.text._ZN9rocsparseL33gtsv_solve_spike_propagate_kernelILj256ELj256E21rocsparse_complex_numIfEEEviiiPT1_PKS3_S6_S6_,"axG",@progbits,_ZN9rocsparseL33gtsv_solve_spike_propagate_kernelILj256ELj256E21rocsparse_complex_numIfEEEviiiPT1_PKS3_S6_S6_,comdat
.Lfunc_end264:
	.size	_ZN9rocsparseL33gtsv_solve_spike_propagate_kernelILj256ELj256E21rocsparse_complex_numIfEEEviiiPT1_PKS3_S6_S6_, .Lfunc_end264-_ZN9rocsparseL33gtsv_solve_spike_propagate_kernelILj256ELj256E21rocsparse_complex_numIfEEEviiiPT1_PKS3_S6_S6_
                                        ; -- End function
	.set _ZN9rocsparseL33gtsv_solve_spike_propagate_kernelILj256ELj256E21rocsparse_complex_numIfEEEviiiPT1_PKS3_S6_S6_.num_vgpr, 21
	.set _ZN9rocsparseL33gtsv_solve_spike_propagate_kernelILj256ELj256E21rocsparse_complex_numIfEEEviiiPT1_PKS3_S6_S6_.num_agpr, 0
	.set _ZN9rocsparseL33gtsv_solve_spike_propagate_kernelILj256ELj256E21rocsparse_complex_numIfEEEviiiPT1_PKS3_S6_S6_.numbered_sgpr, 18
	.set _ZN9rocsparseL33gtsv_solve_spike_propagate_kernelILj256ELj256E21rocsparse_complex_numIfEEEviiiPT1_PKS3_S6_S6_.num_named_barrier, 0
	.set _ZN9rocsparseL33gtsv_solve_spike_propagate_kernelILj256ELj256E21rocsparse_complex_numIfEEEviiiPT1_PKS3_S6_S6_.private_seg_size, 0
	.set _ZN9rocsparseL33gtsv_solve_spike_propagate_kernelILj256ELj256E21rocsparse_complex_numIfEEEviiiPT1_PKS3_S6_S6_.uses_vcc, 1
	.set _ZN9rocsparseL33gtsv_solve_spike_propagate_kernelILj256ELj256E21rocsparse_complex_numIfEEEviiiPT1_PKS3_S6_S6_.uses_flat_scratch, 0
	.set _ZN9rocsparseL33gtsv_solve_spike_propagate_kernelILj256ELj256E21rocsparse_complex_numIfEEEviiiPT1_PKS3_S6_S6_.has_dyn_sized_stack, 0
	.set _ZN9rocsparseL33gtsv_solve_spike_propagate_kernelILj256ELj256E21rocsparse_complex_numIfEEEviiiPT1_PKS3_S6_S6_.has_recursion, 0
	.set _ZN9rocsparseL33gtsv_solve_spike_propagate_kernelILj256ELj256E21rocsparse_complex_numIfEEEviiiPT1_PKS3_S6_S6_.has_indirect_call, 0
	.section	.AMDGPU.csdata,"",@progbits
; Kernel info:
; codeLenInByte = 2732
; TotalNumSgprs: 22
; NumVgprs: 21
; ScratchSize: 0
; MemoryBound: 0
; FloatMode: 240
; IeeeMode: 1
; LDSByteSize: 12304 bytes/workgroup (compile time only)
; SGPRBlocks: 12
; VGPRBlocks: 10
; NumSGPRsForWavesPerEU: 102
; NumVGPRsForWavesPerEU: 41
; Occupancy: 5
; WaveLimiterHint : 0
; COMPUTE_PGM_RSRC2:SCRATCH_EN: 0
; COMPUTE_PGM_RSRC2:USER_SGPR: 6
; COMPUTE_PGM_RSRC2:TRAP_HANDLER: 0
; COMPUTE_PGM_RSRC2:TGID_X_EN: 1
; COMPUTE_PGM_RSRC2:TGID_Y_EN: 1
; COMPUTE_PGM_RSRC2:TGID_Z_EN: 0
; COMPUTE_PGM_RSRC2:TIDIG_COMP_CNT: 0
	.section	.text._ZN9rocsparseL39gtsv_spike_backward_substitution_kernelILj256ELj256E21rocsparse_complex_numIfEEEviiiPT1_PKS3_S6_,"axG",@progbits,_ZN9rocsparseL39gtsv_spike_backward_substitution_kernelILj256ELj256E21rocsparse_complex_numIfEEEviiiPT1_PKS3_S6_,comdat
	.globl	_ZN9rocsparseL39gtsv_spike_backward_substitution_kernelILj256ELj256E21rocsparse_complex_numIfEEEviiiPT1_PKS3_S6_ ; -- Begin function _ZN9rocsparseL39gtsv_spike_backward_substitution_kernelILj256ELj256E21rocsparse_complex_numIfEEEviiiPT1_PKS3_S6_
	.p2align	8
	.type	_ZN9rocsparseL39gtsv_spike_backward_substitution_kernelILj256ELj256E21rocsparse_complex_numIfEEEviiiPT1_PKS3_S6_,@function
_ZN9rocsparseL39gtsv_spike_backward_substitution_kernelILj256ELj256E21rocsparse_complex_numIfEEEviiiPT1_PKS3_S6_: ; @_ZN9rocsparseL39gtsv_spike_backward_substitution_kernelILj256ELj256E21rocsparse_complex_numIfEEEviiiPT1_PKS3_S6_
; %bb.0:
	s_load_dword s12, s[4:5], 0x0
	s_lshl_b32 s6, s6, 8
	v_or_b32_e32 v5, s6, v0
	s_waitcnt lgkmcnt(0)
	s_lshr_b32 s10, s12, 8
	v_cmp_gt_i32_e32 vcc, s10, v5
	s_and_saveexec_b64 s[0:1], vcc
	s_cbranch_execz .LBB265_7
; %bb.1:
	s_load_dwordx2 s[8:9], s[4:5], 0x10
	v_cmp_lt_i32_e32 vcc, 0, v5
	v_mov_b32_e32 v1, 0
	s_mul_i32 s11, s12, s7
	v_mov_b32_e32 v2, 0
	s_and_saveexec_b64 s[0:1], vcc
	s_cbranch_execz .LBB265_3
; %bb.2:
	s_mul_i32 s2, s10, 0xff
	s_mul_i32 s3, s12, s7
	s_add_i32 s2, s2, s3
	v_add3_u32 v1, v5, s2, -1
	v_mov_b32_e32 v2, 0
	v_lshlrev_b64 v[1:2], 3, v[1:2]
	s_waitcnt lgkmcnt(0)
	v_mov_b32_e32 v3, s9
	v_add_co_u32_e32 v1, vcc, s8, v1
	v_addc_co_u32_e32 v2, vcc, v3, v2, vcc
	global_load_dwordx2 v[1:2], v[1:2], off
.LBB265_3:
	s_or_b64 exec, exec, s[0:1]
	s_load_dwordx4 s[0:3], s[4:5], 0x18
	v_add_u32_e32 v3, 0x100, v5
	v_cmp_le_u32_e32 vcc, s12, v3
	s_and_saveexec_b64 s[4:5], vcc
	s_xor_b64 s[4:5], exec, s[4:5]
	s_or_saveexec_b64 s[4:5], s[4:5]
	v_mov_b32_e32 v3, 0
	v_mov_b32_e32 v9, s11
	;; [unrolled: 1-line block ×3, first 2 shown]
	s_xor_b64 exec, exec, s[4:5]
	s_cbranch_execz .LBB265_5
; %bb.4:
	s_ashr_i32 s7, s11, 31
	v_ashrrev_i32_e32 v4, 31, v5
	v_mov_b32_e32 v6, s7
	v_add_co_u32_e32 v3, vcc, s11, v5
	v_addc_co_u32_e32 v4, vcc, v4, v6, vcc
	v_lshlrev_b64 v[3:4], 3, v[3:4]
	s_waitcnt lgkmcnt(0)
	v_mov_b32_e32 v6, s9
	v_add_co_u32_e32 v3, vcc, s8, v3
	v_addc_co_u32_e32 v4, vcc, v6, v4, vcc
	global_load_dwordx2 v[3:4], v[3:4], off offset:8
	v_mov_b32_e32 v9, s11
.LBB265_5:
	s_or_b64 exec, exec, s[4:5]
	s_lshl_b32 s4, s10, 1
	s_add_i32 s6, s6, s10
	v_add_u32_e32 v5, s4, v5
	v_add_u32_e32 v7, s6, v0
	s_movk_i32 s5, 0xfe
	s_waitcnt lgkmcnt(0)
	v_mov_b32_e32 v0, s9
	v_mov_b32_e32 v10, s1
	;; [unrolled: 1-line block ×3, first 2 shown]
.LBB265_6:                              ; =>This Inner Loop Header: Depth=1
	v_ashrrev_i32_e32 v8, 31, v7
	v_lshlrev_b64 v[14:15], 3, v[7:8]
	v_add_u32_e32 v12, v9, v7
	v_add_co_u32_e32 v16, vcc, s0, v14
	v_ashrrev_i32_e32 v13, 31, v12
	v_addc_co_u32_e32 v17, vcc, v10, v15, vcc
	v_lshlrev_b64 v[12:13], 3, v[12:13]
	v_add_co_u32_e32 v14, vcc, s2, v14
	v_addc_co_u32_e32 v15, vcc, v11, v15, vcc
	v_add_co_u32_e32 v12, vcc, s8, v12
	global_load_dwordx2 v[18:19], v[16:17], off
	global_load_dwordx2 v[20:21], v[14:15], off
	v_addc_co_u32_e32 v13, vcc, v0, v13, vcc
	global_load_dwordx2 v[14:15], v[12:13], off
	s_add_i32 s5, s5, -2
	v_add_u32_e32 v7, s4, v7
	s_cmp_lg_u32 s5, 0
	s_waitcnt vmcnt(2)
	v_mul_f32_e64 v6, v2, -v19
	v_mul_f32_e32 v8, v2, v18
	v_fmac_f32_e32 v6, v18, v1
	s_waitcnt vmcnt(1)
	v_mul_f32_e64 v16, v4, -v21
	v_fmac_f32_e32 v8, v19, v1
	v_mul_f32_e32 v17, v4, v20
	v_fmac_f32_e32 v16, v20, v3
	s_waitcnt vmcnt(0)
	v_sub_f32_e32 v18, v14, v6
	v_ashrrev_i32_e32 v6, 31, v5
	v_fmac_f32_e32 v17, v21, v3
	v_sub_f32_e32 v8, v15, v8
	v_sub_f32_e32 v16, v18, v16
	v_lshlrev_b64 v[18:19], 3, v[5:6]
	v_sub_f32_e32 v17, v8, v17
	v_add_u32_e32 v14, v9, v5
	global_store_dwordx2 v[12:13], v[16:17], off
	v_add_co_u32_e32 v12, vcc, s0, v18
	v_ashrrev_i32_e32 v15, 31, v14
	v_addc_co_u32_e32 v13, vcc, v10, v19, vcc
	v_lshlrev_b64 v[14:15], 3, v[14:15]
	v_add_co_u32_e32 v16, vcc, s2, v18
	v_addc_co_u32_e32 v17, vcc, v11, v19, vcc
	global_load_dwordx2 v[18:19], v[12:13], off
	global_load_dwordx2 v[20:21], v[16:17], off
	v_add_co_u32_e32 v12, vcc, s8, v14
	v_addc_co_u32_e32 v13, vcc, v0, v15, vcc
	global_load_dwordx2 v[14:15], v[12:13], off
	v_add_u32_e32 v5, s4, v5
	s_waitcnt vmcnt(2)
	v_mul_f32_e64 v6, v2, -v19
	v_mul_f32_e32 v8, v2, v18
	v_fmac_f32_e32 v6, v18, v1
	v_fmac_f32_e32 v8, v19, v1
	s_waitcnt vmcnt(1)
	v_mul_f32_e64 v16, v4, -v21
	v_mul_f32_e32 v17, v4, v20
	v_fmac_f32_e32 v16, v20, v3
	v_fmac_f32_e32 v17, v21, v3
	s_waitcnt vmcnt(0)
	v_sub_f32_e32 v6, v14, v6
	v_sub_f32_e32 v8, v15, v8
	;; [unrolled: 1-line block ×4, first 2 shown]
	global_store_dwordx2 v[12:13], v[14:15], off
	s_cbranch_scc1 .LBB265_6
.LBB265_7:
	s_endpgm
	.section	.rodata,"a",@progbits
	.p2align	6, 0x0
	.amdhsa_kernel _ZN9rocsparseL39gtsv_spike_backward_substitution_kernelILj256ELj256E21rocsparse_complex_numIfEEEviiiPT1_PKS3_S6_
		.amdhsa_group_segment_fixed_size 0
		.amdhsa_private_segment_fixed_size 0
		.amdhsa_kernarg_size 40
		.amdhsa_user_sgpr_count 6
		.amdhsa_user_sgpr_private_segment_buffer 1
		.amdhsa_user_sgpr_dispatch_ptr 0
		.amdhsa_user_sgpr_queue_ptr 0
		.amdhsa_user_sgpr_kernarg_segment_ptr 1
		.amdhsa_user_sgpr_dispatch_id 0
		.amdhsa_user_sgpr_flat_scratch_init 0
		.amdhsa_user_sgpr_private_segment_size 0
		.amdhsa_uses_dynamic_stack 0
		.amdhsa_system_sgpr_private_segment_wavefront_offset 0
		.amdhsa_system_sgpr_workgroup_id_x 1
		.amdhsa_system_sgpr_workgroup_id_y 1
		.amdhsa_system_sgpr_workgroup_id_z 0
		.amdhsa_system_sgpr_workgroup_info 0
		.amdhsa_system_vgpr_workitem_id 0
		.amdhsa_next_free_vgpr 22
		.amdhsa_next_free_sgpr 13
		.amdhsa_reserve_vcc 1
		.amdhsa_reserve_flat_scratch 0
		.amdhsa_float_round_mode_32 0
		.amdhsa_float_round_mode_16_64 0
		.amdhsa_float_denorm_mode_32 3
		.amdhsa_float_denorm_mode_16_64 3
		.amdhsa_dx10_clamp 1
		.amdhsa_ieee_mode 1
		.amdhsa_fp16_overflow 0
		.amdhsa_exception_fp_ieee_invalid_op 0
		.amdhsa_exception_fp_denorm_src 0
		.amdhsa_exception_fp_ieee_div_zero 0
		.amdhsa_exception_fp_ieee_overflow 0
		.amdhsa_exception_fp_ieee_underflow 0
		.amdhsa_exception_fp_ieee_inexact 0
		.amdhsa_exception_int_div_zero 0
	.end_amdhsa_kernel
	.section	.text._ZN9rocsparseL39gtsv_spike_backward_substitution_kernelILj256ELj256E21rocsparse_complex_numIfEEEviiiPT1_PKS3_S6_,"axG",@progbits,_ZN9rocsparseL39gtsv_spike_backward_substitution_kernelILj256ELj256E21rocsparse_complex_numIfEEEviiiPT1_PKS3_S6_,comdat
.Lfunc_end265:
	.size	_ZN9rocsparseL39gtsv_spike_backward_substitution_kernelILj256ELj256E21rocsparse_complex_numIfEEEviiiPT1_PKS3_S6_, .Lfunc_end265-_ZN9rocsparseL39gtsv_spike_backward_substitution_kernelILj256ELj256E21rocsparse_complex_numIfEEEviiiPT1_PKS3_S6_
                                        ; -- End function
	.set _ZN9rocsparseL39gtsv_spike_backward_substitution_kernelILj256ELj256E21rocsparse_complex_numIfEEEviiiPT1_PKS3_S6_.num_vgpr, 22
	.set _ZN9rocsparseL39gtsv_spike_backward_substitution_kernelILj256ELj256E21rocsparse_complex_numIfEEEviiiPT1_PKS3_S6_.num_agpr, 0
	.set _ZN9rocsparseL39gtsv_spike_backward_substitution_kernelILj256ELj256E21rocsparse_complex_numIfEEEviiiPT1_PKS3_S6_.numbered_sgpr, 13
	.set _ZN9rocsparseL39gtsv_spike_backward_substitution_kernelILj256ELj256E21rocsparse_complex_numIfEEEviiiPT1_PKS3_S6_.num_named_barrier, 0
	.set _ZN9rocsparseL39gtsv_spike_backward_substitution_kernelILj256ELj256E21rocsparse_complex_numIfEEEviiiPT1_PKS3_S6_.private_seg_size, 0
	.set _ZN9rocsparseL39gtsv_spike_backward_substitution_kernelILj256ELj256E21rocsparse_complex_numIfEEEviiiPT1_PKS3_S6_.uses_vcc, 1
	.set _ZN9rocsparseL39gtsv_spike_backward_substitution_kernelILj256ELj256E21rocsparse_complex_numIfEEEviiiPT1_PKS3_S6_.uses_flat_scratch, 0
	.set _ZN9rocsparseL39gtsv_spike_backward_substitution_kernelILj256ELj256E21rocsparse_complex_numIfEEEviiiPT1_PKS3_S6_.has_dyn_sized_stack, 0
	.set _ZN9rocsparseL39gtsv_spike_backward_substitution_kernelILj256ELj256E21rocsparse_complex_numIfEEEviiiPT1_PKS3_S6_.has_recursion, 0
	.set _ZN9rocsparseL39gtsv_spike_backward_substitution_kernelILj256ELj256E21rocsparse_complex_numIfEEEviiiPT1_PKS3_S6_.has_indirect_call, 0
	.section	.AMDGPU.csdata,"",@progbits
; Kernel info:
; codeLenInByte = 608
; TotalNumSgprs: 17
; NumVgprs: 22
; ScratchSize: 0
; MemoryBound: 0
; FloatMode: 240
; IeeeMode: 1
; LDSByteSize: 0 bytes/workgroup (compile time only)
; SGPRBlocks: 2
; VGPRBlocks: 5
; NumSGPRsForWavesPerEU: 17
; NumVGPRsForWavesPerEU: 22
; Occupancy: 10
; WaveLimiterHint : 0
; COMPUTE_PGM_RSRC2:SCRATCH_EN: 0
; COMPUTE_PGM_RSRC2:USER_SGPR: 6
; COMPUTE_PGM_RSRC2:TRAP_HANDLER: 0
; COMPUTE_PGM_RSRC2:TGID_X_EN: 1
; COMPUTE_PGM_RSRC2:TGID_Y_EN: 1
; COMPUTE_PGM_RSRC2:TGID_Z_EN: 0
; COMPUTE_PGM_RSRC2:TIDIG_COMP_CNT: 0
	.section	.text._ZN9rocsparseL32gtsv_transpose_back_array_kernelILj256ELj256E21rocsparse_complex_numIfEEEviiiPKT1_PS3_,"axG",@progbits,_ZN9rocsparseL32gtsv_transpose_back_array_kernelILj256ELj256E21rocsparse_complex_numIfEEEviiiPKT1_PS3_,comdat
	.globl	_ZN9rocsparseL32gtsv_transpose_back_array_kernelILj256ELj256E21rocsparse_complex_numIfEEEviiiPKT1_PS3_ ; -- Begin function _ZN9rocsparseL32gtsv_transpose_back_array_kernelILj256ELj256E21rocsparse_complex_numIfEEEviiiPKT1_PS3_
	.p2align	8
	.type	_ZN9rocsparseL32gtsv_transpose_back_array_kernelILj256ELj256E21rocsparse_complex_numIfEEEviiiPKT1_PS3_,@function
_ZN9rocsparseL32gtsv_transpose_back_array_kernelILj256ELj256E21rocsparse_complex_numIfEEEviiiPKT1_PS3_: ; @_ZN9rocsparseL32gtsv_transpose_back_array_kernelILj256ELj256E21rocsparse_complex_numIfEEEviiiPKT1_PS3_
; %bb.0:
	s_load_dwordx4 s[0:3], s[4:5], 0x0
	s_waitcnt lgkmcnt(0)
	v_cvt_f32_u32_e32 v1, s1
	s_sub_i32 s3, 0, s1
	v_rcp_iflag_f32_e32 v1, v1
	v_mul_f32_e32 v1, 0x4f7ffffe, v1
	v_cvt_u32_f32_e32 v2, v1
	v_mul_lo_u32 v1, s3, v2
	v_mul_hi_u32 v3, v2, v1
	v_lshl_or_b32 v1, s6, 8, v0
	v_lshlrev_b32_e32 v0, 8, v1
	v_add_u32_e32 v2, v2, v3
	v_mul_hi_u32 v2, v0, v2
	v_mul_lo_u32 v3, v2, s1
	v_add_u32_e32 v4, 1, v2
	v_sub_u32_e32 v3, v0, v3
	v_cmp_le_u32_e32 vcc, s1, v3
	v_cndmask_b32_e32 v2, v2, v4, vcc
	v_subrev_u32_e32 v4, s1, v3
	v_cndmask_b32_e32 v3, v3, v4, vcc
	v_add_u32_e32 v4, 1, v2
	v_cmp_le_u32_e32 vcc, s1, v3
	v_cndmask_b32_e32 v2, v2, v4, vcc
	v_mul_lo_u32 v3, v2, s1
	v_sub_u32_e32 v0, v0, v3
	v_add_u32_e32 v0, v2, v0
	v_cmp_gt_i32_e32 vcc, s0, v0
	s_and_saveexec_b64 s[8:9], vcc
	s_cbranch_execz .LBB266_2
; %bb.1:
	s_load_dwordx4 s[8:11], s[4:5], 0x10
	s_mul_i32 s0, s1, s7
	v_add_u32_e32 v1, s0, v1
	v_ashrrev_i32_e32 v2, 31, v1
	v_lshlrev_b64 v[1:2], 3, v[1:2]
	s_waitcnt lgkmcnt(0)
	v_mov_b32_e32 v3, s9
	v_add_co_u32_e32 v1, vcc, s8, v1
	v_addc_co_u32_e32 v2, vcc, v3, v2, vcc
	global_load_dwordx2 v[1:2], v[1:2], off
	s_mul_i32 s0, s2, s7
	v_add_u32_e32 v3, s0, v0
	v_ashrrev_i32_e32 v4, 31, v3
	v_lshlrev_b64 v[3:4], 3, v[3:4]
	v_mov_b32_e32 v0, s11
	v_add_co_u32_e32 v3, vcc, s10, v3
	v_addc_co_u32_e32 v4, vcc, v0, v4, vcc
	s_waitcnt vmcnt(0)
	global_store_dwordx2 v[3:4], v[1:2], off
.LBB266_2:
	s_endpgm
	.section	.rodata,"a",@progbits
	.p2align	6, 0x0
	.amdhsa_kernel _ZN9rocsparseL32gtsv_transpose_back_array_kernelILj256ELj256E21rocsparse_complex_numIfEEEviiiPKT1_PS3_
		.amdhsa_group_segment_fixed_size 0
		.amdhsa_private_segment_fixed_size 0
		.amdhsa_kernarg_size 32
		.amdhsa_user_sgpr_count 6
		.amdhsa_user_sgpr_private_segment_buffer 1
		.amdhsa_user_sgpr_dispatch_ptr 0
		.amdhsa_user_sgpr_queue_ptr 0
		.amdhsa_user_sgpr_kernarg_segment_ptr 1
		.amdhsa_user_sgpr_dispatch_id 0
		.amdhsa_user_sgpr_flat_scratch_init 0
		.amdhsa_user_sgpr_private_segment_size 0
		.amdhsa_uses_dynamic_stack 0
		.amdhsa_system_sgpr_private_segment_wavefront_offset 0
		.amdhsa_system_sgpr_workgroup_id_x 1
		.amdhsa_system_sgpr_workgroup_id_y 1
		.amdhsa_system_sgpr_workgroup_id_z 0
		.amdhsa_system_sgpr_workgroup_info 0
		.amdhsa_system_vgpr_workitem_id 0
		.amdhsa_next_free_vgpr 5
		.amdhsa_next_free_sgpr 12
		.amdhsa_reserve_vcc 1
		.amdhsa_reserve_flat_scratch 0
		.amdhsa_float_round_mode_32 0
		.amdhsa_float_round_mode_16_64 0
		.amdhsa_float_denorm_mode_32 3
		.amdhsa_float_denorm_mode_16_64 3
		.amdhsa_dx10_clamp 1
		.amdhsa_ieee_mode 1
		.amdhsa_fp16_overflow 0
		.amdhsa_exception_fp_ieee_invalid_op 0
		.amdhsa_exception_fp_denorm_src 0
		.amdhsa_exception_fp_ieee_div_zero 0
		.amdhsa_exception_fp_ieee_overflow 0
		.amdhsa_exception_fp_ieee_underflow 0
		.amdhsa_exception_fp_ieee_inexact 0
		.amdhsa_exception_int_div_zero 0
	.end_amdhsa_kernel
	.section	.text._ZN9rocsparseL32gtsv_transpose_back_array_kernelILj256ELj256E21rocsparse_complex_numIfEEEviiiPKT1_PS3_,"axG",@progbits,_ZN9rocsparseL32gtsv_transpose_back_array_kernelILj256ELj256E21rocsparse_complex_numIfEEEviiiPKT1_PS3_,comdat
.Lfunc_end266:
	.size	_ZN9rocsparseL32gtsv_transpose_back_array_kernelILj256ELj256E21rocsparse_complex_numIfEEEviiiPKT1_PS3_, .Lfunc_end266-_ZN9rocsparseL32gtsv_transpose_back_array_kernelILj256ELj256E21rocsparse_complex_numIfEEEviiiPKT1_PS3_
                                        ; -- End function
	.set _ZN9rocsparseL32gtsv_transpose_back_array_kernelILj256ELj256E21rocsparse_complex_numIfEEEviiiPKT1_PS3_.num_vgpr, 5
	.set _ZN9rocsparseL32gtsv_transpose_back_array_kernelILj256ELj256E21rocsparse_complex_numIfEEEviiiPKT1_PS3_.num_agpr, 0
	.set _ZN9rocsparseL32gtsv_transpose_back_array_kernelILj256ELj256E21rocsparse_complex_numIfEEEviiiPKT1_PS3_.numbered_sgpr, 12
	.set _ZN9rocsparseL32gtsv_transpose_back_array_kernelILj256ELj256E21rocsparse_complex_numIfEEEviiiPKT1_PS3_.num_named_barrier, 0
	.set _ZN9rocsparseL32gtsv_transpose_back_array_kernelILj256ELj256E21rocsparse_complex_numIfEEEviiiPKT1_PS3_.private_seg_size, 0
	.set _ZN9rocsparseL32gtsv_transpose_back_array_kernelILj256ELj256E21rocsparse_complex_numIfEEEviiiPKT1_PS3_.uses_vcc, 1
	.set _ZN9rocsparseL32gtsv_transpose_back_array_kernelILj256ELj256E21rocsparse_complex_numIfEEEviiiPKT1_PS3_.uses_flat_scratch, 0
	.set _ZN9rocsparseL32gtsv_transpose_back_array_kernelILj256ELj256E21rocsparse_complex_numIfEEEviiiPKT1_PS3_.has_dyn_sized_stack, 0
	.set _ZN9rocsparseL32gtsv_transpose_back_array_kernelILj256ELj256E21rocsparse_complex_numIfEEEviiiPKT1_PS3_.has_recursion, 0
	.set _ZN9rocsparseL32gtsv_transpose_back_array_kernelILj256ELj256E21rocsparse_complex_numIfEEEviiiPKT1_PS3_.has_indirect_call, 0
	.section	.AMDGPU.csdata,"",@progbits
; Kernel info:
; codeLenInByte = 248
; TotalNumSgprs: 16
; NumVgprs: 5
; ScratchSize: 0
; MemoryBound: 0
; FloatMode: 240
; IeeeMode: 1
; LDSByteSize: 0 bytes/workgroup (compile time only)
; SGPRBlocks: 1
; VGPRBlocks: 1
; NumSGPRsForWavesPerEU: 16
; NumVGPRsForWavesPerEU: 5
; Occupancy: 10
; WaveLimiterHint : 0
; COMPUTE_PGM_RSRC2:SCRATCH_EN: 0
; COMPUTE_PGM_RSRC2:USER_SGPR: 6
; COMPUTE_PGM_RSRC2:TRAP_HANDLER: 0
; COMPUTE_PGM_RSRC2:TGID_X_EN: 1
; COMPUTE_PGM_RSRC2:TGID_Y_EN: 1
; COMPUTE_PGM_RSRC2:TGID_Z_EN: 0
; COMPUTE_PGM_RSRC2:TIDIG_COMP_CNT: 0
	.section	.text._ZN9rocsparseL42gtsv_transpose_and_pad_array_shared_kernelILj256ELj2E21rocsparse_complex_numIdEEEviiiPKT1_PS3_S3_,"axG",@progbits,_ZN9rocsparseL42gtsv_transpose_and_pad_array_shared_kernelILj256ELj2E21rocsparse_complex_numIdEEEviiiPKT1_PS3_S3_,comdat
	.globl	_ZN9rocsparseL42gtsv_transpose_and_pad_array_shared_kernelILj256ELj2E21rocsparse_complex_numIdEEEviiiPKT1_PS3_S3_ ; -- Begin function _ZN9rocsparseL42gtsv_transpose_and_pad_array_shared_kernelILj256ELj2E21rocsparse_complex_numIdEEEviiiPKT1_PS3_S3_
	.p2align	8
	.type	_ZN9rocsparseL42gtsv_transpose_and_pad_array_shared_kernelILj256ELj2E21rocsparse_complex_numIdEEEviiiPKT1_PS3_S3_,@function
_ZN9rocsparseL42gtsv_transpose_and_pad_array_shared_kernelILj256ELj2E21rocsparse_complex_numIdEEEviiiPKT1_PS3_S3_: ; @_ZN9rocsparseL42gtsv_transpose_and_pad_array_shared_kernelILj256ELj2E21rocsparse_complex_numIdEEEviiiPKT1_PS3_S3_
; %bb.0:
	s_load_dwordx4 s[0:3], s[4:5], 0x0
	v_lshl_or_b32 v2, s6, 8, v0
	v_lshlrev_b32_e32 v1, 4, v0
	s_waitcnt lgkmcnt(0)
	v_cmp_le_i32_e32 vcc, s0, v2
	s_and_saveexec_b64 s[8:9], vcc
	s_xor_b64 s[8:9], exec, s[8:9]
	s_cbranch_execz .LBB267_2
; %bb.1:
	s_load_dwordx4 s[12:15], s[4:5], 0x20
	s_waitcnt lgkmcnt(0)
	v_mov_b32_e32 v2, s12
	v_mov_b32_e32 v3, s13
	;; [unrolled: 1-line block ×4, first 2 shown]
	ds_write_b128 v1, v[2:5]
                                        ; implicit-def: $vgpr2
                                        ; implicit-def: $vgpr1
.LBB267_2:
	s_andn2_saveexec_b64 s[8:9], s[8:9]
	s_cbranch_execz .LBB267_4
; %bb.3:
	s_load_dwordx2 s[10:11], s[4:5], 0x10
	s_mul_i32 s0, s2, s7
	v_add_u32_e32 v2, s0, v2
	v_ashrrev_i32_e32 v3, 31, v2
	v_lshlrev_b64 v[2:3], 4, v[2:3]
	s_waitcnt lgkmcnt(0)
	v_mov_b32_e32 v4, s11
	v_add_co_u32_e32 v2, vcc, s10, v2
	v_addc_co_u32_e32 v3, vcc, v4, v3, vcc
	global_load_dwordx4 v[2:5], v[2:3], off
	s_waitcnt vmcnt(0)
	ds_write2_b64 v1, v[2:3], v[4:5] offset1:1
.LBB267_4:
	s_or_b64 exec, exec, s[8:9]
	v_and_b32_e32 v3, 0x7f, v0
	v_lshrrev_b32_e32 v2, 7, v0
	s_lshr_b32 s0, s1, 1
	v_lshl_or_b32 v0, s6, 7, v3
	v_mad_u64_u32 v[0:1], s[2:3], s0, v2, v[0:1]
	s_waitcnt lgkmcnt(0)
	s_barrier
	v_cmp_gt_i32_e32 vcc, s1, v0
	s_and_saveexec_b64 s[2:3], vcc
	s_cbranch_execz .LBB267_6
; %bb.5:
	s_mul_i32 s0, s1, s7
	s_load_dwordx2 s[2:3], s[4:5], 0x18
	v_lshlrev_b32_e32 v1, 4, v2
	v_add_u32_e32 v0, s0, v0
	v_lshl_or_b32 v2, v3, 5, v1
	v_ashrrev_i32_e32 v1, 31, v0
	v_lshlrev_b64 v[4:5], 4, v[0:1]
	ds_read2_b64 v[0:3], v2 offset1:1
	s_waitcnt lgkmcnt(0)
	v_mov_b32_e32 v6, s3
	v_add_co_u32_e32 v4, vcc, s2, v4
	v_addc_co_u32_e32 v5, vcc, v6, v5, vcc
	global_store_dwordx4 v[4:5], v[0:3], off
.LBB267_6:
	s_endpgm
	.section	.rodata,"a",@progbits
	.p2align	6, 0x0
	.amdhsa_kernel _ZN9rocsparseL42gtsv_transpose_and_pad_array_shared_kernelILj256ELj2E21rocsparse_complex_numIdEEEviiiPKT1_PS3_S3_
		.amdhsa_group_segment_fixed_size 4096
		.amdhsa_private_segment_fixed_size 0
		.amdhsa_kernarg_size 48
		.amdhsa_user_sgpr_count 6
		.amdhsa_user_sgpr_private_segment_buffer 1
		.amdhsa_user_sgpr_dispatch_ptr 0
		.amdhsa_user_sgpr_queue_ptr 0
		.amdhsa_user_sgpr_kernarg_segment_ptr 1
		.amdhsa_user_sgpr_dispatch_id 0
		.amdhsa_user_sgpr_flat_scratch_init 0
		.amdhsa_user_sgpr_private_segment_size 0
		.amdhsa_uses_dynamic_stack 0
		.amdhsa_system_sgpr_private_segment_wavefront_offset 0
		.amdhsa_system_sgpr_workgroup_id_x 1
		.amdhsa_system_sgpr_workgroup_id_y 1
		.amdhsa_system_sgpr_workgroup_id_z 0
		.amdhsa_system_sgpr_workgroup_info 0
		.amdhsa_system_vgpr_workitem_id 0
		.amdhsa_next_free_vgpr 7
		.amdhsa_next_free_sgpr 16
		.amdhsa_reserve_vcc 1
		.amdhsa_reserve_flat_scratch 0
		.amdhsa_float_round_mode_32 0
		.amdhsa_float_round_mode_16_64 0
		.amdhsa_float_denorm_mode_32 3
		.amdhsa_float_denorm_mode_16_64 3
		.amdhsa_dx10_clamp 1
		.amdhsa_ieee_mode 1
		.amdhsa_fp16_overflow 0
		.amdhsa_exception_fp_ieee_invalid_op 0
		.amdhsa_exception_fp_denorm_src 0
		.amdhsa_exception_fp_ieee_div_zero 0
		.amdhsa_exception_fp_ieee_overflow 0
		.amdhsa_exception_fp_ieee_underflow 0
		.amdhsa_exception_fp_ieee_inexact 0
		.amdhsa_exception_int_div_zero 0
	.end_amdhsa_kernel
	.section	.text._ZN9rocsparseL42gtsv_transpose_and_pad_array_shared_kernelILj256ELj2E21rocsparse_complex_numIdEEEviiiPKT1_PS3_S3_,"axG",@progbits,_ZN9rocsparseL42gtsv_transpose_and_pad_array_shared_kernelILj256ELj2E21rocsparse_complex_numIdEEEviiiPKT1_PS3_S3_,comdat
.Lfunc_end267:
	.size	_ZN9rocsparseL42gtsv_transpose_and_pad_array_shared_kernelILj256ELj2E21rocsparse_complex_numIdEEEviiiPKT1_PS3_S3_, .Lfunc_end267-_ZN9rocsparseL42gtsv_transpose_and_pad_array_shared_kernelILj256ELj2E21rocsparse_complex_numIdEEEviiiPKT1_PS3_S3_
                                        ; -- End function
	.set _ZN9rocsparseL42gtsv_transpose_and_pad_array_shared_kernelILj256ELj2E21rocsparse_complex_numIdEEEviiiPKT1_PS3_S3_.num_vgpr, 7
	.set _ZN9rocsparseL42gtsv_transpose_and_pad_array_shared_kernelILj256ELj2E21rocsparse_complex_numIdEEEviiiPKT1_PS3_S3_.num_agpr, 0
	.set _ZN9rocsparseL42gtsv_transpose_and_pad_array_shared_kernelILj256ELj2E21rocsparse_complex_numIdEEEviiiPKT1_PS3_S3_.numbered_sgpr, 16
	.set _ZN9rocsparseL42gtsv_transpose_and_pad_array_shared_kernelILj256ELj2E21rocsparse_complex_numIdEEEviiiPKT1_PS3_S3_.num_named_barrier, 0
	.set _ZN9rocsparseL42gtsv_transpose_and_pad_array_shared_kernelILj256ELj2E21rocsparse_complex_numIdEEEviiiPKT1_PS3_S3_.private_seg_size, 0
	.set _ZN9rocsparseL42gtsv_transpose_and_pad_array_shared_kernelILj256ELj2E21rocsparse_complex_numIdEEEviiiPKT1_PS3_S3_.uses_vcc, 1
	.set _ZN9rocsparseL42gtsv_transpose_and_pad_array_shared_kernelILj256ELj2E21rocsparse_complex_numIdEEEviiiPKT1_PS3_S3_.uses_flat_scratch, 0
	.set _ZN9rocsparseL42gtsv_transpose_and_pad_array_shared_kernelILj256ELj2E21rocsparse_complex_numIdEEEviiiPKT1_PS3_S3_.has_dyn_sized_stack, 0
	.set _ZN9rocsparseL42gtsv_transpose_and_pad_array_shared_kernelILj256ELj2E21rocsparse_complex_numIdEEEviiiPKT1_PS3_S3_.has_recursion, 0
	.set _ZN9rocsparseL42gtsv_transpose_and_pad_array_shared_kernelILj256ELj2E21rocsparse_complex_numIdEEEviiiPKT1_PS3_S3_.has_indirect_call, 0
	.section	.AMDGPU.csdata,"",@progbits
; Kernel info:
; codeLenInByte = 280
; TotalNumSgprs: 20
; NumVgprs: 7
; ScratchSize: 0
; MemoryBound: 0
; FloatMode: 240
; IeeeMode: 1
; LDSByteSize: 4096 bytes/workgroup (compile time only)
; SGPRBlocks: 2
; VGPRBlocks: 1
; NumSGPRsForWavesPerEU: 20
; NumVGPRsForWavesPerEU: 7
; Occupancy: 10
; WaveLimiterHint : 0
; COMPUTE_PGM_RSRC2:SCRATCH_EN: 0
; COMPUTE_PGM_RSRC2:USER_SGPR: 6
; COMPUTE_PGM_RSRC2:TRAP_HANDLER: 0
; COMPUTE_PGM_RSRC2:TGID_X_EN: 1
; COMPUTE_PGM_RSRC2:TGID_Y_EN: 1
; COMPUTE_PGM_RSRC2:TGID_Z_EN: 0
; COMPUTE_PGM_RSRC2:TIDIG_COMP_CNT: 0
	.section	.text._ZN9rocsparseL18gtsv_LBM_wv_kernelILj256ELj2E21rocsparse_complex_numIdEEEviiiPKT1_S5_S5_PS3_S6_S6_Pi,"axG",@progbits,_ZN9rocsparseL18gtsv_LBM_wv_kernelILj256ELj2E21rocsparse_complex_numIdEEEviiiPKT1_S5_S5_PS3_S6_S6_Pi,comdat
	.globl	_ZN9rocsparseL18gtsv_LBM_wv_kernelILj256ELj2E21rocsparse_complex_numIdEEEviiiPKT1_S5_S5_PS3_S6_S6_Pi ; -- Begin function _ZN9rocsparseL18gtsv_LBM_wv_kernelILj256ELj2E21rocsparse_complex_numIdEEEviiiPKT1_S5_S5_PS3_S6_S6_Pi
	.p2align	8
	.type	_ZN9rocsparseL18gtsv_LBM_wv_kernelILj256ELj2E21rocsparse_complex_numIdEEEviiiPKT1_S5_S5_PS3_S6_S6_Pi,@function
_ZN9rocsparseL18gtsv_LBM_wv_kernelILj256ELj2E21rocsparse_complex_numIdEEEviiiPKT1_S5_S5_PS3_S6_S6_Pi: ; @_ZN9rocsparseL18gtsv_LBM_wv_kernelILj256ELj2E21rocsparse_complex_numIdEEEviiiPKT1_S5_S5_PS3_S6_S6_Pi
; %bb.0:
	s_load_dword s27, s[4:5], 0x0
	v_lshl_or_b32 v32, s6, 8, v0
	s_waitcnt lgkmcnt(0)
	s_lshr_b32 s26, s27, 1
	v_cmp_gt_i32_e32 vcc, s26, v32
	s_and_saveexec_b64 s[0:1], vcc
	s_cbranch_execz .LBB268_62
; %bb.1:
	s_load_dwordx2 s[16:17], s[4:5], 0x10
	s_load_dwordx8 s[8:15], s[4:5], 0x20
	v_ashrrev_i32_e32 v33, 31, v32
	v_lshlrev_b64 v[0:1], 4, v[32:33]
	v_add_u32_e32 v33, s26, v32
	v_mov_b32_e32 v34, 0
	s_waitcnt lgkmcnt(0)
	v_mov_b32_e32 v3, s17
	v_add_co_u32_e32 v2, vcc, s16, v0
	v_lshlrev_b64 v[10:11], 4, v[33:34]
	v_addc_co_u32_e32 v3, vcc, v3, v1, vcc
	v_mov_b32_e32 v7, s9
	v_add_co_u32_e32 v6, vcc, s8, v10
	global_load_dwordx4 v[2:5], v[2:3], off
	v_addc_co_u32_e32 v7, vcc, v7, v11, vcc
	global_load_dwordx4 v[6:9], v[6:7], off
	s_load_dwordx2 s[6:7], s[4:5], 0x40
	v_mov_b32_e32 v13, s13
	v_add_co_u32_e32 v10, vcc, s12, v10
	v_addc_co_u32_e32 v11, vcc, v13, v11, vcc
	v_mov_b32_e32 v12, s11
	v_add_co_u32_e32 v35, vcc, s10, v0
	s_cmp_lt_i32 s27, 1
	v_addc_co_u32_e32 v36, vcc, v12, v1, vcc
	v_mov_b32_e32 v37, v34
	s_waitcnt vmcnt(1)
	global_store_dwordx4 v[35:36], v[2:5], off
	s_waitcnt vmcnt(1)
	global_store_dwordx4 v[10:11], v[6:9], off
	s_cbranch_scc1 .LBB268_55
; %bb.2:
	s_load_dwordx2 s[4:5], s[4:5], 0x18
	s_mov_b32 s20, 0
	s_mov_b32 s22, 0x372fe950
	s_and_b32 s28, s27, 0x7ffffffe
	v_mov_b32_e32 v37, 0
	s_waitcnt lgkmcnt(0)
	v_mov_b32_e32 v2, s5
	v_add_co_u32_e32 v0, vcc, s4, v0
	v_addc_co_u32_e32 v1, vcc, v2, v1, vcc
	global_load_dwordx4 v[4:7], v[0:1], off
	s_mov_b64 s[18:19], 0
	s_brev_b32 s21, 8
	v_mov_b32_e32 v34, 0x260
	s_mov_b32 s23, 0x3fe3c6ef
	v_mov_b32_e32 v55, 2
	v_mov_b32_e32 v56, 1
	;; [unrolled: 1-line block ×4, first 2 shown]
	s_branch .LBB268_5
.LBB268_3:                              ;   in Loop: Header=BB268_5 Depth=1
	s_or_b64 exec, exec, s[24:25]
	v_mul_f64 v[0:1], v[4:5], -v[28:29]
	v_mul_f64 v[2:3], v[4:5], v[26:27]
	v_mov_b32_e32 v20, s26
	v_fma_f64 v[0:1], v[26:27], v[6:7], v[0:1]
	v_fma_f64 v[2:3], v[28:29], v[6:7], v[2:3]
	v_add_f64 v[16:17], v[12:13], -v[0:1]
	v_add_f64 v[18:19], v[14:15], -v[2:3]
.LBB268_4:                              ;   in Loop: Header=BB268_5 Depth=1
	s_or_b64 exec, exec, s[2:3]
	v_add_u32_e32 v37, v20, v37
	v_cmp_le_i32_e32 vcc, s27, v37
	v_mov_b32_e32 v6, v18
	v_mov_b32_e32 v4, v16
	s_or_b64 s[18:19], vcc, s[18:19]
	v_mov_b32_e32 v7, v19
	v_mov_b32_e32 v5, v17
	s_andn2_b64 exec, exec, s[18:19]
	s_cbranch_execz .LBB268_54
.LBB268_5:                              ; =>This Inner Loop Header: Depth=1
	v_add_u32_e32 v39, v37, v32
	v_ashrrev_i32_e32 v40, 31, v39
	v_lshlrev_b64 v[41:42], 4, v[39:40]
	v_mov_b32_e32 v1, s9
	v_add_co_u32_e32 v0, vcc, s8, v41
	v_addc_co_u32_e32 v1, vcc, v1, v42, vcc
	global_load_dwordx4 v[8:11], v[0:1], off
	v_mov_b32_e32 v12, 0
	v_mov_b32_e32 v0, 0
	v_mov_b32_e32 v2, 0
	v_mov_b32_e32 v13, 0
	v_mov_b32_e32 v1, 0
	v_mov_b32_e32 v3, 0
	v_cmp_gt_u32_e64 s[0:1], s26, v37
	s_and_saveexec_b64 s[2:3], s[0:1]
	s_cbranch_execz .LBB268_7
; %bb.6:                                ;   in Loop: Header=BB268_5 Depth=1
	v_add_u32_e32 v0, v33, v37
	v_ashrrev_i32_e32 v1, 31, v0
	v_lshlrev_b64 v[0:1], 4, v[0:1]
	v_mov_b32_e32 v2, s17
	v_add_co_u32_e32 v0, vcc, s16, v0
	v_addc_co_u32_e32 v1, vcc, v2, v1, vcc
	global_load_dwordx4 v[0:3], v[0:1], off
.LBB268_7:                              ;   in Loop: Header=BB268_5 Depth=1
	s_or_b64 exec, exec, s[2:3]
	v_mov_b32_e32 v14, 0
	v_mov_b32_e32 v15, 0
	s_and_saveexec_b64 s[2:3], s[0:1]
	s_cbranch_execz .LBB268_9
; %bb.8:                                ;   in Loop: Header=BB268_5 Depth=1
	v_add_u32_e32 v12, v33, v37
	v_ashrrev_i32_e32 v13, 31, v12
	v_lshlrev_b64 v[12:13], 4, v[12:13]
	v_mov_b32_e32 v14, s5
	v_add_co_u32_e32 v12, vcc, s4, v12
	v_addc_co_u32_e32 v13, vcc, v14, v13, vcc
	global_load_dwordx4 v[12:15], v[12:13], off
.LBB268_9:                              ;   in Loop: Header=BB268_5 Depth=1
	s_or_b64 exec, exec, s[2:3]
	v_mov_b32_e32 v16, 0
	v_mov_b32_e32 v18, 0
	;; [unrolled: 1-line block ×4, first 2 shown]
	s_and_saveexec_b64 s[2:3], s[0:1]
	s_cbranch_execz .LBB268_11
; %bb.10:                               ;   in Loop: Header=BB268_5 Depth=1
	v_add_u32_e32 v16, v33, v37
	v_ashrrev_i32_e32 v17, 31, v16
	v_lshlrev_b64 v[16:17], 4, v[16:17]
	v_mov_b32_e32 v18, s9
	v_add_co_u32_e32 v16, vcc, s8, v16
	v_addc_co_u32_e32 v17, vcc, v18, v17, vcc
	global_load_dwordx4 v[16:19], v[16:17], off
.LBB268_11:                             ;   in Loop: Header=BB268_5 Depth=1
	s_or_b64 exec, exec, s[2:3]
	s_waitcnt vmcnt(0)
	v_cmp_gt_f64_e32 vcc, 0, v[0:1]
	v_xor_b32_e32 v20, 0x80000000, v1
	v_mov_b32_e32 v22, v0
	v_mov_b32_e32 v24, v2
	v_cndmask_b32_e32 v23, v1, v20, vcc
	v_cmp_gt_f64_e32 vcc, 0, v[2:3]
	v_xor_b32_e32 v20, 0x80000000, v3
	v_cndmask_b32_e32 v25, v3, v20, vcc
	v_cmp_ngt_f64_e32 vcc, v[22:23], v[24:25]
                                        ; implicit-def: $vgpr20_vgpr21
	s_and_saveexec_b64 s[2:3], vcc
	s_xor_b64 s[2:3], exec, s[2:3]
	s_cbranch_execz .LBB268_15
; %bb.12:                               ;   in Loop: Header=BB268_5 Depth=1
	v_cmp_neq_f64_e32 vcc, 0, v[2:3]
	v_mov_b32_e32 v20, 0
	v_mov_b32_e32 v21, 0
	s_and_saveexec_b64 s[24:25], vcc
	s_cbranch_execz .LBB268_14
; %bb.13:                               ;   in Loop: Header=BB268_5 Depth=1
	v_div_scale_f64 v[20:21], s[30:31], v[24:25], v[24:25], v[22:23]
	v_rcp_f64_e32 v[26:27], v[20:21]
	v_fma_f64 v[28:29], -v[20:21], v[26:27], 1.0
	v_fma_f64 v[26:27], v[26:27], v[28:29], v[26:27]
	v_div_scale_f64 v[28:29], vcc, v[22:23], v[24:25], v[22:23]
	v_fma_f64 v[30:31], -v[20:21], v[26:27], 1.0
	v_fma_f64 v[26:27], v[26:27], v[30:31], v[26:27]
	v_mul_f64 v[30:31], v[28:29], v[26:27]
	v_fma_f64 v[20:21], -v[20:21], v[30:31], v[28:29]
	v_div_fmas_f64 v[20:21], v[20:21], v[26:27], v[30:31]
	v_div_fixup_f64 v[20:21], v[20:21], v[24:25], v[22:23]
	v_fma_f64 v[20:21], v[20:21], v[20:21], 1.0
	v_cmp_gt_f64_e32 vcc, s[20:21], v[20:21]
	v_cndmask_b32_e32 v22, 0, v57, vcc
	v_ldexp_f64 v[20:21], v[20:21], v22
	v_rsq_f64_e32 v[22:23], v[20:21]
	v_mul_f64 v[26:27], v[20:21], v[22:23]
	v_mul_f64 v[22:23], v[22:23], 0.5
	v_fma_f64 v[28:29], -v[22:23], v[26:27], 0.5
	v_fma_f64 v[26:27], v[26:27], v[28:29], v[26:27]
	v_fma_f64 v[22:23], v[22:23], v[28:29], v[22:23]
	v_fma_f64 v[28:29], -v[26:27], v[26:27], v[20:21]
	v_fma_f64 v[26:27], v[28:29], v[22:23], v[26:27]
	v_fma_f64 v[28:29], -v[26:27], v[26:27], v[20:21]
	v_fma_f64 v[22:23], v[28:29], v[22:23], v[26:27]
	v_cndmask_b32_e32 v26, 0, v58, vcc
	v_cmp_class_f64_e32 vcc, v[20:21], v34
	v_ldexp_f64 v[22:23], v[22:23], v26
	v_cndmask_b32_e32 v21, v23, v21, vcc
	v_cndmask_b32_e32 v20, v22, v20, vcc
	v_mul_f64 v[20:21], v[24:25], v[20:21]
.LBB268_14:                             ;   in Loop: Header=BB268_5 Depth=1
	s_or_b64 exec, exec, s[24:25]
                                        ; implicit-def: $vgpr22_vgpr23
                                        ; implicit-def: $vgpr24_vgpr25
.LBB268_15:                             ;   in Loop: Header=BB268_5 Depth=1
	s_andn2_saveexec_b64 s[2:3], s[2:3]
	s_cbranch_execz .LBB268_17
; %bb.16:                               ;   in Loop: Header=BB268_5 Depth=1
	v_div_scale_f64 v[20:21], s[24:25], v[22:23], v[22:23], v[24:25]
	v_rcp_f64_e32 v[26:27], v[20:21]
	v_fma_f64 v[28:29], -v[20:21], v[26:27], 1.0
	v_fma_f64 v[26:27], v[26:27], v[28:29], v[26:27]
	v_div_scale_f64 v[28:29], vcc, v[24:25], v[22:23], v[24:25]
	v_fma_f64 v[30:31], -v[20:21], v[26:27], 1.0
	v_fma_f64 v[26:27], v[26:27], v[30:31], v[26:27]
	v_mul_f64 v[30:31], v[28:29], v[26:27]
	v_fma_f64 v[20:21], -v[20:21], v[30:31], v[28:29]
	v_div_fmas_f64 v[20:21], v[20:21], v[26:27], v[30:31]
	v_div_fixup_f64 v[20:21], v[20:21], v[22:23], v[24:25]
	v_fma_f64 v[20:21], v[20:21], v[20:21], 1.0
	v_cmp_gt_f64_e32 vcc, s[20:21], v[20:21]
	v_cndmask_b32_e32 v24, 0, v57, vcc
	v_ldexp_f64 v[20:21], v[20:21], v24
	v_rsq_f64_e32 v[24:25], v[20:21]
	v_mul_f64 v[26:27], v[20:21], v[24:25]
	v_mul_f64 v[24:25], v[24:25], 0.5
	v_fma_f64 v[28:29], -v[24:25], v[26:27], 0.5
	v_fma_f64 v[26:27], v[26:27], v[28:29], v[26:27]
	v_fma_f64 v[24:25], v[24:25], v[28:29], v[24:25]
	v_fma_f64 v[28:29], -v[26:27], v[26:27], v[20:21]
	v_fma_f64 v[26:27], v[28:29], v[24:25], v[26:27]
	v_fma_f64 v[28:29], -v[26:27], v[26:27], v[20:21]
	v_fma_f64 v[24:25], v[28:29], v[24:25], v[26:27]
	v_cndmask_b32_e32 v26, 0, v58, vcc
	v_cmp_class_f64_e32 vcc, v[20:21], v34
	v_ldexp_f64 v[24:25], v[24:25], v26
	v_cndmask_b32_e32 v21, v25, v21, vcc
	v_cndmask_b32_e32 v20, v24, v20, vcc
	v_mul_f64 v[20:21], v[22:23], v[20:21]
.LBB268_17:                             ;   in Loop: Header=BB268_5 Depth=1
	s_or_b64 exec, exec, s[2:3]
	v_cmp_gt_f64_e32 vcc, 0, v[12:13]
	v_xor_b32_e32 v22, 0x80000000, v13
	v_mov_b32_e32 v24, v12
	v_mov_b32_e32 v26, v14
	v_cndmask_b32_e32 v25, v13, v22, vcc
	v_cmp_gt_f64_e32 vcc, 0, v[14:15]
	v_xor_b32_e32 v22, 0x80000000, v15
	v_cndmask_b32_e32 v27, v15, v22, vcc
	v_cmp_ngt_f64_e32 vcc, v[24:25], v[26:27]
                                        ; implicit-def: $vgpr22_vgpr23
	s_and_saveexec_b64 s[2:3], vcc
	s_xor_b64 s[2:3], exec, s[2:3]
	s_cbranch_execz .LBB268_21
; %bb.18:                               ;   in Loop: Header=BB268_5 Depth=1
	v_cmp_neq_f64_e32 vcc, 0, v[14:15]
	v_mov_b32_e32 v22, 0
	v_mov_b32_e32 v23, 0
	s_and_saveexec_b64 s[24:25], vcc
	s_cbranch_execz .LBB268_20
; %bb.19:                               ;   in Loop: Header=BB268_5 Depth=1
	v_div_scale_f64 v[22:23], s[30:31], v[26:27], v[26:27], v[24:25]
	v_rcp_f64_e32 v[28:29], v[22:23]
	v_fma_f64 v[30:31], -v[22:23], v[28:29], 1.0
	v_fma_f64 v[28:29], v[28:29], v[30:31], v[28:29]
	v_div_scale_f64 v[30:31], vcc, v[24:25], v[26:27], v[24:25]
	v_fma_f64 v[43:44], -v[22:23], v[28:29], 1.0
	v_fma_f64 v[28:29], v[28:29], v[43:44], v[28:29]
	v_mul_f64 v[43:44], v[30:31], v[28:29]
	v_fma_f64 v[22:23], -v[22:23], v[43:44], v[30:31]
	v_div_fmas_f64 v[22:23], v[22:23], v[28:29], v[43:44]
	v_div_fixup_f64 v[22:23], v[22:23], v[26:27], v[24:25]
	v_fma_f64 v[22:23], v[22:23], v[22:23], 1.0
	v_cmp_gt_f64_e32 vcc, s[20:21], v[22:23]
	v_cndmask_b32_e32 v24, 0, v57, vcc
	v_ldexp_f64 v[22:23], v[22:23], v24
	v_rsq_f64_e32 v[24:25], v[22:23]
	v_mul_f64 v[28:29], v[22:23], v[24:25]
	v_mul_f64 v[24:25], v[24:25], 0.5
	v_fma_f64 v[30:31], -v[24:25], v[28:29], 0.5
	v_fma_f64 v[28:29], v[28:29], v[30:31], v[28:29]
	v_fma_f64 v[24:25], v[24:25], v[30:31], v[24:25]
	v_fma_f64 v[30:31], -v[28:29], v[28:29], v[22:23]
	v_fma_f64 v[28:29], v[30:31], v[24:25], v[28:29]
	v_fma_f64 v[30:31], -v[28:29], v[28:29], v[22:23]
	v_fma_f64 v[24:25], v[30:31], v[24:25], v[28:29]
	v_cndmask_b32_e32 v28, 0, v58, vcc
	v_cmp_class_f64_e32 vcc, v[22:23], v34
	v_ldexp_f64 v[24:25], v[24:25], v28
	v_cndmask_b32_e32 v23, v25, v23, vcc
	v_cndmask_b32_e32 v22, v24, v22, vcc
	v_mul_f64 v[22:23], v[26:27], v[22:23]
.LBB268_20:                             ;   in Loop: Header=BB268_5 Depth=1
	s_or_b64 exec, exec, s[24:25]
                                        ; implicit-def: $vgpr24_vgpr25
                                        ; implicit-def: $vgpr26_vgpr27
.LBB268_21:                             ;   in Loop: Header=BB268_5 Depth=1
	s_andn2_saveexec_b64 s[2:3], s[2:3]
	s_cbranch_execz .LBB268_23
; %bb.22:                               ;   in Loop: Header=BB268_5 Depth=1
	v_div_scale_f64 v[22:23], s[24:25], v[24:25], v[24:25], v[26:27]
	v_rcp_f64_e32 v[28:29], v[22:23]
	v_fma_f64 v[30:31], -v[22:23], v[28:29], 1.0
	v_fma_f64 v[28:29], v[28:29], v[30:31], v[28:29]
	v_div_scale_f64 v[30:31], vcc, v[26:27], v[24:25], v[26:27]
	v_fma_f64 v[43:44], -v[22:23], v[28:29], 1.0
	v_fma_f64 v[28:29], v[28:29], v[43:44], v[28:29]
	v_mul_f64 v[43:44], v[30:31], v[28:29]
	v_fma_f64 v[22:23], -v[22:23], v[43:44], v[30:31]
	v_div_fmas_f64 v[22:23], v[22:23], v[28:29], v[43:44]
	v_div_fixup_f64 v[22:23], v[22:23], v[24:25], v[26:27]
	v_fma_f64 v[22:23], v[22:23], v[22:23], 1.0
	v_cmp_gt_f64_e32 vcc, s[20:21], v[22:23]
	v_cndmask_b32_e32 v26, 0, v57, vcc
	v_ldexp_f64 v[22:23], v[22:23], v26
	v_rsq_f64_e32 v[26:27], v[22:23]
	v_mul_f64 v[28:29], v[22:23], v[26:27]
	v_mul_f64 v[26:27], v[26:27], 0.5
	v_fma_f64 v[30:31], -v[26:27], v[28:29], 0.5
	v_fma_f64 v[28:29], v[28:29], v[30:31], v[28:29]
	v_fma_f64 v[26:27], v[26:27], v[30:31], v[26:27]
	v_fma_f64 v[30:31], -v[28:29], v[28:29], v[22:23]
	v_fma_f64 v[28:29], v[30:31], v[26:27], v[28:29]
	v_fma_f64 v[30:31], -v[28:29], v[28:29], v[22:23]
	v_fma_f64 v[26:27], v[30:31], v[26:27], v[28:29]
	v_cndmask_b32_e32 v28, 0, v58, vcc
	v_cmp_class_f64_e32 vcc, v[22:23], v34
	v_ldexp_f64 v[26:27], v[26:27], v28
	v_cndmask_b32_e32 v23, v27, v23, vcc
	v_cndmask_b32_e32 v22, v26, v22, vcc
	v_mul_f64 v[22:23], v[24:25], v[22:23]
.LBB268_23:                             ;   in Loop: Header=BB268_5 Depth=1
	s_or_b64 exec, exec, s[2:3]
	v_cmp_gt_f64_e32 vcc, 0, v[8:9]
	v_xor_b32_e32 v24, 0x80000000, v9
	v_mov_b32_e32 v26, v8
	v_mov_b32_e32 v28, v10
	v_cndmask_b32_e32 v27, v9, v24, vcc
	v_cmp_gt_f64_e32 vcc, 0, v[10:11]
	v_xor_b32_e32 v24, 0x80000000, v11
	v_cndmask_b32_e32 v29, v11, v24, vcc
	v_cmp_ngt_f64_e32 vcc, v[26:27], v[28:29]
                                        ; implicit-def: $vgpr24_vgpr25
	s_and_saveexec_b64 s[2:3], vcc
	s_xor_b64 s[2:3], exec, s[2:3]
	s_cbranch_execz .LBB268_27
; %bb.24:                               ;   in Loop: Header=BB268_5 Depth=1
	v_cmp_neq_f64_e32 vcc, 0, v[10:11]
	v_mov_b32_e32 v24, 0
	v_mov_b32_e32 v25, 0
	s_and_saveexec_b64 s[24:25], vcc
	s_cbranch_execz .LBB268_26
; %bb.25:                               ;   in Loop: Header=BB268_5 Depth=1
	v_div_scale_f64 v[24:25], s[30:31], v[28:29], v[28:29], v[26:27]
	v_rcp_f64_e32 v[30:31], v[24:25]
	v_fma_f64 v[43:44], -v[24:25], v[30:31], 1.0
	v_fma_f64 v[30:31], v[30:31], v[43:44], v[30:31]
	v_div_scale_f64 v[43:44], vcc, v[26:27], v[28:29], v[26:27]
	v_fma_f64 v[45:46], -v[24:25], v[30:31], 1.0
	v_fma_f64 v[30:31], v[30:31], v[45:46], v[30:31]
	v_mul_f64 v[45:46], v[43:44], v[30:31]
	v_fma_f64 v[24:25], -v[24:25], v[45:46], v[43:44]
	v_div_fmas_f64 v[24:25], v[24:25], v[30:31], v[45:46]
	v_div_fixup_f64 v[24:25], v[24:25], v[28:29], v[26:27]
	v_fma_f64 v[24:25], v[24:25], v[24:25], 1.0
	v_cmp_gt_f64_e32 vcc, s[20:21], v[24:25]
	v_cndmask_b32_e32 v26, 0, v57, vcc
	v_ldexp_f64 v[24:25], v[24:25], v26
	v_rsq_f64_e32 v[26:27], v[24:25]
	v_mul_f64 v[30:31], v[24:25], v[26:27]
	v_mul_f64 v[26:27], v[26:27], 0.5
	v_fma_f64 v[43:44], -v[26:27], v[30:31], 0.5
	v_fma_f64 v[30:31], v[30:31], v[43:44], v[30:31]
	v_fma_f64 v[26:27], v[26:27], v[43:44], v[26:27]
	v_fma_f64 v[43:44], -v[30:31], v[30:31], v[24:25]
	v_fma_f64 v[30:31], v[43:44], v[26:27], v[30:31]
	v_fma_f64 v[43:44], -v[30:31], v[30:31], v[24:25]
	v_fma_f64 v[26:27], v[43:44], v[26:27], v[30:31]
	v_cndmask_b32_e32 v30, 0, v58, vcc
	v_cmp_class_f64_e32 vcc, v[24:25], v34
	v_ldexp_f64 v[26:27], v[26:27], v30
	v_cndmask_b32_e32 v25, v27, v25, vcc
	v_cndmask_b32_e32 v24, v26, v24, vcc
	v_mul_f64 v[24:25], v[28:29], v[24:25]
.LBB268_26:                             ;   in Loop: Header=BB268_5 Depth=1
	s_or_b64 exec, exec, s[24:25]
                                        ; implicit-def: $vgpr26_vgpr27
                                        ; implicit-def: $vgpr28_vgpr29
.LBB268_27:                             ;   in Loop: Header=BB268_5 Depth=1
	s_andn2_saveexec_b64 s[2:3], s[2:3]
	s_cbranch_execz .LBB268_29
; %bb.28:                               ;   in Loop: Header=BB268_5 Depth=1
	v_div_scale_f64 v[24:25], s[24:25], v[26:27], v[26:27], v[28:29]
	v_rcp_f64_e32 v[30:31], v[24:25]
	v_fma_f64 v[43:44], -v[24:25], v[30:31], 1.0
	v_fma_f64 v[30:31], v[30:31], v[43:44], v[30:31]
	v_div_scale_f64 v[43:44], vcc, v[28:29], v[26:27], v[28:29]
	v_fma_f64 v[45:46], -v[24:25], v[30:31], 1.0
	v_fma_f64 v[30:31], v[30:31], v[45:46], v[30:31]
	v_mul_f64 v[45:46], v[43:44], v[30:31]
	v_fma_f64 v[24:25], -v[24:25], v[45:46], v[43:44]
	v_div_fmas_f64 v[24:25], v[24:25], v[30:31], v[45:46]
	v_div_fixup_f64 v[24:25], v[24:25], v[26:27], v[28:29]
	v_fma_f64 v[24:25], v[24:25], v[24:25], 1.0
	v_cmp_gt_f64_e32 vcc, s[20:21], v[24:25]
	v_cndmask_b32_e32 v28, 0, v57, vcc
	v_ldexp_f64 v[24:25], v[24:25], v28
	v_rsq_f64_e32 v[28:29], v[24:25]
	v_mul_f64 v[30:31], v[24:25], v[28:29]
	v_mul_f64 v[28:29], v[28:29], 0.5
	v_fma_f64 v[43:44], -v[28:29], v[30:31], 0.5
	v_fma_f64 v[30:31], v[30:31], v[43:44], v[30:31]
	v_fma_f64 v[28:29], v[28:29], v[43:44], v[28:29]
	v_fma_f64 v[43:44], -v[30:31], v[30:31], v[24:25]
	v_fma_f64 v[30:31], v[43:44], v[28:29], v[30:31]
	v_fma_f64 v[43:44], -v[30:31], v[30:31], v[24:25]
	v_fma_f64 v[28:29], v[43:44], v[28:29], v[30:31]
	v_cndmask_b32_e32 v30, 0, v58, vcc
	v_cmp_class_f64_e32 vcc, v[24:25], v34
	v_ldexp_f64 v[28:29], v[28:29], v30
	v_cndmask_b32_e32 v25, v29, v25, vcc
	v_cndmask_b32_e32 v24, v28, v24, vcc
	v_mul_f64 v[24:25], v[26:27], v[24:25]
.LBB268_29:                             ;   in Loop: Header=BB268_5 Depth=1
	s_or_b64 exec, exec, s[2:3]
	v_cmp_gt_f64_e32 vcc, 0, v[16:17]
	v_xor_b32_e32 v26, 0x80000000, v17
	v_xor_b32_e32 v28, 0x80000000, v19
                                        ; implicit-def: $vgpr30_vgpr31
	v_cndmask_b32_e32 v27, v17, v26, vcc
	v_cmp_gt_f64_e32 vcc, 0, v[18:19]
	v_mov_b32_e32 v26, v16
	v_cndmask_b32_e32 v29, v19, v28, vcc
	v_mov_b32_e32 v28, v18
	v_cmp_ngt_f64_e32 vcc, v[26:27], v[28:29]
	s_and_saveexec_b64 s[2:3], vcc
	s_xor_b64 s[2:3], exec, s[2:3]
	s_cbranch_execz .LBB268_33
; %bb.30:                               ;   in Loop: Header=BB268_5 Depth=1
	v_cmp_neq_f64_e32 vcc, 0, v[18:19]
	v_mov_b32_e32 v30, 0
	v_mov_b32_e32 v31, 0
	s_and_saveexec_b64 s[24:25], vcc
	s_cbranch_execz .LBB268_32
; %bb.31:                               ;   in Loop: Header=BB268_5 Depth=1
	v_div_scale_f64 v[30:31], s[30:31], v[28:29], v[28:29], v[26:27]
	v_rcp_f64_e32 v[43:44], v[30:31]
	v_fma_f64 v[45:46], -v[30:31], v[43:44], 1.0
	v_fma_f64 v[43:44], v[43:44], v[45:46], v[43:44]
	v_div_scale_f64 v[45:46], vcc, v[26:27], v[28:29], v[26:27]
	v_fma_f64 v[47:48], -v[30:31], v[43:44], 1.0
	v_fma_f64 v[43:44], v[43:44], v[47:48], v[43:44]
	v_mul_f64 v[47:48], v[45:46], v[43:44]
	v_fma_f64 v[30:31], -v[30:31], v[47:48], v[45:46]
	v_div_fmas_f64 v[30:31], v[30:31], v[43:44], v[47:48]
	v_div_fixup_f64 v[26:27], v[30:31], v[28:29], v[26:27]
	v_fma_f64 v[26:27], v[26:27], v[26:27], 1.0
	v_cmp_gt_f64_e32 vcc, s[20:21], v[26:27]
	v_cndmask_b32_e32 v30, 0, v57, vcc
	v_ldexp_f64 v[26:27], v[26:27], v30
	v_cndmask_b32_e32 v38, 0, v58, vcc
	v_rsq_f64_e32 v[30:31], v[26:27]
	v_cmp_class_f64_e32 vcc, v[26:27], v34
	v_mul_f64 v[43:44], v[26:27], v[30:31]
	v_mul_f64 v[30:31], v[30:31], 0.5
	v_fma_f64 v[45:46], -v[30:31], v[43:44], 0.5
	v_fma_f64 v[43:44], v[43:44], v[45:46], v[43:44]
	v_fma_f64 v[30:31], v[30:31], v[45:46], v[30:31]
	v_fma_f64 v[45:46], -v[43:44], v[43:44], v[26:27]
	v_fma_f64 v[43:44], v[45:46], v[30:31], v[43:44]
	v_fma_f64 v[45:46], -v[43:44], v[43:44], v[26:27]
	v_fma_f64 v[30:31], v[45:46], v[30:31], v[43:44]
	v_ldexp_f64 v[30:31], v[30:31], v38
	v_cndmask_b32_e32 v27, v31, v27, vcc
	v_cndmask_b32_e32 v26, v30, v26, vcc
	v_mul_f64 v[30:31], v[28:29], v[26:27]
.LBB268_32:                             ;   in Loop: Header=BB268_5 Depth=1
	s_or_b64 exec, exec, s[24:25]
                                        ; implicit-def: $vgpr26_vgpr27
                                        ; implicit-def: $vgpr28_vgpr29
.LBB268_33:                             ;   in Loop: Header=BB268_5 Depth=1
	s_andn2_saveexec_b64 s[2:3], s[2:3]
	s_cbranch_execz .LBB268_35
; %bb.34:                               ;   in Loop: Header=BB268_5 Depth=1
	v_div_scale_f64 v[30:31], s[24:25], v[26:27], v[26:27], v[28:29]
	v_rcp_f64_e32 v[43:44], v[30:31]
	v_fma_f64 v[45:46], -v[30:31], v[43:44], 1.0
	v_fma_f64 v[43:44], v[43:44], v[45:46], v[43:44]
	v_div_scale_f64 v[45:46], vcc, v[28:29], v[26:27], v[28:29]
	v_fma_f64 v[47:48], -v[30:31], v[43:44], 1.0
	v_fma_f64 v[43:44], v[43:44], v[47:48], v[43:44]
	v_mul_f64 v[47:48], v[45:46], v[43:44]
	v_fma_f64 v[30:31], -v[30:31], v[47:48], v[45:46]
	v_div_fmas_f64 v[30:31], v[30:31], v[43:44], v[47:48]
	v_div_fixup_f64 v[28:29], v[30:31], v[26:27], v[28:29]
	v_fma_f64 v[28:29], v[28:29], v[28:29], 1.0
	v_cmp_gt_f64_e32 vcc, s[20:21], v[28:29]
	v_cndmask_b32_e32 v30, 0, v57, vcc
	v_ldexp_f64 v[28:29], v[28:29], v30
	v_cndmask_b32_e32 v38, 0, v58, vcc
	v_rsq_f64_e32 v[30:31], v[28:29]
	v_cmp_class_f64_e32 vcc, v[28:29], v34
	v_mul_f64 v[43:44], v[28:29], v[30:31]
	v_mul_f64 v[30:31], v[30:31], 0.5
	v_fma_f64 v[45:46], -v[30:31], v[43:44], 0.5
	v_fma_f64 v[43:44], v[43:44], v[45:46], v[43:44]
	v_fma_f64 v[30:31], v[30:31], v[45:46], v[30:31]
	v_fma_f64 v[45:46], -v[43:44], v[43:44], v[28:29]
	v_fma_f64 v[43:44], v[45:46], v[30:31], v[43:44]
	v_fma_f64 v[45:46], -v[43:44], v[43:44], v[28:29]
	v_fma_f64 v[30:31], v[45:46], v[30:31], v[43:44]
	v_ldexp_f64 v[30:31], v[30:31], v38
	v_cndmask_b32_e32 v29, v31, v29, vcc
	v_cndmask_b32_e32 v28, v30, v28, vcc
	v_mul_f64 v[30:31], v[26:27], v[28:29]
.LBB268_35:                             ;   in Loop: Header=BB268_5 Depth=1
	s_or_b64 exec, exec, s[2:3]
	v_cmp_gt_f64_e32 vcc, 0, v[4:5]
	v_xor_b32_e32 v26, 0x80000000, v5
	v_xor_b32_e32 v28, 0x80000000, v7
                                        ; implicit-def: $vgpr43_vgpr44
	v_cndmask_b32_e32 v27, v5, v26, vcc
	v_cmp_gt_f64_e32 vcc, 0, v[6:7]
	v_mov_b32_e32 v26, v4
	v_cndmask_b32_e32 v29, v7, v28, vcc
	v_mov_b32_e32 v28, v6
	v_cmp_ngt_f64_e32 vcc, v[26:27], v[28:29]
	s_and_saveexec_b64 s[2:3], vcc
	s_xor_b64 s[2:3], exec, s[2:3]
	s_cbranch_execz .LBB268_39
; %bb.36:                               ;   in Loop: Header=BB268_5 Depth=1
	v_cmp_neq_f64_e32 vcc, 0, v[6:7]
	v_mov_b32_e32 v43, 0
	v_mov_b32_e32 v44, 0
	s_and_saveexec_b64 s[24:25], vcc
	s_cbranch_execz .LBB268_38
; %bb.37:                               ;   in Loop: Header=BB268_5 Depth=1
	v_div_scale_f64 v[43:44], s[30:31], v[28:29], v[28:29], v[26:27]
	v_rcp_f64_e32 v[45:46], v[43:44]
	v_fma_f64 v[47:48], -v[43:44], v[45:46], 1.0
	v_fma_f64 v[45:46], v[45:46], v[47:48], v[45:46]
	v_div_scale_f64 v[47:48], vcc, v[26:27], v[28:29], v[26:27]
	v_fma_f64 v[49:50], -v[43:44], v[45:46], 1.0
	v_fma_f64 v[45:46], v[45:46], v[49:50], v[45:46]
	v_mul_f64 v[49:50], v[47:48], v[45:46]
	v_fma_f64 v[43:44], -v[43:44], v[49:50], v[47:48]
	v_div_fmas_f64 v[43:44], v[43:44], v[45:46], v[49:50]
	v_div_fixup_f64 v[26:27], v[43:44], v[28:29], v[26:27]
	v_fma_f64 v[26:27], v[26:27], v[26:27], 1.0
	v_cmp_gt_f64_e32 vcc, s[20:21], v[26:27]
	v_cndmask_b32_e32 v38, 0, v57, vcc
	v_ldexp_f64 v[26:27], v[26:27], v38
	v_cndmask_b32_e32 v38, 0, v58, vcc
	v_rsq_f64_e32 v[43:44], v[26:27]
	v_cmp_class_f64_e32 vcc, v[26:27], v34
	v_mul_f64 v[45:46], v[26:27], v[43:44]
	v_mul_f64 v[43:44], v[43:44], 0.5
	v_fma_f64 v[47:48], -v[43:44], v[45:46], 0.5
	v_fma_f64 v[45:46], v[45:46], v[47:48], v[45:46]
	v_fma_f64 v[43:44], v[43:44], v[47:48], v[43:44]
	v_fma_f64 v[47:48], -v[45:46], v[45:46], v[26:27]
	v_fma_f64 v[45:46], v[47:48], v[43:44], v[45:46]
	v_fma_f64 v[47:48], -v[45:46], v[45:46], v[26:27]
	v_fma_f64 v[43:44], v[47:48], v[43:44], v[45:46]
	v_ldexp_f64 v[43:44], v[43:44], v38
	v_cndmask_b32_e32 v27, v44, v27, vcc
	v_cndmask_b32_e32 v26, v43, v26, vcc
	v_mul_f64 v[43:44], v[28:29], v[26:27]
.LBB268_38:                             ;   in Loop: Header=BB268_5 Depth=1
	s_or_b64 exec, exec, s[24:25]
                                        ; implicit-def: $vgpr26_vgpr27
                                        ; implicit-def: $vgpr28_vgpr29
.LBB268_39:                             ;   in Loop: Header=BB268_5 Depth=1
	s_andn2_saveexec_b64 s[2:3], s[2:3]
	s_cbranch_execz .LBB268_41
; %bb.40:                               ;   in Loop: Header=BB268_5 Depth=1
	v_div_scale_f64 v[43:44], s[24:25], v[26:27], v[26:27], v[28:29]
	v_rcp_f64_e32 v[45:46], v[43:44]
	v_fma_f64 v[47:48], -v[43:44], v[45:46], 1.0
	v_fma_f64 v[45:46], v[45:46], v[47:48], v[45:46]
	v_div_scale_f64 v[47:48], vcc, v[28:29], v[26:27], v[28:29]
	v_fma_f64 v[49:50], -v[43:44], v[45:46], 1.0
	v_fma_f64 v[45:46], v[45:46], v[49:50], v[45:46]
	v_mul_f64 v[49:50], v[47:48], v[45:46]
	v_fma_f64 v[43:44], -v[43:44], v[49:50], v[47:48]
	v_div_fmas_f64 v[43:44], v[43:44], v[45:46], v[49:50]
	v_div_fixup_f64 v[28:29], v[43:44], v[26:27], v[28:29]
	v_fma_f64 v[28:29], v[28:29], v[28:29], 1.0
	v_cmp_gt_f64_e32 vcc, s[20:21], v[28:29]
	v_cndmask_b32_e32 v38, 0, v57, vcc
	v_ldexp_f64 v[28:29], v[28:29], v38
	v_cndmask_b32_e32 v38, 0, v58, vcc
	v_rsq_f64_e32 v[43:44], v[28:29]
	v_cmp_class_f64_e32 vcc, v[28:29], v34
	v_mul_f64 v[45:46], v[28:29], v[43:44]
	v_mul_f64 v[43:44], v[43:44], 0.5
	v_fma_f64 v[47:48], -v[43:44], v[45:46], 0.5
	v_fma_f64 v[45:46], v[45:46], v[47:48], v[45:46]
	v_fma_f64 v[43:44], v[43:44], v[47:48], v[43:44]
	v_fma_f64 v[47:48], -v[45:46], v[45:46], v[28:29]
	v_fma_f64 v[45:46], v[47:48], v[43:44], v[45:46]
	v_fma_f64 v[47:48], -v[45:46], v[45:46], v[28:29]
	v_fma_f64 v[43:44], v[47:48], v[43:44], v[45:46]
	v_ldexp_f64 v[43:44], v[43:44], v38
	v_cndmask_b32_e32 v29, v44, v29, vcc
	v_cndmask_b32_e32 v28, v43, v28, vcc
	v_mul_f64 v[43:44], v[26:27], v[28:29]
.LBB268_41:                             ;   in Loop: Header=BB268_5 Depth=1
	s_or_b64 exec, exec, s[2:3]
	v_mul_f64 v[26:27], v[10:11], -v[2:3]
	v_mul_f64 v[28:29], v[10:11], v[0:1]
                                        ; implicit-def: $vgpr49_vgpr50
	v_fma_f64 v[26:27], v[0:1], v[8:9], v[26:27]
	v_fma_f64 v[28:29], v[2:3], v[8:9], v[28:29]
	v_cmp_gt_f64_e32 vcc, 0, v[26:27]
	v_xor_b32_e32 v38, 0x80000000, v27
	v_xor_b32_e32 v47, 0x80000000, v29
	v_mov_b32_e32 v45, v26
	v_cndmask_b32_e32 v46, v27, v38, vcc
	v_cmp_gt_f64_e32 vcc, 0, v[28:29]
	v_cndmask_b32_e32 v48, v29, v47, vcc
	v_mov_b32_e32 v47, v28
	v_cmp_ngt_f64_e32 vcc, v[45:46], v[47:48]
	s_and_saveexec_b64 s[2:3], vcc
	s_xor_b64 s[2:3], exec, s[2:3]
	s_cbranch_execz .LBB268_45
; %bb.42:                               ;   in Loop: Header=BB268_5 Depth=1
	v_cmp_neq_f64_e32 vcc, 0, v[28:29]
	v_mov_b32_e32 v49, 0
	v_mov_b32_e32 v50, 0
	s_and_saveexec_b64 s[24:25], vcc
	s_cbranch_execz .LBB268_44
; %bb.43:                               ;   in Loop: Header=BB268_5 Depth=1
	v_div_scale_f64 v[49:50], s[30:31], v[47:48], v[47:48], v[45:46]
	v_rcp_f64_e32 v[51:52], v[49:50]
	v_fma_f64 v[53:54], -v[49:50], v[51:52], 1.0
	v_fma_f64 v[51:52], v[51:52], v[53:54], v[51:52]
	v_div_scale_f64 v[53:54], vcc, v[45:46], v[47:48], v[45:46]
	v_fma_f64 v[59:60], -v[49:50], v[51:52], 1.0
	v_fma_f64 v[51:52], v[51:52], v[59:60], v[51:52]
	v_mul_f64 v[59:60], v[53:54], v[51:52]
	v_fma_f64 v[49:50], -v[49:50], v[59:60], v[53:54]
	v_div_fmas_f64 v[49:50], v[49:50], v[51:52], v[59:60]
	v_div_fixup_f64 v[45:46], v[49:50], v[47:48], v[45:46]
	v_fma_f64 v[45:46], v[45:46], v[45:46], 1.0
	v_cmp_gt_f64_e32 vcc, s[20:21], v[45:46]
	v_cndmask_b32_e32 v38, 0, v57, vcc
	v_ldexp_f64 v[45:46], v[45:46], v38
	v_cndmask_b32_e32 v38, 0, v58, vcc
	v_rsq_f64_e32 v[49:50], v[45:46]
	v_cmp_class_f64_e32 vcc, v[45:46], v34
	v_mul_f64 v[51:52], v[45:46], v[49:50]
	v_mul_f64 v[49:50], v[49:50], 0.5
	v_fma_f64 v[53:54], -v[49:50], v[51:52], 0.5
	v_fma_f64 v[51:52], v[51:52], v[53:54], v[51:52]
	v_fma_f64 v[49:50], v[49:50], v[53:54], v[49:50]
	v_fma_f64 v[53:54], -v[51:52], v[51:52], v[45:46]
	v_fma_f64 v[51:52], v[53:54], v[49:50], v[51:52]
	v_fma_f64 v[53:54], -v[51:52], v[51:52], v[45:46]
	v_fma_f64 v[49:50], v[53:54], v[49:50], v[51:52]
	v_ldexp_f64 v[49:50], v[49:50], v38
	v_cndmask_b32_e32 v46, v50, v46, vcc
	v_cndmask_b32_e32 v45, v49, v45, vcc
	v_mul_f64 v[49:50], v[47:48], v[45:46]
.LBB268_44:                             ;   in Loop: Header=BB268_5 Depth=1
	s_or_b64 exec, exec, s[24:25]
                                        ; implicit-def: $vgpr45_vgpr46
                                        ; implicit-def: $vgpr47_vgpr48
.LBB268_45:                             ;   in Loop: Header=BB268_5 Depth=1
	s_andn2_saveexec_b64 s[2:3], s[2:3]
	s_cbranch_execz .LBB268_47
; %bb.46:                               ;   in Loop: Header=BB268_5 Depth=1
	v_div_scale_f64 v[49:50], s[24:25], v[45:46], v[45:46], v[47:48]
	v_rcp_f64_e32 v[51:52], v[49:50]
	v_fma_f64 v[53:54], -v[49:50], v[51:52], 1.0
	v_fma_f64 v[51:52], v[51:52], v[53:54], v[51:52]
	v_div_scale_f64 v[53:54], vcc, v[47:48], v[45:46], v[47:48]
	v_fma_f64 v[59:60], -v[49:50], v[51:52], 1.0
	v_fma_f64 v[51:52], v[51:52], v[59:60], v[51:52]
	v_mul_f64 v[59:60], v[53:54], v[51:52]
	v_fma_f64 v[49:50], -v[49:50], v[59:60], v[53:54]
	v_div_fmas_f64 v[49:50], v[49:50], v[51:52], v[59:60]
	v_div_fixup_f64 v[47:48], v[49:50], v[45:46], v[47:48]
	v_fma_f64 v[47:48], v[47:48], v[47:48], 1.0
	v_cmp_gt_f64_e32 vcc, s[20:21], v[47:48]
	v_cndmask_b32_e32 v38, 0, v57, vcc
	v_ldexp_f64 v[47:48], v[47:48], v38
	v_cndmask_b32_e32 v38, 0, v58, vcc
	v_rsq_f64_e32 v[49:50], v[47:48]
	v_cmp_class_f64_e32 vcc, v[47:48], v34
	v_mul_f64 v[51:52], v[47:48], v[49:50]
	v_mul_f64 v[49:50], v[49:50], 0.5
	v_fma_f64 v[53:54], -v[49:50], v[51:52], 0.5
	v_fma_f64 v[51:52], v[51:52], v[53:54], v[51:52]
	v_fma_f64 v[49:50], v[49:50], v[53:54], v[49:50]
	v_fma_f64 v[53:54], -v[51:52], v[51:52], v[47:48]
	v_fma_f64 v[51:52], v[53:54], v[49:50], v[51:52]
	v_fma_f64 v[53:54], -v[51:52], v[51:52], v[47:48]
	v_fma_f64 v[49:50], v[53:54], v[49:50], v[51:52]
	v_ldexp_f64 v[49:50], v[49:50], v38
	v_cndmask_b32_e32 v48, v50, v48, vcc
	v_cndmask_b32_e32 v47, v49, v47, vcc
	v_mul_f64 v[49:50], v[45:46], v[47:48]
.LBB268_47:                             ;   in Loop: Header=BB268_5 Depth=1
	s_or_b64 exec, exec, s[2:3]
	v_cmp_ngt_f64_e32 vcc, 0, v[20:21]
	v_cmp_ne_u32_e64 s[2:3], s26, v37
	v_cndmask_b32_e32 v21, 0, v21, vcc
	v_cndmask_b32_e32 v20, 0, v20, vcc
	v_cmp_lt_f64_e32 vcc, v[22:23], v[20:21]
	v_cndmask_b32_e32 v21, v23, v21, vcc
	v_cndmask_b32_e32 v20, v22, v20, vcc
	v_cmp_lt_f64_e32 vcc, v[24:25], v[20:21]
	v_mul_f64 v[22:23], v[49:50], s[22:23]
	v_cndmask_b32_e32 v21, v25, v21, vcc
	v_cndmask_b32_e32 v20, v24, v20, vcc
	v_cmp_lt_f64_e32 vcc, v[30:31], v[20:21]
	v_cndmask_b32_e32 v21, v31, v21, vcc
	v_cndmask_b32_e32 v20, v30, v20, vcc
	v_mul_f64 v[20:21], v[20:21], v[43:44]
	v_cmp_nge_f64_e32 vcc, v[20:21], v[22:23]
	s_and_b64 s[2:3], s[2:3], vcc
	s_and_saveexec_b64 s[24:25], s[2:3]
	s_xor_b64 s[24:25], exec, s[24:25]
	s_cbranch_execz .LBB268_51
; %bb.48:                               ;   in Loop: Header=BB268_5 Depth=1
	v_mul_f64 v[20:21], v[4:5], v[14:15]
	v_mul_f64 v[22:23], v[14:15], -v[6:7]
	v_ashrrev_i32_e32 v38, 31, v37
	v_add_u32_e32 v43, v33, v37
	v_ashrrev_i32_e32 v44, 31, v43
	v_lshlrev_b64 v[45:46], 4, v[43:44]
	v_mov_b32_e32 v48, s11
	v_fma_f64 v[20:21], v[6:7], v[12:13], v[20:21]
	v_fma_f64 v[22:23], v[4:5], v[12:13], v[22:23]
	v_add_f64 v[28:29], v[20:21], -v[28:29]
	v_add_f64 v[30:31], v[22:23], -v[26:27]
	v_mul_f64 v[20:21], v[28:29], v[28:29]
	v_fma_f64 v[49:50], v[30:31], v[30:31], v[20:21]
	v_div_scale_f64 v[24:25], s[2:3], v[49:50], v[49:50], 1.0
	v_div_scale_f64 v[26:27], vcc, 1.0, v[49:50], 1.0
	v_rcp_f64_e32 v[20:21], v[24:25]
	v_fma_f64 v[22:23], -v[24:25], v[20:21], 1.0
	v_fma_f64 v[20:21], v[20:21], v[22:23], v[20:21]
	v_fma_f64 v[22:23], -v[24:25], v[20:21], 1.0
	v_fma_f64 v[51:52], v[20:21], v[22:23], v[20:21]
	v_lshlrev_b64 v[20:21], 4, v[37:38]
	v_mov_b32_e32 v38, s13
	v_add_co_u32_e64 v59, s[2:3], v35, v20
	v_addc_co_u32_e64 v60, s[2:3], v36, v21, s[2:3]
	v_add_co_u32_e64 v47, s[2:3], s10, v45
	v_mul_f64 v[53:54], v[26:27], v[51:52]
	v_addc_co_u32_e64 v48, s[2:3], v48, v46, s[2:3]
	global_load_dwordx4 v[20:23], v[59:60], off
	v_fma_f64 v[24:25], -v[24:25], v[53:54], v[26:27]
	v_div_fmas_f64 v[51:52], v[24:25], v[51:52], v[53:54]
	global_load_dwordx4 v[24:27], v[47:48], off
	v_fma_f64 v[53:54], v[30:31], 0, -v[28:29]
	v_fma_f64 v[28:29], v[28:29], 0, v[30:31]
	v_add_co_u32_e32 v63, vcc, s12, v41
	v_addc_co_u32_e32 v64, vcc, v38, v42, vcc
	v_mov_b32_e32 v38, s15
	v_div_fixup_f64 v[49:50], v[51:52], v[49:50], 1.0
	s_waitcnt vmcnt(1)
	v_mul_f64 v[30:31], v[12:13], v[22:23]
	v_mul_f64 v[51:52], v[22:23], -v[14:15]
	v_fma_f64 v[30:31], v[14:15], v[20:21], v[30:31]
	v_fma_f64 v[51:52], v[12:13], v[20:21], v[51:52]
	s_waitcnt vmcnt(0)
	v_mul_f64 v[61:62], v[8:9], v[26:27]
	v_fma_f64 v[61:62], v[10:11], v[24:25], v[61:62]
	v_add_f64 v[30:31], v[30:31], -v[61:62]
	v_mul_f64 v[61:62], v[26:27], -v[10:11]
	v_fma_f64 v[61:62], v[8:9], v[24:25], v[61:62]
	v_add_f64 v[61:62], v[51:52], -v[61:62]
	v_mul_f64 v[51:52], v[53:54], v[49:50]
	v_mul_f64 v[49:50], v[28:29], v[49:50]
	v_mul_f64 v[28:29], v[51:52], -v[30:31]
	v_mul_f64 v[53:54], v[51:52], v[61:62]
	v_fma_f64 v[28:29], v[61:62], v[49:50], v[28:29]
	v_fma_f64 v[30:31], v[30:31], v[49:50], v[53:54]
	global_store_dwordx4 v[59:60], v[28:31], off
	global_load_dwordx4 v[28:31], v[63:64], off
	s_waitcnt vmcnt(0)
	v_mul_f64 v[53:54], v[30:31], -v[14:15]
	v_fma_f64 v[59:60], v[12:13], v[28:29], v[53:54]
	v_mul_f64 v[12:13], v[12:13], v[30:31]
	v_add_co_u32_e32 v53, vcc, s12, v45
	v_fma_f64 v[61:62], v[14:15], v[28:29], v[12:13]
	v_mov_b32_e32 v12, s13
	v_addc_co_u32_e32 v54, vcc, v12, v46, vcc
	global_load_dwordx4 v[12:15], v[53:54], off
	v_add_co_u32_e32 v41, vcc, s14, v41
	v_addc_co_u32_e32 v42, vcc, v38, v42, vcc
	v_lshlrev_b64 v[38:39], 2, v[39:40]
	v_mov_b32_e32 v40, s7
	v_add_co_u32_e32 v38, vcc, s6, v38
	v_addc_co_u32_e32 v39, vcc, v40, v39, vcc
	s_waitcnt vmcnt(0)
	v_mul_f64 v[65:66], v[8:9], v[14:15]
	v_fma_f64 v[65:66], v[10:11], v[12:13], v[65:66]
	v_add_f64 v[61:62], v[61:62], -v[65:66]
	v_mul_f64 v[65:66], v[14:15], -v[10:11]
	v_fma_f64 v[65:66], v[8:9], v[12:13], v[65:66]
	v_add_f64 v[59:60], v[59:60], -v[65:66]
	v_mul_f64 v[65:66], v[51:52], -v[61:62]
	v_mul_f64 v[67:68], v[51:52], v[59:60]
	v_fma_f64 v[59:60], v[59:60], v[49:50], v[65:66]
	v_fma_f64 v[61:62], v[61:62], v[49:50], v[67:68]
	global_store_dwordx4 v[63:64], v[59:62], off
	s_nop 0
	v_mul_f64 v[59:60], v[18:19], -v[8:9]
	v_fma_f64 v[59:60], -v[10:11], v[16:17], v[59:60]
	v_mul_f64 v[10:11], v[10:11], v[18:19]
	v_fma_f64 v[8:9], -v[8:9], v[16:17], v[10:11]
	v_mul_f64 v[10:11], v[51:52], -v[59:60]
	v_mul_f64 v[61:62], v[51:52], v[8:9]
	v_fma_f64 v[8:9], v[8:9], v[49:50], v[10:11]
	v_fma_f64 v[10:11], v[59:60], v[49:50], v[61:62]
	global_store_dwordx4 v[41:42], v[8:11], off
	global_store_dword v[38:39], v55, off
	s_and_saveexec_b64 s[2:3], s[0:1]
	s_cbranch_execz .LBB268_50
; %bb.49:                               ;   in Loop: Header=BB268_5 Depth=1
	v_mul_f64 v[8:9], v[2:3], v[22:23]
	v_mul_f64 v[10:11], v[22:23], -v[0:1]
	v_mul_f64 v[22:23], v[26:27], -v[6:7]
	v_mul_f64 v[26:27], v[4:5], v[26:27]
	v_mul_f64 v[38:39], v[2:3], v[30:31]
	v_mul_f64 v[30:31], v[30:31], -v[0:1]
	v_mul_f64 v[40:41], v[4:5], v[14:15]
	v_mul_f64 v[14:15], v[14:15], -v[6:7]
	v_fma_f64 v[8:9], -v[0:1], v[20:21], v[8:9]
	v_fma_f64 v[10:11], -v[2:3], v[20:21], v[10:11]
	v_fma_f64 v[20:21], v[4:5], v[24:25], v[22:23]
	v_fma_f64 v[22:23], v[6:7], v[24:25], v[26:27]
	v_fma_f64 v[0:1], -v[0:1], v[28:29], v[38:39]
	v_fma_f64 v[2:3], -v[2:3], v[28:29], v[30:31]
	v_fma_f64 v[24:25], v[6:7], v[12:13], v[40:41]
	v_fma_f64 v[12:13], v[4:5], v[12:13], v[14:15]
	v_mul_f64 v[14:15], v[4:5], v[18:19]
	v_mul_f64 v[18:19], v[18:19], -v[6:7]
	v_add_f64 v[8:9], v[8:9], v[20:21]
	v_add_f64 v[10:11], v[10:11], v[22:23]
	;; [unrolled: 1-line block ×4, first 2 shown]
	v_fma_f64 v[14:15], v[6:7], v[16:17], v[14:15]
	v_fma_f64 v[16:17], v[4:5], v[16:17], v[18:19]
	v_mul_f64 v[2:3], v[51:52], v[8:9]
	v_mul_f64 v[0:1], v[51:52], -v[10:11]
	v_mul_f64 v[4:5], v[51:52], -v[20:21]
	v_mul_f64 v[6:7], v[51:52], v[12:13]
	v_mul_f64 v[18:19], v[51:52], -v[14:15]
	v_mul_f64 v[22:23], v[51:52], v[16:17]
	v_fma_f64 v[2:3], v[10:11], v[49:50], v[2:3]
	v_fma_f64 v[0:1], v[8:9], v[49:50], v[0:1]
	v_fma_f64 v[4:5], v[12:13], v[49:50], v[4:5]
	v_fma_f64 v[6:7], v[20:21], v[49:50], v[6:7]
	v_fma_f64 v[8:9], v[16:17], v[49:50], v[18:19]
	v_fma_f64 v[10:11], v[14:15], v[49:50], v[22:23]
	v_mov_b32_e32 v12, s15
	global_store_dwordx4 v[47:48], v[0:3], off
	global_store_dwordx4 v[53:54], v[4:7], off
	v_add_co_u32_e32 v0, vcc, s14, v45
	v_addc_co_u32_e32 v1, vcc, v12, v46, vcc
	global_store_dwordx4 v[0:1], v[8:11], off
	v_lshlrev_b64 v[0:1], 2, v[43:44]
	v_mov_b32_e32 v2, s7
	v_add_co_u32_e32 v0, vcc, s6, v0
	v_addc_co_u32_e32 v1, vcc, v2, v1, vcc
	global_store_dword v[0:1], v55, off
.LBB268_50:                             ;   in Loop: Header=BB268_5 Depth=1
	s_or_b64 exec, exec, s[2:3]
                                        ; implicit-def: $vgpr6_vgpr7
                                        ; implicit-def: $vgpr0_vgpr1
                                        ; implicit-def: $vgpr12_vgpr13
                                        ; implicit-def: $vgpr26_vgpr27
                                        ; implicit-def: $vgpr28_vgpr29
                                        ; implicit-def: $vgpr39_vgpr40
                                        ; implicit-def: $vgpr41_vgpr42
                                        ; implicit-def: $vgpr10_vgpr11
.LBB268_51:                             ;   in Loop: Header=BB268_5 Depth=1
	s_or_saveexec_b64 s[2:3], s[24:25]
	v_mov_b32_e32 v16, 0
	v_mov_b32_e32 v18, 0
	;; [unrolled: 1-line block ×5, first 2 shown]
	s_xor_b64 exec, exec, s[2:3]
	s_cbranch_execz .LBB268_4
; %bb.52:                               ;   in Loop: Header=BB268_5 Depth=1
	v_mul_f64 v[16:17], v[6:7], v[6:7]
	v_ashrrev_i32_e32 v38, 31, v37
	v_mov_b32_e32 v20, s13
	v_mov_b32_e32 v59, s15
	v_fma_f64 v[24:25], v[4:5], v[4:5], v[16:17]
	v_lshlrev_b64 v[16:17], 4, v[37:38]
	v_lshlrev_b64 v[38:39], 2, v[39:40]
	v_add_co_u32_e32 v47, vcc, v35, v16
	v_addc_co_u32_e32 v48, vcc, v36, v17, vcc
	v_add_co_u32_e32 v49, vcc, s12, v41
	v_div_scale_f64 v[30:31], s[24:25], v[24:25], v[24:25], 1.0
	global_load_dwordx4 v[16:19], v[47:48], off
	v_addc_co_u32_e32 v50, vcc, v20, v42, vcc
	global_load_dwordx4 v[20:23], v[49:50], off
	v_mov_b32_e32 v40, s7
	v_rcp_f64_e32 v[43:44], v[30:31]
	v_fma_f64 v[45:46], -v[30:31], v[43:44], 1.0
	v_fma_f64 v[43:44], v[43:44], v[45:46], v[43:44]
	v_div_scale_f64 v[45:46], vcc, 1.0, v[24:25], 1.0
	v_fma_f64 v[51:52], -v[30:31], v[43:44], 1.0
	v_fma_f64 v[43:44], v[43:44], v[51:52], v[43:44]
	v_mul_f64 v[51:52], v[45:46], v[43:44]
	v_fma_f64 v[30:31], -v[30:31], v[51:52], v[45:46]
	v_div_fmas_f64 v[30:31], v[30:31], v[43:44], v[51:52]
	v_fma_f64 v[43:44], v[4:5], 0, -v[6:7]
	v_fma_f64 v[6:7], v[6:7], 0, v[4:5]
	v_div_fixup_f64 v[24:25], v[30:31], v[24:25], 1.0
	v_mul_f64 v[4:5], v[43:44], v[24:25]
	v_mul_f64 v[6:7], v[6:7], v[24:25]
	s_waitcnt vmcnt(1)
	v_mul_f64 v[43:44], v[4:5], -v[18:19]
	v_mul_f64 v[45:46], v[4:5], v[16:17]
	s_waitcnt vmcnt(0)
	v_mul_f64 v[51:52], v[4:5], -v[22:23]
	v_mul_f64 v[53:54], v[4:5], v[20:21]
	v_mul_f64 v[24:25], v[4:5], -v[10:11]
	v_mul_f64 v[30:31], v[4:5], v[8:9]
	v_fma_f64 v[43:44], v[16:17], v[6:7], v[43:44]
	v_fma_f64 v[45:46], v[18:19], v[6:7], v[45:46]
	;; [unrolled: 1-line block ×6, first 2 shown]
	v_add_co_u32_e32 v24, vcc, s14, v41
	v_addc_co_u32_e32 v25, vcc, v59, v42, vcc
	v_add_co_u32_e32 v30, vcc, s6, v38
	v_addc_co_u32_e32 v31, vcc, v40, v39, vcc
	global_store_dwordx4 v[47:48], v[43:46], off
	global_store_dwordx4 v[49:50], v[20:23], off
	;; [unrolled: 1-line block ×3, first 2 shown]
	global_store_dword v[30:31], v56, off
	s_and_saveexec_b64 s[24:25], s[0:1]
	s_cbranch_execz .LBB268_3
; %bb.53:                               ;   in Loop: Header=BB268_5 Depth=1
	v_add_u32_e32 v8, v33, v37
	v_ashrrev_i32_e32 v9, 31, v8
	v_lshlrev_b64 v[8:9], 4, v[8:9]
	v_mov_b32_e32 v10, s11
	v_add_co_u32_e32 v20, vcc, s10, v8
	v_addc_co_u32_e32 v21, vcc, v10, v9, vcc
	global_load_dwordx4 v[8:11], v[20:21], off
	v_mul_f64 v[22:23], v[4:5], v[0:1]
	v_mul_f64 v[24:25], v[4:5], -v[2:3]
	v_fma_f64 v[2:3], v[2:3], v[6:7], v[22:23]
	v_fma_f64 v[0:1], v[0:1], v[6:7], v[24:25]
	v_mul_f64 v[22:23], v[2:3], v[18:19]
	v_mul_f64 v[18:19], v[18:19], -v[0:1]
	v_fma_f64 v[0:1], -v[0:1], v[16:17], v[22:23]
	v_fma_f64 v[2:3], -v[2:3], v[16:17], v[18:19]
	s_waitcnt vmcnt(0)
	v_add_f64 v[0:1], v[0:1], v[8:9]
	v_add_f64 v[2:3], v[2:3], v[10:11]
	global_store_dwordx4 v[20:21], v[0:3], off
	s_branch .LBB268_3
.LBB268_54:
	s_or_b64 exec, exec, s[18:19]
.LBB268_55:
	v_subrev_u32_e32 v2, s26, v37
	v_add_u32_e32 v0, v2, v32
	v_ashrrev_i32_e32 v1, 31, v0
	v_lshlrev_b64 v[0:1], 2, v[0:1]
	s_waitcnt lgkmcnt(0)
	v_mov_b32_e32 v3, s7
	v_add_co_u32_e32 v0, vcc, s6, v0
	v_addc_co_u32_e32 v1, vcc, v3, v1, vcc
	s_waitcnt vmcnt(0)
	buffer_wbinvl1_vol
	global_load_dword v0, v[0:1], off
	s_waitcnt vmcnt(0)
	v_mul_lo_u32 v0, v0, s26
	v_sub_u32_e32 v4, v2, v0
	v_cmp_lt_i32_e32 vcc, -1, v4
	s_and_b64 exec, exec, vcc
	s_cbranch_execz .LBB268_62
; %bb.56:
	v_subrev_u32_e32 v14, s26, v32
	s_and_b32 s4, s27, -2
	s_mov_b64 s[0:1], 0
	v_mov_b32_e32 v15, s7
	v_mov_b32_e32 v16, s15
	s_branch .LBB268_58
.LBB268_57:                             ;   in Loop: Header=BB268_58 Depth=1
	s_or_b64 exec, exec, s[2:3]
	s_waitcnt vmcnt(0)
	v_lshlrev_b64 v[0:1], 4, v[6:7]
	v_mov_b32_e32 v2, s13
	v_add_co_u32_e32 v6, vcc, s12, v0
	v_addc_co_u32_e32 v7, vcc, v2, v1, vcc
	global_load_dwordx4 v[0:3], v[6:7], off
	v_sub_u32_e32 v4, v4, v5
	v_cmp_gt_i32_e32 vcc, 0, v4
	s_or_b64 s[0:1], vcc, s[0:1]
	s_waitcnt vmcnt(0)
	v_add_f64 v[0:1], v[0:1], v[10:11]
	v_add_f64 v[2:3], v[12:13], v[2:3]
	global_store_dwordx4 v[6:7], v[0:3], off
	s_andn2_b64 exec, exec, s[0:1]
	s_cbranch_execz .LBB268_62
.LBB268_58:                             ; =>This Inner Loop Header: Depth=1
	v_add_u32_e32 v6, v4, v32
	v_ashrrev_i32_e32 v7, 31, v6
	v_lshlrev_b64 v[0:1], 2, v[6:7]
	v_lshlrev_b64 v[8:9], 4, v[6:7]
	v_add_co_u32_e32 v0, vcc, s6, v0
	v_addc_co_u32_e32 v1, vcc, v15, v1, vcc
	global_load_dword v5, v[0:1], off
	v_add_co_u32_e32 v0, vcc, s14, v8
	v_addc_co_u32_e32 v1, vcc, v16, v9, vcc
	global_load_dwordx4 v[0:3], v[0:1], off
                                        ; implicit-def: $vgpr12_vgpr13
                                        ; implicit-def: $vgpr10_vgpr11
	s_waitcnt vmcnt(1)
	v_cmp_ne_u32_e32 vcc, 1, v5
	s_and_saveexec_b64 s[2:3], vcc
	s_xor_b64 s[2:3], exec, s[2:3]
	s_cbranch_execz .LBB268_60
; %bb.59:                               ;   in Loop: Header=BB268_58 Depth=1
	v_add_u32_e32 v5, v33, v4
	v_ashrrev_i32_e32 v6, 31, v5
	v_lshlrev_b64 v[5:6], 4, v[5:6]
	v_mov_b32_e32 v7, s11
	v_add_co_u32_e32 v29, vcc, s10, v5
	v_addc_co_u32_e32 v30, vcc, v7, v6, vcc
	global_load_dwordx4 v[10:13], v[29:30], off
	v_mov_b32_e32 v7, s13
	v_add_co_u32_e32 v37, vcc, s12, v5
	v_ashrrev_i32_e32 v5, 31, v4
	v_addc_co_u32_e32 v38, vcc, v7, v6, vcc
	v_lshlrev_b64 v[5:6], 4, v[4:5]
	global_load_dwordx4 v[17:20], v[37:38], off
	v_add_co_u32_e32 v39, vcc, v35, v5
	v_addc_co_u32_e32 v40, vcc, v36, v6, vcc
	global_load_dwordx4 v[21:24], v[39:40], off
	v_mov_b32_e32 v5, s13
	v_add_co_u32_e32 v41, vcc, s12, v8
	v_addc_co_u32_e32 v42, vcc, v5, v9, vcc
	global_load_dwordx4 v[25:28], v[41:42], off
	s_waitcnt vmcnt(3)
	v_mul_f64 v[5:6], v[2:3], v[12:13]
	v_mul_f64 v[7:8], v[12:13], -v[0:1]
	s_waitcnt vmcnt(2)
	v_mul_f64 v[12:13], v[2:3], v[19:20]
	v_fma_f64 v[43:44], -v[0:1], v[10:11], v[5:6]
	v_fma_f64 v[10:11], -v[2:3], v[10:11], v[7:8]
	v_mul_f64 v[19:20], v[19:20], -v[0:1]
	v_add_u32_e32 v6, v14, v4
	v_ashrrev_i32_e32 v7, 31, v6
	v_lshlrev_b64 v[45:46], 4, v[6:7]
	v_mov_b32_e32 v5, s15
	v_fma_f64 v[12:13], -v[0:1], v[17:18], v[12:13]
	s_waitcnt vmcnt(1)
	v_add_f64 v[8:9], v[21:22], v[43:44]
	v_add_f64 v[10:11], v[10:11], v[23:24]
	v_add_co_u32_e32 v0, vcc, s14, v45
	v_fma_f64 v[19:20], -v[2:3], v[17:18], v[19:20]
	v_addc_co_u32_e32 v1, vcc, v5, v46, vcc
	global_load_dwordx4 v[0:3], v[0:1], off
	s_waitcnt vmcnt(1)
	v_add_f64 v[17:18], v[25:26], v[12:13]
	global_store_dwordx4 v[39:40], v[8:11], off
	global_load_dwordx4 v[8:11], v[29:30], off
	v_mov_b32_e32 v5, s11
	v_add_f64 v[19:20], v[19:20], v[27:28]
	v_add_co_u32_e32 v25, vcc, s10, v45
	v_addc_co_u32_e32 v26, vcc, v5, v46, vcc
	global_load_dwordx4 v[21:24], v[25:26], off
	s_waitcnt vmcnt(1)
	v_mul_f64 v[12:13], v[2:3], v[10:11]
	global_store_dwordx4 v[41:42], v[17:20], off
	global_load_dwordx4 v[17:20], v[37:38], off
	v_mul_f64 v[10:11], v[10:11], -v[0:1]
	v_fma_f64 v[12:13], -v[0:1], v[8:9], v[12:13]
	v_fma_f64 v[8:9], -v[2:3], v[8:9], v[10:11]
	s_waitcnt vmcnt(0)
	v_mul_f64 v[10:11], v[2:3], v[19:20]
	v_mul_f64 v[27:28], v[19:20], -v[0:1]
	v_add_f64 v[19:20], v[21:22], v[12:13]
	v_add_f64 v[21:22], v[8:9], v[23:24]
	v_fma_f64 v[10:11], -v[0:1], v[17:18], v[10:11]
	v_fma_f64 v[12:13], -v[2:3], v[17:18], v[27:28]
                                        ; implicit-def: $vgpr2_vgpr3
	global_store_dwordx4 v[25:26], v[19:22], off
.LBB268_60:                             ;   in Loop: Header=BB268_58 Depth=1
	s_or_saveexec_b64 s[2:3], s[2:3]
	v_mov_b32_e32 v5, s4
	s_xor_b64 exec, exec, s[2:3]
	s_cbranch_execz .LBB268_57
; %bb.61:                               ;   in Loop: Header=BB268_58 Depth=1
	v_add_u32_e32 v8, v33, v4
	v_ashrrev_i32_e32 v9, 31, v8
	v_lshlrev_b64 v[12:13], 4, v[8:9]
	v_mov_b32_e32 v5, s11
	v_add_co_u32_e32 v8, vcc, s10, v12
	v_addc_co_u32_e32 v9, vcc, v5, v13, vcc
	global_load_dwordx4 v[8:11], v[8:9], off
	v_mov_b32_e32 v17, s13
	v_add_co_u32_e32 v12, vcc, s12, v12
	v_addc_co_u32_e32 v13, vcc, v17, v13, vcc
	global_load_dwordx4 v[17:20], v[12:13], off
	v_ashrrev_i32_e32 v5, 31, v4
	v_lshlrev_b64 v[12:13], 4, v[4:5]
	v_mov_b32_e32 v5, s26
	v_add_co_u32_e32 v25, vcc, v35, v12
	v_addc_co_u32_e32 v26, vcc, v36, v13, vcc
	global_load_dwordx4 v[21:24], v[25:26], off
	s_waitcnt vmcnt(2)
	v_mul_f64 v[12:13], v[2:3], v[10:11]
	v_mul_f64 v[10:11], v[10:11], -v[0:1]
	s_waitcnt vmcnt(1)
	v_mul_f64 v[27:28], v[19:20], -v[0:1]
	v_fma_f64 v[12:13], -v[0:1], v[8:9], v[12:13]
	v_fma_f64 v[8:9], -v[2:3], v[8:9], v[10:11]
	v_mul_f64 v[10:11], v[2:3], v[19:20]
	s_waitcnt vmcnt(0)
	v_add_f64 v[19:20], v[21:22], v[12:13]
	v_add_f64 v[21:22], v[8:9], v[23:24]
	v_fma_f64 v[10:11], -v[0:1], v[17:18], v[10:11]
	v_fma_f64 v[12:13], -v[2:3], v[17:18], v[27:28]
	global_store_dwordx4 v[25:26], v[19:22], off
	s_branch .LBB268_57
.LBB268_62:
	s_endpgm
	.section	.rodata,"a",@progbits
	.p2align	6, 0x0
	.amdhsa_kernel _ZN9rocsparseL18gtsv_LBM_wv_kernelILj256ELj2E21rocsparse_complex_numIdEEEviiiPKT1_S5_S5_PS3_S6_S6_Pi
		.amdhsa_group_segment_fixed_size 0
		.amdhsa_private_segment_fixed_size 0
		.amdhsa_kernarg_size 72
		.amdhsa_user_sgpr_count 6
		.amdhsa_user_sgpr_private_segment_buffer 1
		.amdhsa_user_sgpr_dispatch_ptr 0
		.amdhsa_user_sgpr_queue_ptr 0
		.amdhsa_user_sgpr_kernarg_segment_ptr 1
		.amdhsa_user_sgpr_dispatch_id 0
		.amdhsa_user_sgpr_flat_scratch_init 0
		.amdhsa_user_sgpr_private_segment_size 0
		.amdhsa_uses_dynamic_stack 0
		.amdhsa_system_sgpr_private_segment_wavefront_offset 0
		.amdhsa_system_sgpr_workgroup_id_x 1
		.amdhsa_system_sgpr_workgroup_id_y 0
		.amdhsa_system_sgpr_workgroup_id_z 0
		.amdhsa_system_sgpr_workgroup_info 0
		.amdhsa_system_vgpr_workitem_id 0
		.amdhsa_next_free_vgpr 69
		.amdhsa_next_free_sgpr 32
		.amdhsa_reserve_vcc 1
		.amdhsa_reserve_flat_scratch 0
		.amdhsa_float_round_mode_32 0
		.amdhsa_float_round_mode_16_64 0
		.amdhsa_float_denorm_mode_32 3
		.amdhsa_float_denorm_mode_16_64 3
		.amdhsa_dx10_clamp 1
		.amdhsa_ieee_mode 1
		.amdhsa_fp16_overflow 0
		.amdhsa_exception_fp_ieee_invalid_op 0
		.amdhsa_exception_fp_denorm_src 0
		.amdhsa_exception_fp_ieee_div_zero 0
		.amdhsa_exception_fp_ieee_overflow 0
		.amdhsa_exception_fp_ieee_underflow 0
		.amdhsa_exception_fp_ieee_inexact 0
		.amdhsa_exception_int_div_zero 0
	.end_amdhsa_kernel
	.section	.text._ZN9rocsparseL18gtsv_LBM_wv_kernelILj256ELj2E21rocsparse_complex_numIdEEEviiiPKT1_S5_S5_PS3_S6_S6_Pi,"axG",@progbits,_ZN9rocsparseL18gtsv_LBM_wv_kernelILj256ELj2E21rocsparse_complex_numIdEEEviiiPKT1_S5_S5_PS3_S6_S6_Pi,comdat
.Lfunc_end268:
	.size	_ZN9rocsparseL18gtsv_LBM_wv_kernelILj256ELj2E21rocsparse_complex_numIdEEEviiiPKT1_S5_S5_PS3_S6_S6_Pi, .Lfunc_end268-_ZN9rocsparseL18gtsv_LBM_wv_kernelILj256ELj2E21rocsparse_complex_numIdEEEviiiPKT1_S5_S5_PS3_S6_S6_Pi
                                        ; -- End function
	.set _ZN9rocsparseL18gtsv_LBM_wv_kernelILj256ELj2E21rocsparse_complex_numIdEEEviiiPKT1_S5_S5_PS3_S6_S6_Pi.num_vgpr, 69
	.set _ZN9rocsparseL18gtsv_LBM_wv_kernelILj256ELj2E21rocsparse_complex_numIdEEEviiiPKT1_S5_S5_PS3_S6_S6_Pi.num_agpr, 0
	.set _ZN9rocsparseL18gtsv_LBM_wv_kernelILj256ELj2E21rocsparse_complex_numIdEEEviiiPKT1_S5_S5_PS3_S6_S6_Pi.numbered_sgpr, 32
	.set _ZN9rocsparseL18gtsv_LBM_wv_kernelILj256ELj2E21rocsparse_complex_numIdEEEviiiPKT1_S5_S5_PS3_S6_S6_Pi.num_named_barrier, 0
	.set _ZN9rocsparseL18gtsv_LBM_wv_kernelILj256ELj2E21rocsparse_complex_numIdEEEviiiPKT1_S5_S5_PS3_S6_S6_Pi.private_seg_size, 0
	.set _ZN9rocsparseL18gtsv_LBM_wv_kernelILj256ELj2E21rocsparse_complex_numIdEEEviiiPKT1_S5_S5_PS3_S6_S6_Pi.uses_vcc, 1
	.set _ZN9rocsparseL18gtsv_LBM_wv_kernelILj256ELj2E21rocsparse_complex_numIdEEEviiiPKT1_S5_S5_PS3_S6_S6_Pi.uses_flat_scratch, 0
	.set _ZN9rocsparseL18gtsv_LBM_wv_kernelILj256ELj2E21rocsparse_complex_numIdEEEviiiPKT1_S5_S5_PS3_S6_S6_Pi.has_dyn_sized_stack, 0
	.set _ZN9rocsparseL18gtsv_LBM_wv_kernelILj256ELj2E21rocsparse_complex_numIdEEEviiiPKT1_S5_S5_PS3_S6_S6_Pi.has_recursion, 0
	.set _ZN9rocsparseL18gtsv_LBM_wv_kernelILj256ELj2E21rocsparse_complex_numIdEEEviiiPKT1_S5_S5_PS3_S6_S6_Pi.has_indirect_call, 0
	.section	.AMDGPU.csdata,"",@progbits
; Kernel info:
; codeLenInByte = 6344
; TotalNumSgprs: 36
; NumVgprs: 69
; ScratchSize: 0
; MemoryBound: 1
; FloatMode: 240
; IeeeMode: 1
; LDSByteSize: 0 bytes/workgroup (compile time only)
; SGPRBlocks: 4
; VGPRBlocks: 17
; NumSGPRsForWavesPerEU: 36
; NumVGPRsForWavesPerEU: 69
; Occupancy: 3
; WaveLimiterHint : 0
; COMPUTE_PGM_RSRC2:SCRATCH_EN: 0
; COMPUTE_PGM_RSRC2:USER_SGPR: 6
; COMPUTE_PGM_RSRC2:TRAP_HANDLER: 0
; COMPUTE_PGM_RSRC2:TGID_X_EN: 1
; COMPUTE_PGM_RSRC2:TGID_Y_EN: 0
; COMPUTE_PGM_RSRC2:TGID_Z_EN: 0
; COMPUTE_PGM_RSRC2:TIDIG_COMP_CNT: 0
	.section	.text._ZN9rocsparseL19gtsv_LBM_rhs_kernelILj256ELj2ELj8E21rocsparse_complex_numIdEEEviiiPKT2_S5_S5_PS3_S5_PKi,"axG",@progbits,_ZN9rocsparseL19gtsv_LBM_rhs_kernelILj256ELj2ELj8E21rocsparse_complex_numIdEEEviiiPKT2_S5_S5_PS3_S5_PKi,comdat
	.globl	_ZN9rocsparseL19gtsv_LBM_rhs_kernelILj256ELj2ELj8E21rocsparse_complex_numIdEEEviiiPKT2_S5_S5_PS3_S5_PKi ; -- Begin function _ZN9rocsparseL19gtsv_LBM_rhs_kernelILj256ELj2ELj8E21rocsparse_complex_numIdEEEviiiPKT2_S5_S5_PS3_S5_PKi
	.p2align	8
	.type	_ZN9rocsparseL19gtsv_LBM_rhs_kernelILj256ELj2ELj8E21rocsparse_complex_numIdEEEviiiPKT2_S5_S5_PS3_S5_PKi,@function
_ZN9rocsparseL19gtsv_LBM_rhs_kernelILj256ELj2ELj8E21rocsparse_complex_numIdEEEviiiPKT2_S5_S5_PS3_S5_PKi: ; @_ZN9rocsparseL19gtsv_LBM_rhs_kernelILj256ELj2ELj8E21rocsparse_complex_numIdEEEviiiPKT2_S5_S5_PS3_S5_PKi
; %bb.0:
	s_load_dword s21, s[4:5], 0x0
	v_lshl_or_b32 v44, s6, 8, v0
	s_waitcnt lgkmcnt(0)
	s_lshr_b32 s20, s21, 1
	v_cmp_gt_i32_e32 vcc, s20, v44
	s_and_saveexec_b64 s[0:1], vcc
	s_cbranch_execz .LBB269_23
; %bb.1:
	s_load_dwordx4 s[8:11], s[4:5], 0x28
	s_load_dwordx2 s[16:17], s[4:5], 0x38
	s_cmp_lt_i32 s21, 1
	v_add_u32_e32 v101, s20, v44
	s_mul_i32 s22, s7, s21
	s_cbranch_scc1 .LBB269_15
; %bb.2:
	s_load_dwordx4 s[12:15], s[4:5], 0x10
	s_load_dwordx2 s[6:7], s[4:5], 0x20
	v_ashrrev_i32_e32 v45, 31, v44
	v_lshlrev_b64 v[0:1], 4, v[44:45]
	s_lshl_b32 s23, s22, 3
	s_waitcnt lgkmcnt(0)
	v_mov_b32_e32 v2, s15
	v_add_co_u32_e32 v0, vcc, s14, v0
	v_addc_co_u32_e32 v1, vcc, v2, v1, vcc
	global_load_dwordx4 v[12:15], v[0:1], off
	s_add_i32 s24, s23, s21
	s_add_i32 s25, s24, s21
	;; [unrolled: 1-line block ×7, first 2 shown]
	s_and_b32 s31, s21, 0x7ffffffe
	v_mov_b32_e32 v46, 0
	s_mov_b64 s[4:5], 0
	v_mov_b32_e32 v103, s7
	v_mov_b32_e32 v102, 0
	s_branch .LBB269_5
.LBB269_3:                              ;   in Loop: Header=BB269_5 Depth=1
	s_or_b64 exec, exec, s[18:19]
	v_fma_f64 v[2:3], v[2:3], v[4:5], v[49:50]
	v_fma_f64 v[0:1], v[0:1], v[4:5], v[47:48]
	v_mov_b32_e32 v18, s20
	v_mul_f64 v[4:5], v[51:52], -v[2:3]
	v_mul_f64 v[12:13], v[51:52], v[0:1]
	v_fma_f64 v[0:1], v[0:1], v[6:7], v[4:5]
	v_fma_f64 v[2:3], v[2:3], v[6:7], v[12:13]
	v_add_f64 v[6:7], v[8:9], -v[0:1]
	v_add_f64 v[28:29], v[10:11], -v[2:3]
.LBB269_4:                              ;   in Loop: Header=BB269_5 Depth=1
	s_or_b64 exec, exec, s[2:3]
	v_add_u32_e32 v102, v18, v102
	v_cmp_le_i32_e32 vcc, s21, v102
	v_mov_b32_e32 v14, v28
	v_mov_b32_e32 v13, v7
	s_or_b64 s[4:5], vcc, s[4:5]
	v_mov_b32_e32 v15, v29
	v_mov_b32_e32 v12, v6
	s_andn2_b64 exec, exec, s[4:5]
	s_cbranch_execz .LBB269_14
.LBB269_5:                              ; =>This Inner Loop Header: Depth=1
	v_add_u32_e32 v16, v102, v44
	v_ashrrev_i32_e32 v17, 31, v16
	v_lshlrev_b64 v[0:1], 4, v[16:17]
	v_mov_b32_e32 v8, 0
	v_add_co_u32_e32 v0, vcc, s6, v0
	v_addc_co_u32_e32 v1, vcc, v103, v1, vcc
	global_load_dwordx4 v[4:7], v[0:1], off
	v_mov_b32_e32 v0, 0
	v_mov_b32_e32 v2, 0
	;; [unrolled: 1-line block ×5, first 2 shown]
	v_cmp_gt_u32_e64 s[0:1], s20, v102
	s_and_saveexec_b64 s[2:3], s[0:1]
	s_cbranch_execz .LBB269_7
; %bb.6:                                ;   in Loop: Header=BB269_5 Depth=1
	v_add_u32_e32 v0, v101, v102
	v_ashrrev_i32_e32 v1, 31, v0
	v_lshlrev_b64 v[0:1], 4, v[0:1]
	v_mov_b32_e32 v2, s13
	v_add_co_u32_e32 v0, vcc, s12, v0
	v_addc_co_u32_e32 v1, vcc, v2, v1, vcc
	global_load_dwordx4 v[0:3], v[0:1], off
.LBB269_7:                              ;   in Loop: Header=BB269_5 Depth=1
	s_or_b64 exec, exec, s[2:3]
	v_mov_b32_e32 v10, 0
	v_mov_b32_e32 v11, 0
	s_and_saveexec_b64 s[2:3], s[0:1]
	s_cbranch_execz .LBB269_9
; %bb.8:                                ;   in Loop: Header=BB269_5 Depth=1
	v_add_u32_e32 v8, v101, v102
	v_ashrrev_i32_e32 v9, 31, v8
	v_lshlrev_b64 v[8:9], 4, v[8:9]
	v_mov_b32_e32 v10, s15
	v_add_co_u32_e32 v8, vcc, s14, v8
	v_addc_co_u32_e32 v9, vcc, v10, v9, vcc
	global_load_dwordx4 v[8:11], v[8:9], off
.LBB269_9:                              ;   in Loop: Header=BB269_5 Depth=1
	s_or_b64 exec, exec, s[2:3]
	v_lshlrev_b64 v[17:18], 2, v[16:17]
	v_mov_b32_e32 v19, s17
	v_add_co_u32_e32 v17, vcc, s16, v17
	v_addc_co_u32_e32 v18, vcc, v19, v18, vcc
	global_load_dword v18, v[17:18], off
	s_waitcnt vmcnt(1)
	v_mul_f64 v[47:48], v[6:7], -v[2:3]
	v_mul_f64 v[49:50], v[6:7], v[0:1]
	v_cmp_ne_u32_e32 vcc, s20, v102
	v_add_u32_e32 v45, s23, v16
	v_add_u32_e32 v27, s24, v16
	;; [unrolled: 1-line block ×8, first 2 shown]
	s_waitcnt vmcnt(0)
	v_cmp_ne_u32_e64 s[2:3], 1, v18
	s_and_b64 s[2:3], vcc, s[2:3]
	s_and_saveexec_b64 s[18:19], s[2:3]
	s_xor_b64 s[18:19], exec, s[18:19]
	s_cbranch_execz .LBB269_11
; %bb.10:                               ;   in Loop: Header=BB269_5 Depth=1
	v_mul_f64 v[28:29], v[12:13], v[10:11]
	v_mul_f64 v[30:31], v[10:11], -v[14:15]
	v_fma_f64 v[32:33], v[2:3], v[4:5], v[49:50]
	v_fma_f64 v[34:35], v[0:1], v[4:5], v[47:48]
	v_mov_b32_e32 v18, s9
	v_mov_b32_e32 v26, v46
	v_lshlrev_b64 v[24:25], 4, v[25:26]
	v_add_u32_e32 v120, v101, v102
	v_fma_f64 v[28:29], v[14:15], v[8:9], v[28:29]
	v_fma_f64 v[30:31], v[12:13], v[8:9], v[30:31]
	v_mov_b32_e32 v99, s9
	v_add_f64 v[38:39], v[28:29], -v[32:33]
	v_add_f64 v[42:43], v[30:31], -v[34:35]
	v_lshlrev_b64 v[32:33], 4, v[45:46]
	v_mov_b32_e32 v31, s9
	v_add_co_u32_e32 v32, vcc, s8, v32
	v_addc_co_u32_e32 v33, vcc, v18, v33, vcc
	v_mul_f64 v[28:29], v[38:39], v[38:39]
	global_load_dwordx4 v[34:37], v[32:33], off
	v_add_u32_e32 v45, s23, v120
	v_fma_f64 v[55:56], v[42:43], v[42:43], v[28:29]
	v_mov_b32_e32 v28, v46
	v_lshlrev_b64 v[27:28], 4, v[27:28]
	v_add_co_u32_e32 v47, vcc, s8, v27
	v_addc_co_u32_e32 v48, vcc, v18, v28, vcc
	v_div_scale_f64 v[59:60], s[2:3], v[55:56], v[55:56], 1.0
	v_div_scale_f64 v[61:62], vcc, 1.0, v[55:56], 1.0
	v_rcp_f64_e32 v[29:30], v[59:60]
	v_fma_f64 v[40:41], -v[59:60], v[29:30], 1.0
	v_fma_f64 v[53:54], v[29:30], v[40:41], v[29:30]
	global_load_dwordx4 v[27:30], v[47:48], off
	v_add_co_u32_e64 v40, s[2:3], s8, v24
	v_addc_co_u32_e64 v41, s[2:3], v18, v25, s[2:3]
	global_load_dwordx4 v[49:52], v[40:41], off
	v_mov_b32_e32 v24, v46
	v_fma_f64 v[57:58], -v[59:60], v[53:54], 1.0
	v_lshlrev_b64 v[22:23], 4, v[23:24]
	v_fma_f64 v[65:66], v[53:54], v[57:58], v[53:54]
	v_add_co_u32_e64 v53, s[2:3], s8, v22
	v_addc_co_u32_e64 v54, s[2:3], v18, v23, s[2:3]
	global_load_dwordx4 v[23:26], v[53:54], off
	v_mov_b32_e32 v22, v46
	v_lshlrev_b64 v[20:21], 4, v[21:22]
	v_mul_f64 v[67:68], v[61:62], v[65:66]
	v_add_co_u32_e64 v57, s[2:3], s8, v20
	v_addc_co_u32_e64 v58, s[2:3], v18, v21, s[2:3]
	v_mov_b32_e32 v20, v46
	v_lshlrev_b64 v[18:19], 4, v[19:20]
	v_fma_f64 v[21:22], -v[59:60], v[67:68], v[61:62]
	global_load_dwordx4 v[61:64], v[57:58], off
	v_add_co_u32_e64 v59, s[2:3], s8, v18
	v_mov_b32_e32 v18, v46
	v_lshlrev_b64 v[17:18], 4, v[17:18]
	v_div_fmas_f64 v[65:66], v[21:22], v[65:66], v[67:68]
	v_addc_co_u32_e64 v60, vcc, v31, v19, s[2:3]
	global_load_dwordx4 v[19:22], v[59:60], off
	v_add_co_u32_e32 v87, vcc, s8, v17
	v_mov_b32_e32 v17, v46
	v_lshlrev_b64 v[16:17], 4, v[16:17]
	v_addc_co_u32_e32 v88, vcc, v31, v18, vcc
	v_mov_b32_e32 v18, s9
	v_add_co_u32_e32 v83, vcc, s8, v16
	v_addc_co_u32_e32 v84, vcc, v18, v17, vcc
	global_load_dwordx4 v[77:80], v[87:88], off
	v_div_fixup_f64 v[55:56], v[65:66], v[55:56], 1.0
	v_fma_f64 v[65:66], v[42:43], 0, -v[38:39]
	v_fma_f64 v[38:39], v[38:39], 0, v[42:43]
	v_mul_f64 v[108:109], v[65:66], v[55:56]
	v_mul_f64 v[110:111], v[38:39], v[55:56]
	s_waitcnt vmcnt(6)
	v_mul_f64 v[16:17], v[108:109], -v[36:37]
	v_mul_f64 v[38:39], v[108:109], v[34:35]
	v_fma_f64 v[81:82], v[34:35], v[110:111], v[16:17]
	s_waitcnt vmcnt(5)
	v_mul_f64 v[16:17], v[108:109], -v[29:30]
	v_mul_f64 v[34:35], v[108:109], v[27:28]
	v_fma_f64 v[85:86], v[36:37], v[110:111], v[38:39]
	v_fma_f64 v[71:72], v[27:28], v[110:111], v[16:17]
	s_waitcnt vmcnt(4)
	v_mul_f64 v[16:17], v[108:109], -v[51:52]
	v_mul_f64 v[27:28], v[108:109], v[49:50]
	v_fma_f64 v[75:76], v[29:30], v[110:111], v[34:35]
	v_mov_b32_e32 v34, s9
	v_fma_f64 v[67:68], v[49:50], v[110:111], v[16:17]
	v_fma_f64 v[69:70], v[51:52], v[110:111], v[27:28]
	s_waitcnt vmcnt(3)
	v_mul_f64 v[16:17], v[108:109], -v[25:26]
	v_mul_f64 v[27:28], v[108:109], v[23:24]
	v_fma_f64 v[49:50], v[23:24], v[110:111], v[16:17]
	v_fma_f64 v[55:56], v[25:26], v[110:111], v[27:28]
	s_waitcnt vmcnt(2)
	v_mul_f64 v[16:17], v[108:109], -v[63:64]
	v_mul_f64 v[23:24], v[108:109], v[61:62]
	;; [unrolled: 5-line block ×3, first 2 shown]
	v_fma_f64 v[28:29], v[19:20], v[110:111], v[16:17]
	v_fma_f64 v[30:31], v[21:22], v[110:111], v[23:24]
	global_load_dwordx4 v[20:23], v[83:84], off
	s_waitcnt vmcnt(1)
	v_mul_f64 v[16:17], v[108:109], -v[79:80]
	v_mul_f64 v[18:19], v[108:109], v[77:78]
	v_fma_f64 v[24:25], v[77:78], v[110:111], v[16:17]
	v_fma_f64 v[26:27], v[79:80], v[110:111], v[18:19]
	s_waitcnt vmcnt(0)
	v_mul_f64 v[16:17], v[108:109], -v[22:23]
	v_fma_f64 v[18:19], v[20:21], v[110:111], v[16:17]
	v_mul_f64 v[16:17], v[108:109], v[20:21]
	v_fma_f64 v[20:21], v[22:23], v[110:111], v[16:17]
	v_lshlrev_b64 v[16:17], 4, v[45:46]
	v_mov_b32_e32 v22, s9
	v_add_co_u32_e32 v16, vcc, s8, v16
	v_addc_co_u32_e32 v17, vcc, v22, v17, vcc
	global_load_dwordx4 v[61:64], v[16:17], off
	v_add_u32_e32 v45, s24, v120
	s_waitcnt vmcnt(0)
	v_mul_f64 v[22:23], v[108:109], -v[63:64]
	v_fma_f64 v[42:43], v[61:62], v[110:111], v[22:23]
	v_mul_f64 v[22:23], v[108:109], v[61:62]
	v_fma_f64 v[51:52], v[63:64], v[110:111], v[22:23]
	v_lshlrev_b64 v[22:23], 4, v[45:46]
	v_add_u32_e32 v45, s25, v120
	v_add_co_u32_e32 v22, vcc, s8, v22
	v_addc_co_u32_e32 v23, vcc, v34, v23, vcc
	global_load_dwordx4 v[63:66], v[22:23], off
	v_mul_f64 v[124:125], v[4:5], v[51:52]
	v_fma_f64 v[124:125], v[6:7], v[42:43], v[124:125]
	s_waitcnt vmcnt(0)
	v_mul_f64 v[34:35], v[108:109], -v[65:66]
	v_fma_f64 v[61:62], v[63:64], v[110:111], v[34:35]
	v_mul_f64 v[34:35], v[108:109], v[63:64]
	v_mov_b32_e32 v63, s9
	v_fma_f64 v[65:66], v[65:66], v[110:111], v[34:35]
	v_lshlrev_b64 v[34:35], 4, v[45:46]
	v_add_u32_e32 v45, s26, v120
	v_add_co_u32_e32 v34, vcc, s8, v34
	v_addc_co_u32_e32 v35, vcc, v63, v35, vcc
	global_load_dwordx4 v[77:80], v[34:35], off
	s_waitcnt vmcnt(0)
	v_mul_f64 v[63:64], v[108:109], -v[79:80]
	v_fma_f64 v[73:74], v[77:78], v[110:111], v[63:64]
	v_mul_f64 v[63:64], v[108:109], v[77:78]
	v_fma_f64 v[77:78], v[79:80], v[110:111], v[63:64]
	v_lshlrev_b64 v[63:64], 4, v[45:46]
	v_mov_b32_e32 v79, s9
	v_add_co_u32_e32 v63, vcc, s8, v63
	v_addc_co_u32_e32 v64, vcc, v79, v64, vcc
	global_load_dwordx4 v[91:94], v[63:64], off
	v_add_u32_e32 v45, s27, v120
	s_waitcnt vmcnt(0)
	v_mul_f64 v[79:80], v[108:109], -v[93:94]
	v_fma_f64 v[89:90], v[91:92], v[110:111], v[79:80]
	v_mul_f64 v[79:80], v[108:109], v[91:92]
	v_fma_f64 v[91:92], v[93:94], v[110:111], v[79:80]
	v_lshlrev_b64 v[79:80], 4, v[45:46]
	v_mov_b32_e32 v93, s9
	v_add_co_u32_e32 v79, vcc, s8, v79
	v_addc_co_u32_e32 v80, vcc, v93, v80, vcc
	global_load_dwordx4 v[95:98], v[79:80], off
	v_add_u32_e32 v45, s28, v120
	s_waitcnt vmcnt(0)
	v_mul_f64 v[93:94], v[108:109], -v[97:98]
	v_fma_f64 v[93:94], v[95:96], v[110:111], v[93:94]
	v_mul_f64 v[95:96], v[108:109], v[95:96]
	v_fma_f64 v[95:96], v[97:98], v[110:111], v[95:96]
	v_lshlrev_b64 v[97:98], 4, v[45:46]
	v_add_u32_e32 v45, s29, v120
	v_add_co_u32_e32 v97, vcc, s8, v97
	v_addc_co_u32_e32 v98, vcc, v99, v98, vcc
	global_load_dwordx4 v[104:107], v[97:98], off
	s_waitcnt vmcnt(0)
	v_mul_f64 v[99:100], v[108:109], -v[106:107]
	v_fma_f64 v[112:113], v[104:105], v[110:111], v[99:100]
	v_mul_f64 v[99:100], v[108:109], v[104:105]
	v_mov_b32_e32 v104, s9
	v_fma_f64 v[114:115], v[106:107], v[110:111], v[99:100]
	v_lshlrev_b64 v[99:100], 4, v[45:46]
	v_add_u32_e32 v45, s30, v120
	v_add_co_u32_e32 v99, vcc, s8, v99
	v_addc_co_u32_e32 v100, vcc, v104, v100, vcc
	global_load_dwordx4 v[104:107], v[99:100], off
	s_waitcnt vmcnt(0)
	v_mul_f64 v[116:117], v[108:109], -v[106:107]
	v_fma_f64 v[116:117], v[104:105], v[110:111], v[116:117]
	v_mul_f64 v[104:105], v[108:109], v[104:105]
	v_fma_f64 v[118:119], v[106:107], v[110:111], v[104:105]
	v_lshlrev_b64 v[104:105], 4, v[45:46]
	v_mov_b32_e32 v106, s9
	v_add_co_u32_e32 v120, vcc, s8, v104
	v_addc_co_u32_e32 v121, vcc, v106, v105, vcc
	global_load_dwordx4 v[104:107], v[120:121], off
	s_waitcnt vmcnt(0)
	v_mul_f64 v[122:123], v[108:109], -v[106:107]
	v_mul_f64 v[108:109], v[108:109], v[104:105]
	v_fma_f64 v[122:123], v[104:105], v[110:111], v[122:123]
	v_fma_f64 v[108:109], v[106:107], v[110:111], v[108:109]
	v_mul_f64 v[104:105], v[85:86], -v[10:11]
	v_mul_f64 v[106:107], v[8:9], v[85:86]
	v_mul_f64 v[110:111], v[51:52], -v[6:7]
	v_fma_f64 v[104:105], v[8:9], v[81:82], v[104:105]
	v_fma_f64 v[106:107], v[10:11], v[81:82], v[106:107]
	;; [unrolled: 1-line block ×3, first 2 shown]
	v_add_f64 v[106:107], v[106:107], -v[124:125]
	v_add_f64 v[104:105], v[104:105], -v[110:111]
	v_mul_f64 v[110:111], v[4:5], v[65:66]
	global_store_dwordx4 v[32:33], v[104:107], off
	s_nop 0
	v_mul_f64 v[104:105], v[8:9], v[75:76]
	v_mul_f64 v[32:33], v[75:76], -v[10:11]
	v_fma_f64 v[110:111], v[6:7], v[61:62], v[110:111]
	v_fma_f64 v[106:107], v[10:11], v[71:72], v[104:105]
	v_mul_f64 v[104:105], v[65:66], -v[6:7]
	v_fma_f64 v[32:33], v[8:9], v[71:72], v[32:33]
	v_add_f64 v[106:107], v[106:107], -v[110:111]
	v_fma_f64 v[104:105], v[4:5], v[61:62], v[104:105]
	v_add_f64 v[104:105], v[32:33], -v[104:105]
	v_mul_f64 v[32:33], v[69:70], -v[10:11]
	global_store_dwordx4 v[47:48], v[104:107], off
	v_mul_f64 v[47:48], v[8:9], v[69:70]
	v_mul_f64 v[104:105], v[77:78], -v[6:7]
	v_mul_f64 v[106:107], v[4:5], v[77:78]
	v_fma_f64 v[32:33], v[8:9], v[67:68], v[32:33]
	v_fma_f64 v[47:48], v[10:11], v[67:68], v[47:48]
	;; [unrolled: 1-line block ×4, first 2 shown]
	v_add_f64 v[104:105], v[32:33], -v[104:105]
	v_add_f64 v[106:107], v[47:48], -v[106:107]
	v_mul_f64 v[32:33], v[55:56], -v[10:11]
	v_mul_f64 v[47:48], v[91:92], -v[6:7]
	global_store_dwordx4 v[40:41], v[104:107], off
	v_mul_f64 v[40:41], v[8:9], v[55:56]
	v_mul_f64 v[104:105], v[4:5], v[91:92]
	v_fma_f64 v[32:33], v[8:9], v[49:50], v[32:33]
	v_fma_f64 v[47:48], v[4:5], v[89:90], v[47:48]
	;; [unrolled: 1-line block ×4, first 2 shown]
	v_add_f64 v[104:105], v[32:33], -v[47:48]
	v_mul_f64 v[32:33], v[38:39], -v[10:11]
	v_mul_f64 v[47:48], v[95:96], -v[6:7]
	v_add_f64 v[106:107], v[40:41], -v[106:107]
	v_mul_f64 v[40:41], v[8:9], v[38:39]
	v_fma_f64 v[32:33], v[8:9], v[36:37], v[32:33]
	v_fma_f64 v[47:48], v[4:5], v[93:94], v[47:48]
	global_store_dwordx4 v[53:54], v[104:107], off
	v_mul_f64 v[53:54], v[4:5], v[95:96]
	v_fma_f64 v[40:41], v[10:11], v[36:37], v[40:41]
	v_add_f64 v[104:105], v[32:33], -v[47:48]
	v_mul_f64 v[32:33], v[30:31], -v[10:11]
	v_mul_f64 v[47:48], v[114:115], -v[6:7]
	v_fma_f64 v[53:54], v[6:7], v[93:94], v[53:54]
	v_fma_f64 v[32:33], v[8:9], v[28:29], v[32:33]
	;; [unrolled: 1-line block ×3, first 2 shown]
	v_add_f64 v[106:107], v[40:41], -v[53:54]
	v_mul_f64 v[40:41], v[8:9], v[30:31]
	v_mul_f64 v[53:54], v[4:5], v[114:115]
	global_store_dwordx4 v[57:58], v[104:107], off
	s_nop 0
	v_add_f64 v[104:105], v[32:33], -v[47:48]
	v_mul_f64 v[32:33], v[26:27], -v[10:11]
	v_mul_f64 v[47:48], v[118:119], -v[6:7]
	v_fma_f64 v[40:41], v[10:11], v[28:29], v[40:41]
	v_fma_f64 v[53:54], v[6:7], v[112:113], v[53:54]
	;; [unrolled: 1-line block ×4, first 2 shown]
	v_add_f64 v[106:107], v[40:41], -v[53:54]
	v_mul_f64 v[40:41], v[8:9], v[26:27]
	v_mul_f64 v[53:54], v[4:5], v[118:119]
	v_add_f64 v[57:58], v[32:33], -v[47:48]
	v_mul_f64 v[32:33], v[20:21], -v[10:11]
	global_store_dwordx4 v[59:60], v[104:107], off
	v_fma_f64 v[40:41], v[10:11], v[24:25], v[40:41]
	v_fma_f64 v[53:54], v[6:7], v[116:117], v[53:54]
	v_mul_f64 v[47:48], v[2:3], v[55:56]
	v_fma_f64 v[32:33], v[8:9], v[18:19], v[32:33]
	v_mul_f64 v[8:9], v[8:9], v[20:21]
	v_add_f64 v[59:60], v[40:41], -v[53:54]
	v_mul_f64 v[53:54], v[55:56], -v[0:1]
	v_fma_f64 v[47:48], -v[0:1], v[49:50], v[47:48]
	v_mul_f64 v[40:41], v[69:70], -v[0:1]
	v_fma_f64 v[8:9], v[10:11], v[18:19], v[8:9]
	v_mul_f64 v[10:11], v[108:109], -v[6:7]
	global_store_dwordx4 v[87:88], v[57:60], off
	v_fma_f64 v[49:50], -v[2:3], v[49:50], v[53:54]
	v_mul_f64 v[53:54], v[2:3], v[38:39]
	v_mul_f64 v[38:39], v[38:39], -v[0:1]
	v_fma_f64 v[40:41], -v[2:3], v[67:68], v[40:41]
	v_fma_f64 v[10:11], v[4:5], v[122:123], v[10:11]
	v_mul_f64 v[4:5], v[4:5], v[108:109]
	v_fma_f64 v[53:54], -v[0:1], v[36:37], v[53:54]
	v_fma_f64 v[36:37], -v[2:3], v[36:37], v[38:39]
	v_mul_f64 v[38:39], v[2:3], v[30:31]
	v_mul_f64 v[30:31], v[30:31], -v[0:1]
	v_fma_f64 v[6:7], v[6:7], v[122:123], v[4:5]
	v_add_f64 v[4:5], v[32:33], -v[10:11]
	v_mul_f64 v[10:11], v[75:76], -v[0:1]
	v_mul_f64 v[32:33], v[2:3], v[69:70]
	v_fma_f64 v[38:39], -v[0:1], v[28:29], v[38:39]
	v_fma_f64 v[28:29], -v[2:3], v[28:29], v[30:31]
	v_mul_f64 v[30:31], v[2:3], v[26:27]
	v_mul_f64 v[26:27], v[26:27], -v[0:1]
	v_add_f64 v[6:7], v[8:9], -v[6:7]
	v_mul_f64 v[8:9], v[2:3], v[75:76]
	v_fma_f64 v[10:11], -v[2:3], v[71:72], v[10:11]
	v_fma_f64 v[32:33], -v[0:1], v[67:68], v[32:33]
	v_mul_f64 v[67:68], v[114:115], -v[14:15]
	v_mul_f64 v[69:70], v[12:13], v[114:115]
	v_fma_f64 v[30:31], -v[0:1], v[24:25], v[30:31]
	v_fma_f64 v[55:56], -v[2:3], v[24:25], v[26:27]
	global_store_dwordx4 v[83:84], v[4:7], off
	v_mul_f64 v[24:25], v[2:3], v[20:21]
	v_mul_f64 v[4:5], v[2:3], v[85:86]
	v_mul_f64 v[6:7], v[85:86], -v[0:1]
	v_mul_f64 v[20:21], v[20:21], -v[0:1]
	v_fma_f64 v[8:9], -v[0:1], v[71:72], v[8:9]
	v_mul_f64 v[26:27], v[12:13], v[77:78]
	v_mul_f64 v[71:72], v[118:119], -v[14:15]
	v_mul_f64 v[75:76], v[108:109], -v[14:15]
	v_fma_f64 v[57:58], -v[0:1], v[18:19], v[24:25]
	v_fma_f64 v[4:5], -v[0:1], v[81:82], v[4:5]
	;; [unrolled: 1-line block ×4, first 2 shown]
	v_mul_f64 v[0:1], v[51:52], -v[14:15]
	v_mul_f64 v[2:3], v[12:13], v[51:52]
	v_mul_f64 v[18:19], v[65:66], -v[14:15]
	v_mul_f64 v[20:21], v[12:13], v[65:66]
	;; [unrolled: 2-line block ×3, first 2 shown]
	v_mul_f64 v[65:66], v[12:13], v[95:96]
	v_fma_f64 v[26:27], v[14:15], v[73:74], v[26:27]
	v_fma_f64 v[0:1], v[12:13], v[42:43], v[0:1]
	;; [unrolled: 1-line block ×3, first 2 shown]
	v_mul_f64 v[42:43], v[91:92], -v[14:15]
	v_fma_f64 v[18:19], v[12:13], v[61:62], v[18:19]
	v_fma_f64 v[20:21], v[14:15], v[61:62], v[20:21]
	v_mul_f64 v[61:62], v[95:96], -v[14:15]
	v_fma_f64 v[24:25], v[12:13], v[73:74], v[24:25]
	v_mul_f64 v[73:74], v[12:13], v[118:119]
	v_mul_f64 v[77:78], v[12:13], v[108:109]
	v_fma_f64 v[51:52], v[14:15], v[89:90], v[51:52]
	v_fma_f64 v[42:43], v[12:13], v[89:90], v[42:43]
	v_fma_f64 v[65:66], v[14:15], v[93:94], v[65:66]
	v_fma_f64 v[67:68], v[12:13], v[112:113], v[67:68]
	v_fma_f64 v[61:62], v[12:13], v[93:94], v[61:62]
	v_fma_f64 v[69:70], v[14:15], v[112:113], v[69:70]
	v_fma_f64 v[71:72], v[12:13], v[116:117], v[71:72]
	v_fma_f64 v[73:74], v[14:15], v[116:117], v[73:74]
	v_fma_f64 v[75:76], v[12:13], v[122:123], v[75:76]
	v_fma_f64 v[77:78], v[14:15], v[122:123], v[77:78]
	v_add_f64 v[0:1], v[4:5], v[0:1]
	v_add_f64 v[2:3], v[6:7], v[2:3]
	;; [unrolled: 1-line block ×16, first 2 shown]
	global_store_dwordx4 v[16:17], v[0:3], off
	global_store_dwordx4 v[22:23], v[4:7], off
	;; [unrolled: 1-line block ×8, first 2 shown]
                                        ; implicit-def: $vgpr14_vgpr15
                                        ; implicit-def: $vgpr0_vgpr1
                                        ; implicit-def: $vgpr8_vgpr9
                                        ; implicit-def: $vgpr4_vgpr5
                                        ; implicit-def: $vgpr47_vgpr48
                                        ; implicit-def: $vgpr49_vgpr50
                                        ; implicit-def: $vgpr27
                                        ; implicit-def: $vgpr25
                                        ; implicit-def: $vgpr23
                                        ; implicit-def: $vgpr21
                                        ; implicit-def: $vgpr19
                                        ; implicit-def: $vgpr17
                                        ; implicit-def: $vgpr16
.LBB269_11:                             ;   in Loop: Header=BB269_5 Depth=1
	s_or_saveexec_b64 s[2:3], s[18:19]
	v_mov_b32_e32 v6, 0
	v_mov_b32_e32 v28, 0
	;; [unrolled: 1-line block ×5, first 2 shown]
	s_xor_b64 exec, exec, s[2:3]
	s_cbranch_execz .LBB269_4
; %bb.12:                               ;   in Loop: Header=BB269_5 Depth=1
	v_mul_f64 v[6:7], v[14:15], v[14:15]
	v_lshlrev_b64 v[29:30], 4, v[45:46]
	v_mov_b32_e32 v35, s9
	v_add_co_u32_e32 v73, vcc, s8, v29
	v_mov_b32_e32 v28, v46
	v_addc_co_u32_e32 v74, vcc, v35, v30, vcc
	v_fma_f64 v[6:7], v[12:13], v[12:13], v[6:7]
	v_lshlrev_b64 v[27:28], 4, v[27:28]
	v_mov_b32_e32 v26, v46
	v_mov_b32_e32 v37, s9
	v_lshlrev_b64 v[25:26], 4, v[25:26]
	v_add_co_u32_e32 v75, vcc, s8, v27
	v_mov_b32_e32 v24, v46
	v_div_scale_f64 v[31:32], s[18:19], v[6:7], v[6:7], 1.0
	v_addc_co_u32_e32 v76, vcc, v37, v28, vcc
	v_mov_b32_e32 v38, s9
	v_lshlrev_b64 v[23:24], 4, v[23:24]
	v_add_co_u32_e32 v77, vcc, s8, v25
	v_mov_b32_e32 v22, v46
	v_addc_co_u32_e32 v78, vcc, v38, v26, vcc
	v_mov_b32_e32 v39, s9
	v_lshlrev_b64 v[21:22], 4, v[21:22]
	v_add_co_u32_e32 v79, vcc, s8, v23
	v_mov_b32_e32 v20, v46
	v_rcp_f64_e32 v[35:36], v[31:32]
	v_addc_co_u32_e32 v80, vcc, v39, v24, vcc
	v_mov_b32_e32 v40, s9
	v_lshlrev_b64 v[19:20], 4, v[19:20]
	v_add_co_u32_e32 v81, vcc, s8, v21
	v_mov_b32_e32 v18, v46
	v_addc_co_u32_e32 v82, vcc, v40, v22, vcc
	v_mov_b32_e32 v41, s9
	v_lshlrev_b64 v[33:34], 4, v[17:18]
	v_add_co_u32_e32 v83, vcc, s8, v19
	v_addc_co_u32_e32 v84, vcc, v41, v20, vcc
	v_mov_b32_e32 v17, v46
	v_mov_b32_e32 v42, s9
	v_add_co_u32_e32 v85, vcc, s8, v33
	v_lshlrev_b64 v[16:17], 4, v[16:17]
	v_addc_co_u32_e32 v86, vcc, v42, v34, vcc
	v_mov_b32_e32 v30, s9
	v_add_co_u32_e32 v87, vcc, s8, v16
	v_fma_f64 v[37:38], -v[31:32], v[35:36], 1.0
	global_load_dwordx4 v[18:21], v[73:74], off
	global_load_dwordx4 v[22:25], v[75:76], off
	;; [unrolled: 1-line block ×6, first 2 shown]
	v_addc_co_u32_e32 v88, vcc, v30, v17, vcc
	global_load_dwordx4 v[65:68], v[85:86], off
	global_load_dwordx4 v[69:72], v[87:88], off
	v_div_scale_f64 v[16:17], vcc, 1.0, v[6:7], 1.0
	v_fma_f64 v[35:36], v[35:36], v[37:38], v[35:36]
	v_fma_f64 v[33:34], -v[31:32], v[35:36], 1.0
	v_fma_f64 v[33:34], v[35:36], v[33:34], v[35:36]
	v_mul_f64 v[35:36], v[16:17], v[33:34]
	v_fma_f64 v[16:17], -v[31:32], v[35:36], v[16:17]
	v_fma_f64 v[30:31], v[12:13], 0, -v[14:15]
	v_fma_f64 v[12:13], v[14:15], 0, v[12:13]
	v_div_fmas_f64 v[16:17], v[16:17], v[33:34], v[35:36]
	v_div_fixup_f64 v[6:7], v[16:17], v[6:7], 1.0
	v_mul_f64 v[51:52], v[30:31], v[6:7]
	v_mul_f64 v[6:7], v[12:13], v[6:7]
	s_waitcnt vmcnt(7)
	v_mul_f64 v[12:13], v[51:52], -v[20:21]
	v_mul_f64 v[14:15], v[51:52], v[18:19]
	s_waitcnt vmcnt(6)
	v_mul_f64 v[16:17], v[51:52], -v[24:25]
	;; [unrolled: 3-line block ×8, first 2 shown]
	v_mul_f64 v[110:111], v[51:52], v[69:70]
	v_fma_f64 v[40:41], v[18:19], v[6:7], v[12:13]
	v_fma_f64 v[42:43], v[20:21], v[6:7], v[14:15]
	;; [unrolled: 1-line block ×16, first 2 shown]
	global_store_dwordx4 v[73:74], v[40:43], off
	global_store_dwordx4 v[75:76], v[36:39], off
	;; [unrolled: 1-line block ×8, first 2 shown]
	s_and_saveexec_b64 s[18:19], s[0:1]
	s_cbranch_execz .LBB269_3
; %bb.13:                               ;   in Loop: Header=BB269_5 Depth=1
	v_add_u32_e32 v65, v101, v102
	v_add_u32_e32 v45, s23, v65
	v_lshlrev_b64 v[53:54], 4, v[45:46]
	v_mov_b32_e32 v45, s9
	v_add_co_u32_e32 v61, vcc, s8, v53
	v_addc_co_u32_e32 v62, vcc, v45, v54, vcc
	global_load_dwordx4 v[53:56], v[61:62], off
	v_add_u32_e32 v45, s24, v65
	v_lshlrev_b64 v[57:58], 4, v[45:46]
	v_add_u32_e32 v45, s25, v65
	v_mov_b32_e32 v59, s9
	v_add_co_u32_e32 v63, vcc, s8, v57
	v_addc_co_u32_e32 v64, vcc, v59, v58, vcc
	global_load_dwordx4 v[57:60], v[63:64], off
	s_waitcnt vmcnt(1)
	v_fma_f64 v[53:54], -v[0:1], v[40:41], v[53:54]
	v_fma_f64 v[55:56], -v[2:3], v[40:41], v[55:56]
	v_fma_f64 v[40:41], v[2:3], v[42:43], v[53:54]
	v_fma_f64 v[42:43], -v[0:1], v[42:43], v[55:56]
	v_lshlrev_b64 v[53:54], 4, v[45:46]
	v_mov_b32_e32 v55, s9
	v_add_co_u32_e32 v53, vcc, s8, v53
	v_addc_co_u32_e32 v54, vcc, v55, v54, vcc
	v_add_u32_e32 v45, s26, v65
	global_store_dwordx4 v[61:62], v[40:43], off
	global_load_dwordx4 v[40:43], v[53:54], off
	s_waitcnt vmcnt(2)
	v_fma_f64 v[55:56], -v[0:1], v[36:37], v[57:58]
	v_fma_f64 v[57:58], -v[2:3], v[36:37], v[59:60]
	v_fma_f64 v[36:37], v[2:3], v[38:39], v[55:56]
	v_fma_f64 v[38:39], -v[0:1], v[38:39], v[57:58]
	v_lshlrev_b64 v[55:56], 4, v[45:46]
	v_add_u32_e32 v45, s27, v65
	v_mov_b32_e32 v57, s9
	v_add_co_u32_e32 v55, vcc, s8, v55
	v_addc_co_u32_e32 v56, vcc, v57, v56, vcc
	global_store_dwordx4 v[63:64], v[36:39], off
	global_load_dwordx4 v[36:39], v[55:56], off
	s_waitcnt vmcnt(2)
	v_fma_f64 v[40:41], -v[0:1], v[32:33], v[40:41]
	v_fma_f64 v[42:43], -v[2:3], v[32:33], v[42:43]
	v_fma_f64 v[32:33], v[2:3], v[34:35], v[40:41]
	v_fma_f64 v[34:35], -v[0:1], v[34:35], v[42:43]
	v_lshlrev_b64 v[40:41], 4, v[45:46]
	v_mov_b32_e32 v42, s9
	v_add_co_u32_e32 v40, vcc, s8, v40
	v_addc_co_u32_e32 v41, vcc, v42, v41, vcc
	v_add_u32_e32 v45, s28, v65
	global_store_dwordx4 v[53:54], v[32:35], off
	global_load_dwordx4 v[32:35], v[40:41], off
	s_waitcnt vmcnt(2)
	v_fma_f64 v[36:37], -v[0:1], v[28:29], v[36:37]
	v_fma_f64 v[38:39], -v[2:3], v[28:29], v[38:39]
	v_fma_f64 v[28:29], v[2:3], v[30:31], v[36:37]
	v_fma_f64 v[30:31], -v[0:1], v[30:31], v[38:39]
	s_waitcnt vmcnt(0)
	v_fma_f64 v[32:33], -v[0:1], v[24:25], v[32:33]
	v_fma_f64 v[34:35], -v[2:3], v[24:25], v[34:35]
	v_fma_f64 v[24:25], v[2:3], v[26:27], v[32:33]
	v_fma_f64 v[26:27], -v[0:1], v[26:27], v[34:35]
	v_lshlrev_b64 v[32:33], 4, v[45:46]
	global_store_dwordx4 v[55:56], v[28:31], off
	global_store_dwordx4 v[40:41], v[24:27], off
	v_add_co_u32_e32 v32, vcc, s8, v32
	v_addc_co_u32_e32 v33, vcc, v42, v33, vcc
	global_load_dwordx4 v[24:27], v[32:33], off
	v_add_u32_e32 v45, s29, v65
	s_waitcnt vmcnt(0)
	v_fma_f64 v[24:25], -v[0:1], v[20:21], v[24:25]
	v_fma_f64 v[26:27], -v[2:3], v[20:21], v[26:27]
	v_fma_f64 v[20:21], v[2:3], v[22:23], v[24:25]
	v_fma_f64 v[22:23], -v[0:1], v[22:23], v[26:27]
	v_lshlrev_b64 v[24:25], 4, v[45:46]
	v_mov_b32_e32 v26, s9
	v_add_co_u32_e32 v24, vcc, s8, v24
	v_addc_co_u32_e32 v25, vcc, v26, v25, vcc
	v_add_u32_e32 v45, s30, v65
	global_store_dwordx4 v[32:33], v[20:23], off
	global_load_dwordx4 v[20:23], v[24:25], off
	s_waitcnt vmcnt(0)
	v_fma_f64 v[20:21], -v[0:1], v[16:17], v[20:21]
	v_fma_f64 v[22:23], -v[2:3], v[16:17], v[22:23]
	v_fma_f64 v[16:17], v[2:3], v[18:19], v[20:21]
	v_fma_f64 v[18:19], -v[0:1], v[18:19], v[22:23]
	v_lshlrev_b64 v[20:21], 4, v[45:46]
	v_mov_b32_e32 v22, s9
	v_add_co_u32_e32 v20, vcc, s8, v20
	v_addc_co_u32_e32 v21, vcc, v22, v21, vcc
	global_store_dwordx4 v[24:25], v[16:19], off
	global_load_dwordx4 v[16:19], v[20:21], off
	s_waitcnt vmcnt(0)
	v_fma_f64 v[16:17], -v[0:1], v[12:13], v[16:17]
	v_fma_f64 v[18:19], -v[2:3], v[12:13], v[18:19]
	v_fma_f64 v[12:13], v[2:3], v[14:15], v[16:17]
	v_fma_f64 v[14:15], -v[0:1], v[14:15], v[18:19]
	global_store_dwordx4 v[20:21], v[12:15], off
	s_branch .LBB269_3
.LBB269_14:
	s_or_b64 exec, exec, s[4:5]
	s_branch .LBB269_16
.LBB269_15:
	v_mov_b32_e32 v102, 0
.LBB269_16:
	v_subrev_u32_e32 v2, s20, v102
	v_add_u32_e32 v0, v2, v44
	v_ashrrev_i32_e32 v1, 31, v0
	v_lshlrev_b64 v[0:1], 2, v[0:1]
	s_waitcnt lgkmcnt(0)
	v_mov_b32_e32 v3, s17
	v_add_co_u32_e32 v0, vcc, s16, v0
	v_addc_co_u32_e32 v1, vcc, v3, v1, vcc
	s_waitcnt vmcnt(0)
	buffer_wbinvl1_vol
	global_load_dword v0, v[0:1], off
	s_waitcnt vmcnt(0)
	v_mul_lo_u32 v0, v0, s20
	v_sub_u32_e32 v8, v2, v0
	v_cmp_lt_i32_e32 vcc, -1, v8
	s_and_b64 exec, exec, vcc
	s_cbranch_execz .LBB269_23
; %bb.17:
	s_lshl_b32 s4, s22, 3
	s_add_i32 s5, s4, s21
	s_add_i32 s6, s5, s21
	s_add_i32 s7, s6, s21
	s_add_i32 s12, s7, s21
	s_add_i32 s13, s12, s21
	s_add_i32 s14, s13, s21
	s_add_i32 s15, s14, s21
	s_and_b32 s18, s21, -2
	s_mov_b64 s[0:1], 0
	v_mov_b32_e32 v9, s17
	v_mov_b32_e32 v10, s11
	;; [unrolled: 1-line block ×3, first 2 shown]
	s_branch .LBB269_19
.LBB269_18:                             ;   in Loop: Header=BB269_19 Depth=1
	s_or_b64 exec, exec, s[2:3]
	v_sub_u32_e32 v8, v8, v4
	v_cmp_gt_i32_e32 vcc, 0, v8
	s_or_b64 s[0:1], vcc, s[0:1]
	s_andn2_b64 exec, exec, s[0:1]
	s_cbranch_execz .LBB269_23
.LBB269_19:                             ; =>This Inner Loop Header: Depth=1
	v_add_u32_e32 v6, v8, v44
	v_ashrrev_i32_e32 v7, 31, v6
	s_waitcnt vmcnt(0)
	v_lshlrev_b64 v[0:1], 2, v[6:7]
	v_add_co_u32_e32 v0, vcc, s16, v0
	v_addc_co_u32_e32 v1, vcc, v9, v1, vcc
	global_load_dword v4, v[0:1], off
	v_lshlrev_b64 v[0:1], 4, v[6:7]
	v_add_co_u32_e32 v0, vcc, s10, v0
	v_addc_co_u32_e32 v1, vcc, v10, v1, vcc
	global_load_dwordx4 v[0:3], v[0:1], off
	s_waitcnt vmcnt(1)
	v_cmp_ne_u32_e32 vcc, 1, v4
	s_and_saveexec_b64 s[2:3], vcc
	s_xor_b64 s[2:3], exec, s[2:3]
	s_cbranch_execz .LBB269_21
; %bb.20:                               ;   in Loop: Header=BB269_19 Depth=1
	v_add_u32_e32 v7, v101, v8
	v_add_u32_e32 v4, s4, v7
	v_lshlrev_b64 v[11:12], 4, v[4:5]
	v_mov_b32_e32 v4, s9
	v_add_co_u32_e32 v11, vcc, s8, v11
	v_addc_co_u32_e32 v12, vcc, v4, v12, vcc
	v_add_u32_e32 v4, s5, v7
	v_lshlrev_b64 v[19:20], 4, v[4:5]
	v_add_u32_e32 v4, s6, v7
	v_lshlrev_b64 v[23:24], 4, v[4:5]
	;; [unrolled: 2-line block ×8, first 2 shown]
	v_mov_b32_e32 v4, s9
	v_add_co_u32_e32 v49, vcc, s8, v15
	v_addc_co_u32_e32 v50, vcc, v4, v16, vcc
	global_load_dwordx4 v[11:14], v[11:12], off
	v_add_co_u32_e32 v19, vcc, s8, v19
	global_load_dwordx4 v[15:18], v[49:50], off
	v_addc_co_u32_e32 v20, vcc, v4, v20, vcc
	global_load_dwordx4 v[19:22], v[19:20], off
	v_mov_b32_e32 v7, s9
	v_add_co_u32_e32 v35, vcc, s8, v23
	v_addc_co_u32_e32 v36, vcc, v7, v24, vcc
	v_mov_b32_e32 v27, s9
	v_add_co_u32_e32 v37, vcc, s8, v25
	v_addc_co_u32_e32 v38, vcc, v27, v26, vcc
	;; [unrolled: 3-line block ×5, first 2 shown]
	v_add_u32_e32 v4, s5, v6
	v_mov_b32_e32 v54, s9
	v_add_co_u32_e32 v53, vcc, s8, v41
	v_lshlrev_b64 v[55:56], 4, v[4:5]
	v_addc_co_u32_e32 v54, vcc, v54, v42, vcc
	v_mov_b32_e32 v57, s9
	global_load_dwordx4 v[23:26], v[35:36], off
	global_load_dwordx4 v[27:30], v[37:38], off
	global_load_dwordx4 v[31:34], v[45:46], off
	s_nop 0
	global_load_dwordx4 v[35:38], v[47:48], off
	global_load_dwordx4 v[39:42], v[51:52], off
	s_nop 0
	global_load_dwordx4 v[45:48], v[53:54], off
	v_add_co_u32_e32 v51, vcc, s8, v55
	v_addc_co_u32_e32 v52, vcc, v57, v56, vcc
	v_add_u32_e32 v4, s6, v6
	s_waitcnt vmcnt(7)
	v_fma_f64 v[15:16], -v[0:1], v[11:12], v[15:16]
	v_fma_f64 v[17:18], -v[2:3], v[11:12], v[17:18]
	v_fma_f64 v[15:16], v[2:3], v[13:14], v[15:16]
	v_fma_f64 v[17:18], -v[0:1], v[13:14], v[17:18]
	global_store_dwordx4 v[49:50], v[15:18], off
	global_load_dwordx4 v[15:18], v[51:52], off
	v_lshlrev_b64 v[49:50], 4, v[4:5]
	v_add_u32_e32 v4, s7, v6
	v_add_co_u32_e32 v49, vcc, s8, v49
	v_addc_co_u32_e32 v50, vcc, v7, v50, vcc
	s_waitcnt vmcnt(0)
	v_fma_f64 v[15:16], -v[0:1], v[19:20], v[15:16]
	v_fma_f64 v[17:18], -v[2:3], v[19:20], v[17:18]
	v_fma_f64 v[15:16], v[2:3], v[21:22], v[15:16]
	v_fma_f64 v[17:18], -v[0:1], v[21:22], v[17:18]
	global_store_dwordx4 v[51:52], v[15:18], off
	global_load_dwordx4 v[15:18], v[49:50], off
	v_lshlrev_b64 v[51:52], 4, v[4:5]
	v_add_u32_e32 v4, s12, v6
	v_add_co_u32_e32 v51, vcc, s8, v51
	v_addc_co_u32_e32 v52, vcc, v7, v52, vcc
	;; [unrolled: 11-line block ×5, first 2 shown]
	v_lshlrev_b64 v[6:7], 4, v[4:5]
	v_subrev_u32_e32 v4, s20, v8
	v_add_co_u32_e32 v6, vcc, s8, v6
	v_addc_co_u32_e32 v7, vcc, v43, v7, vcc
	v_mov_b32_e32 v43, s11
	s_waitcnt vmcnt(0)
	v_fma_f64 v[15:16], -v[0:1], v[35:36], v[15:16]
	v_fma_f64 v[17:18], -v[2:3], v[35:36], v[17:18]
	v_fma_f64 v[15:16], v[2:3], v[37:38], v[15:16]
	v_fma_f64 v[17:18], -v[0:1], v[37:38], v[17:18]
	global_store_dwordx4 v[51:52], v[15:18], off
	global_load_dwordx4 v[15:18], v[49:50], off
	v_mov_b32_e32 v52, s9
	s_waitcnt vmcnt(0)
	v_fma_f64 v[15:16], -v[0:1], v[39:40], v[15:16]
	v_fma_f64 v[17:18], -v[2:3], v[39:40], v[17:18]
	v_fma_f64 v[15:16], v[2:3], v[41:42], v[15:16]
	v_fma_f64 v[17:18], -v[0:1], v[41:42], v[17:18]
	global_store_dwordx4 v[49:50], v[15:18], off
	global_load_dwordx4 v[15:18], v[6:7], off
	v_add_u32_e32 v49, v4, v44
	v_ashrrev_i32_e32 v50, 31, v49
	v_lshlrev_b64 v[50:51], 4, v[49:50]
	v_add_u32_e32 v4, s4, v49
	v_add_co_u32_e32 v50, vcc, s10, v50
	v_addc_co_u32_e32 v51, vcc, v43, v51, vcc
	s_waitcnt vmcnt(0)
	v_fma_f64 v[15:16], -v[0:1], v[45:46], v[15:16]
	v_fma_f64 v[17:18], -v[2:3], v[45:46], v[17:18]
	v_fma_f64 v[15:16], v[2:3], v[47:48], v[15:16]
	v_fma_f64 v[17:18], -v[0:1], v[47:48], v[17:18]
	global_load_dwordx4 v[0:3], v[50:51], off
	v_lshlrev_b64 v[50:51], 4, v[4:5]
	v_add_u32_e32 v4, s5, v49
	v_add_co_u32_e32 v50, vcc, s8, v50
	v_addc_co_u32_e32 v51, vcc, v52, v51, vcc
	global_store_dwordx4 v[6:7], v[15:18], off
	global_load_dwordx4 v[15:18], v[50:51], off
	s_waitcnt vmcnt(0)
	v_fma_f64 v[6:7], -v[0:1], v[11:12], v[15:16]
	v_fma_f64 v[15:16], -v[2:3], v[11:12], v[17:18]
	v_mov_b32_e32 v17, s9
	v_fma_f64 v[11:12], v[2:3], v[13:14], v[6:7]
	v_fma_f64 v[13:14], -v[0:1], v[13:14], v[15:16]
	v_lshlrev_b64 v[6:7], 4, v[4:5]
	v_mov_b32_e32 v15, s9
	v_add_co_u32_e32 v6, vcc, s8, v6
	v_addc_co_u32_e32 v7, vcc, v15, v7, vcc
	v_add_u32_e32 v4, s6, v49
	global_store_dwordx4 v[50:51], v[11:14], off
	global_load_dwordx4 v[11:14], v[6:7], off
	v_lshlrev_b64 v[15:16], 4, v[4:5]
	v_add_u32_e32 v4, s7, v49
	v_add_co_u32_e32 v15, vcc, s8, v15
	v_addc_co_u32_e32 v16, vcc, v17, v16, vcc
	s_waitcnt vmcnt(0)
	v_fma_f64 v[11:12], -v[0:1], v[19:20], v[11:12]
	v_fma_f64 v[13:14], -v[2:3], v[19:20], v[13:14]
	v_fma_f64 v[11:12], v[2:3], v[21:22], v[11:12]
	v_fma_f64 v[13:14], -v[0:1], v[21:22], v[13:14]
	global_store_dwordx4 v[6:7], v[11:14], off
	global_load_dwordx4 v[11:14], v[15:16], off
	s_waitcnt vmcnt(0)
	v_fma_f64 v[6:7], -v[0:1], v[23:24], v[11:12]
	v_fma_f64 v[13:14], -v[2:3], v[23:24], v[13:14]
	v_fma_f64 v[11:12], v[2:3], v[25:26], v[6:7]
	v_fma_f64 v[13:14], -v[0:1], v[25:26], v[13:14]
	v_lshlrev_b64 v[6:7], 4, v[4:5]
	v_add_u32_e32 v4, s12, v49
	v_add_co_u32_e32 v6, vcc, s8, v6
	v_addc_co_u32_e32 v7, vcc, v17, v7, vcc
	global_store_dwordx4 v[15:16], v[11:14], off
	global_load_dwordx4 v[11:14], v[6:7], off
	v_lshlrev_b64 v[15:16], 4, v[4:5]
	v_add_u32_e32 v4, s13, v49
	v_add_co_u32_e32 v15, vcc, s8, v15
	v_addc_co_u32_e32 v16, vcc, v17, v16, vcc
	s_waitcnt vmcnt(0)
	v_fma_f64 v[11:12], -v[0:1], v[27:28], v[11:12]
	v_fma_f64 v[13:14], -v[2:3], v[27:28], v[13:14]
	v_fma_f64 v[11:12], v[2:3], v[29:30], v[11:12]
	v_fma_f64 v[13:14], -v[0:1], v[29:30], v[13:14]
	global_store_dwordx4 v[6:7], v[11:14], off
	global_load_dwordx4 v[11:14], v[15:16], off
	s_waitcnt vmcnt(0)
	v_fma_f64 v[6:7], -v[0:1], v[31:32], v[11:12]
	v_fma_f64 v[13:14], -v[2:3], v[31:32], v[13:14]
	v_fma_f64 v[11:12], v[2:3], v[33:34], v[6:7]
	v_fma_f64 v[13:14], -v[0:1], v[33:34], v[13:14]
	v_lshlrev_b64 v[6:7], 4, v[4:5]
	v_add_u32_e32 v4, s14, v49
	v_add_co_u32_e32 v6, vcc, s8, v6
	v_addc_co_u32_e32 v7, vcc, v17, v7, vcc
	global_store_dwordx4 v[15:16], v[11:14], off
	global_load_dwordx4 v[11:14], v[6:7], off
	v_lshlrev_b64 v[15:16], 4, v[4:5]
	v_add_u32_e32 v4, s15, v49
	v_add_co_u32_e32 v15, vcc, s8, v15
	v_addc_co_u32_e32 v16, vcc, v17, v16, vcc
	s_waitcnt vmcnt(0)
	v_fma_f64 v[11:12], -v[0:1], v[35:36], v[11:12]
	v_fma_f64 v[13:14], -v[2:3], v[35:36], v[13:14]
	v_fma_f64 v[11:12], v[2:3], v[37:38], v[11:12]
	v_fma_f64 v[13:14], -v[0:1], v[37:38], v[13:14]
	global_store_dwordx4 v[6:7], v[11:14], off
	global_load_dwordx4 v[11:14], v[15:16], off
	s_waitcnt vmcnt(0)
	v_fma_f64 v[6:7], -v[0:1], v[39:40], v[11:12]
	v_fma_f64 v[13:14], -v[2:3], v[39:40], v[13:14]
	v_fma_f64 v[11:12], v[2:3], v[41:42], v[6:7]
	v_fma_f64 v[13:14], -v[0:1], v[41:42], v[13:14]
	v_lshlrev_b64 v[6:7], 4, v[4:5]
	v_add_co_u32_e32 v6, vcc, s8, v6
	v_addc_co_u32_e32 v7, vcc, v17, v7, vcc
	global_store_dwordx4 v[15:16], v[11:14], off
	global_load_dwordx4 v[11:14], v[6:7], off
	s_waitcnt vmcnt(0)
	v_fma_f64 v[11:12], -v[0:1], v[45:46], v[11:12]
	v_fma_f64 v[13:14], -v[2:3], v[45:46], v[13:14]
	v_fma_f64 v[11:12], v[2:3], v[47:48], v[11:12]
	v_fma_f64 v[13:14], -v[0:1], v[47:48], v[13:14]
                                        ; implicit-def: $vgpr0_vgpr1
	global_store_dwordx4 v[6:7], v[11:14], off
                                        ; implicit-def: $vgpr6
.LBB269_21:                             ;   in Loop: Header=BB269_19 Depth=1
	s_or_saveexec_b64 s[2:3], s[2:3]
	v_mov_b32_e32 v4, s18
	s_xor_b64 exec, exec, s[2:3]
	s_cbranch_execz .LBB269_18
; %bb.22:                               ;   in Loop: Header=BB269_19 Depth=1
	v_add_u32_e32 v7, v101, v8
	v_add_u32_e32 v4, s4, v7
	v_lshlrev_b64 v[11:12], 4, v[4:5]
	v_mov_b32_e32 v4, s9
	v_add_co_u32_e32 v19, vcc, s8, v11
	v_addc_co_u32_e32 v20, vcc, v4, v12, vcc
	v_add_u32_e32 v4, s4, v6
	v_lshlrev_b64 v[11:12], 4, v[4:5]
	v_mov_b32_e32 v4, s9
	v_add_co_u32_e32 v21, vcc, s8, v11
	v_addc_co_u32_e32 v22, vcc, v4, v12, vcc
	global_load_dwordx4 v[11:14], v[19:20], off
	global_load_dwordx4 v[15:18], v[21:22], off
	v_add_u32_e32 v4, s5, v7
	v_lshlrev_b64 v[19:20], 4, v[4:5]
	v_add_u32_e32 v4, s5, v6
	v_mov_b32_e32 v25, s9
	v_lshlrev_b64 v[23:24], 4, v[4:5]
	v_add_co_u32_e32 v19, vcc, s8, v19
	v_addc_co_u32_e32 v20, vcc, v25, v20, vcc
	v_mov_b32_e32 v26, s9
	v_add_co_u32_e32 v23, vcc, s8, v23
	v_addc_co_u32_e32 v24, vcc, v26, v24, vcc
	v_add_u32_e32 v4, s6, v7
	s_waitcnt vmcnt(0)
	v_fma_f64 v[15:16], -v[0:1], v[11:12], v[15:16]
	v_fma_f64 v[17:18], -v[2:3], v[11:12], v[17:18]
	v_fma_f64 v[11:12], v[2:3], v[13:14], v[15:16]
	v_fma_f64 v[13:14], -v[0:1], v[13:14], v[17:18]
	global_store_dwordx4 v[21:22], v[11:14], off
	global_load_dwordx4 v[11:14], v[19:20], off
	s_nop 0
	global_load_dwordx4 v[15:18], v[23:24], off
	v_lshlrev_b64 v[19:20], 4, v[4:5]
	v_add_u32_e32 v4, s6, v6
	v_lshlrev_b64 v[21:22], 4, v[4:5]
	v_add_co_u32_e32 v19, vcc, s8, v19
	v_addc_co_u32_e32 v20, vcc, v25, v20, vcc
	v_add_co_u32_e32 v21, vcc, s8, v21
	v_addc_co_u32_e32 v22, vcc, v26, v22, vcc
	v_add_u32_e32 v4, s7, v7
	s_waitcnt vmcnt(0)
	v_fma_f64 v[15:16], -v[0:1], v[11:12], v[15:16]
	v_fma_f64 v[17:18], -v[2:3], v[11:12], v[17:18]
	v_fma_f64 v[11:12], v[2:3], v[13:14], v[15:16]
	v_fma_f64 v[13:14], -v[0:1], v[13:14], v[17:18]
	global_store_dwordx4 v[23:24], v[11:14], off
	global_load_dwordx4 v[11:14], v[19:20], off
	s_nop 0
	global_load_dwordx4 v[15:18], v[21:22], off
	v_lshlrev_b64 v[19:20], 4, v[4:5]
	v_add_u32_e32 v4, s7, v6
	v_lshlrev_b64 v[23:24], 4, v[4:5]
	v_add_co_u32_e32 v19, vcc, s8, v19
	v_addc_co_u32_e32 v20, vcc, v25, v20, vcc
	;; [unrolled: 17-line block ×5, first 2 shown]
	v_add_co_u32_e32 v21, vcc, s8, v21
	v_addc_co_u32_e32 v22, vcc, v26, v22, vcc
	v_add_u32_e32 v4, s15, v7
	s_waitcnt vmcnt(0)
	v_fma_f64 v[15:16], -v[0:1], v[11:12], v[15:16]
	v_fma_f64 v[17:18], -v[2:3], v[11:12], v[17:18]
	v_fma_f64 v[11:12], v[2:3], v[13:14], v[15:16]
	v_fma_f64 v[13:14], -v[0:1], v[13:14], v[17:18]
	global_store_dwordx4 v[23:24], v[11:14], off
	global_load_dwordx4 v[11:14], v[19:20], off
	s_nop 0
	global_load_dwordx4 v[15:18], v[21:22], off
	v_lshlrev_b64 v[19:20], 4, v[4:5]
	v_add_u32_e32 v4, s15, v6
	v_mov_b32_e32 v23, s9
	v_lshlrev_b64 v[6:7], 4, v[4:5]
	v_add_co_u32_e32 v19, vcc, s8, v19
	v_addc_co_u32_e32 v20, vcc, v23, v20, vcc
	v_mov_b32_e32 v24, s9
	v_add_co_u32_e32 v6, vcc, s8, v6
	v_addc_co_u32_e32 v7, vcc, v24, v7, vcc
	v_mov_b32_e32 v4, s20
	s_waitcnt vmcnt(0)
	v_fma_f64 v[15:16], -v[0:1], v[11:12], v[15:16]
	v_fma_f64 v[17:18], -v[2:3], v[11:12], v[17:18]
	v_fma_f64 v[11:12], v[2:3], v[13:14], v[15:16]
	v_fma_f64 v[13:14], -v[0:1], v[13:14], v[17:18]
	global_store_dwordx4 v[21:22], v[11:14], off
	global_load_dwordx4 v[11:14], v[19:20], off
	s_nop 0
	global_load_dwordx4 v[15:18], v[6:7], off
	s_waitcnt vmcnt(0)
	v_fma_f64 v[15:16], -v[0:1], v[11:12], v[15:16]
	v_fma_f64 v[17:18], -v[2:3], v[11:12], v[17:18]
	v_fma_f64 v[11:12], v[2:3], v[13:14], v[15:16]
	v_fma_f64 v[13:14], -v[0:1], v[13:14], v[17:18]
	global_store_dwordx4 v[6:7], v[11:14], off
	s_branch .LBB269_18
.LBB269_23:
	s_endpgm
	.section	.rodata,"a",@progbits
	.p2align	6, 0x0
	.amdhsa_kernel _ZN9rocsparseL19gtsv_LBM_rhs_kernelILj256ELj2ELj8E21rocsparse_complex_numIdEEEviiiPKT2_S5_S5_PS3_S5_PKi
		.amdhsa_group_segment_fixed_size 0
		.amdhsa_private_segment_fixed_size 0
		.amdhsa_kernarg_size 64
		.amdhsa_user_sgpr_count 6
		.amdhsa_user_sgpr_private_segment_buffer 1
		.amdhsa_user_sgpr_dispatch_ptr 0
		.amdhsa_user_sgpr_queue_ptr 0
		.amdhsa_user_sgpr_kernarg_segment_ptr 1
		.amdhsa_user_sgpr_dispatch_id 0
		.amdhsa_user_sgpr_flat_scratch_init 0
		.amdhsa_user_sgpr_private_segment_size 0
		.amdhsa_uses_dynamic_stack 0
		.amdhsa_system_sgpr_private_segment_wavefront_offset 0
		.amdhsa_system_sgpr_workgroup_id_x 1
		.amdhsa_system_sgpr_workgroup_id_y 1
		.amdhsa_system_sgpr_workgroup_id_z 0
		.amdhsa_system_sgpr_workgroup_info 0
		.amdhsa_system_vgpr_workitem_id 0
		.amdhsa_next_free_vgpr 126
		.amdhsa_next_free_sgpr 32
		.amdhsa_reserve_vcc 1
		.amdhsa_reserve_flat_scratch 0
		.amdhsa_float_round_mode_32 0
		.amdhsa_float_round_mode_16_64 0
		.amdhsa_float_denorm_mode_32 3
		.amdhsa_float_denorm_mode_16_64 3
		.amdhsa_dx10_clamp 1
		.amdhsa_ieee_mode 1
		.amdhsa_fp16_overflow 0
		.amdhsa_exception_fp_ieee_invalid_op 0
		.amdhsa_exception_fp_denorm_src 0
		.amdhsa_exception_fp_ieee_div_zero 0
		.amdhsa_exception_fp_ieee_overflow 0
		.amdhsa_exception_fp_ieee_underflow 0
		.amdhsa_exception_fp_ieee_inexact 0
		.amdhsa_exception_int_div_zero 0
	.end_amdhsa_kernel
	.section	.text._ZN9rocsparseL19gtsv_LBM_rhs_kernelILj256ELj2ELj8E21rocsparse_complex_numIdEEEviiiPKT2_S5_S5_PS3_S5_PKi,"axG",@progbits,_ZN9rocsparseL19gtsv_LBM_rhs_kernelILj256ELj2ELj8E21rocsparse_complex_numIdEEEviiiPKT2_S5_S5_PS3_S5_PKi,comdat
.Lfunc_end269:
	.size	_ZN9rocsparseL19gtsv_LBM_rhs_kernelILj256ELj2ELj8E21rocsparse_complex_numIdEEEviiiPKT2_S5_S5_PS3_S5_PKi, .Lfunc_end269-_ZN9rocsparseL19gtsv_LBM_rhs_kernelILj256ELj2ELj8E21rocsparse_complex_numIdEEEviiiPKT2_S5_S5_PS3_S5_PKi
                                        ; -- End function
	.set _ZN9rocsparseL19gtsv_LBM_rhs_kernelILj256ELj2ELj8E21rocsparse_complex_numIdEEEviiiPKT2_S5_S5_PS3_S5_PKi.num_vgpr, 126
	.set _ZN9rocsparseL19gtsv_LBM_rhs_kernelILj256ELj2ELj8E21rocsparse_complex_numIdEEEviiiPKT2_S5_S5_PS3_S5_PKi.num_agpr, 0
	.set _ZN9rocsparseL19gtsv_LBM_rhs_kernelILj256ELj2ELj8E21rocsparse_complex_numIdEEEviiiPKT2_S5_S5_PS3_S5_PKi.numbered_sgpr, 32
	.set _ZN9rocsparseL19gtsv_LBM_rhs_kernelILj256ELj2ELj8E21rocsparse_complex_numIdEEEviiiPKT2_S5_S5_PS3_S5_PKi.num_named_barrier, 0
	.set _ZN9rocsparseL19gtsv_LBM_rhs_kernelILj256ELj2ELj8E21rocsparse_complex_numIdEEEviiiPKT2_S5_S5_PS3_S5_PKi.private_seg_size, 0
	.set _ZN9rocsparseL19gtsv_LBM_rhs_kernelILj256ELj2ELj8E21rocsparse_complex_numIdEEEviiiPKT2_S5_S5_PS3_S5_PKi.uses_vcc, 1
	.set _ZN9rocsparseL19gtsv_LBM_rhs_kernelILj256ELj2ELj8E21rocsparse_complex_numIdEEEviiiPKT2_S5_S5_PS3_S5_PKi.uses_flat_scratch, 0
	.set _ZN9rocsparseL19gtsv_LBM_rhs_kernelILj256ELj2ELj8E21rocsparse_complex_numIdEEEviiiPKT2_S5_S5_PS3_S5_PKi.has_dyn_sized_stack, 0
	.set _ZN9rocsparseL19gtsv_LBM_rhs_kernelILj256ELj2ELj8E21rocsparse_complex_numIdEEEviiiPKT2_S5_S5_PS3_S5_PKi.has_recursion, 0
	.set _ZN9rocsparseL19gtsv_LBM_rhs_kernelILj256ELj2ELj8E21rocsparse_complex_numIdEEEviiiPKT2_S5_S5_PS3_S5_PKi.has_indirect_call, 0
	.section	.AMDGPU.csdata,"",@progbits
; Kernel info:
; codeLenInByte = 7288
; TotalNumSgprs: 36
; NumVgprs: 126
; ScratchSize: 0
; MemoryBound: 1
; FloatMode: 240
; IeeeMode: 1
; LDSByteSize: 0 bytes/workgroup (compile time only)
; SGPRBlocks: 4
; VGPRBlocks: 31
; NumSGPRsForWavesPerEU: 36
; NumVGPRsForWavesPerEU: 126
; Occupancy: 2
; WaveLimiterHint : 0
; COMPUTE_PGM_RSRC2:SCRATCH_EN: 0
; COMPUTE_PGM_RSRC2:USER_SGPR: 6
; COMPUTE_PGM_RSRC2:TRAP_HANDLER: 0
; COMPUTE_PGM_RSRC2:TGID_X_EN: 1
; COMPUTE_PGM_RSRC2:TGID_Y_EN: 1
; COMPUTE_PGM_RSRC2:TGID_Z_EN: 0
; COMPUTE_PGM_RSRC2:TIDIG_COMP_CNT: 0
	.section	.text._ZN9rocsparseL19gtsv_LBM_rhs_kernelILj256ELj2ELj4E21rocsparse_complex_numIdEEEviiiPKT2_S5_S5_PS3_S5_PKi,"axG",@progbits,_ZN9rocsparseL19gtsv_LBM_rhs_kernelILj256ELj2ELj4E21rocsparse_complex_numIdEEEviiiPKT2_S5_S5_PS3_S5_PKi,comdat
	.globl	_ZN9rocsparseL19gtsv_LBM_rhs_kernelILj256ELj2ELj4E21rocsparse_complex_numIdEEEviiiPKT2_S5_S5_PS3_S5_PKi ; -- Begin function _ZN9rocsparseL19gtsv_LBM_rhs_kernelILj256ELj2ELj4E21rocsparse_complex_numIdEEEviiiPKT2_S5_S5_PS3_S5_PKi
	.p2align	8
	.type	_ZN9rocsparseL19gtsv_LBM_rhs_kernelILj256ELj2ELj4E21rocsparse_complex_numIdEEEviiiPKT2_S5_S5_PS3_S5_PKi,@function
_ZN9rocsparseL19gtsv_LBM_rhs_kernelILj256ELj2ELj4E21rocsparse_complex_numIdEEEviiiPKT2_S5_S5_PS3_S5_PKi: ; @_ZN9rocsparseL19gtsv_LBM_rhs_kernelILj256ELj2ELj4E21rocsparse_complex_numIdEEEviiiPKT2_S5_S5_PS3_S5_PKi
; %bb.0:
	s_load_dword s21, s[4:5], 0x0
	v_lshl_or_b32 v28, s6, 8, v0
	s_waitcnt lgkmcnt(0)
	s_lshr_b32 s20, s21, 1
	v_cmp_gt_i32_e32 vcc, s20, v28
	s_and_saveexec_b64 s[0:1], vcc
	s_cbranch_execz .LBB270_23
; %bb.1:
	s_load_dwordx4 s[8:11], s[4:5], 0x28
	s_load_dwordx2 s[16:17], s[4:5], 0x38
	s_cmp_lt_i32 s21, 1
	v_add_u32_e32 v41, s20, v28
	s_mul_i32 s22, s7, s21
	s_cbranch_scc1 .LBB270_15
; %bb.2:
	s_load_dwordx4 s[12:15], s[4:5], 0x10
	s_load_dwordx2 s[6:7], s[4:5], 0x20
	v_ashrrev_i32_e32 v29, 31, v28
	v_lshlrev_b64 v[0:1], 4, v[28:29]
	s_lshl_b32 s23, s22, 2
	s_waitcnt lgkmcnt(0)
	v_mov_b32_e32 v2, s15
	v_add_co_u32_e32 v0, vcc, s14, v0
	v_addc_co_u32_e32 v1, vcc, v2, v1, vcc
	global_load_dwordx4 v[4:7], v[0:1], off
	s_add_i32 s24, s23, s21
	s_add_i32 s25, s24, s21
	;; [unrolled: 1-line block ×3, first 2 shown]
	s_and_b32 s27, s21, 0x7ffffffe
	v_mov_b32_e32 v30, 0
	s_mov_b64 s[4:5], 0
	v_mov_b32_e32 v43, s7
	v_mov_b32_e32 v42, 0
	s_branch .LBB270_5
.LBB270_3:                              ;   in Loop: Header=BB270_5 Depth=1
	s_or_b64 exec, exec, s[18:19]
	v_fma_f64 v[2:3], v[2:3], v[8:9], v[31:32]
	v_fma_f64 v[0:1], v[0:1], v[8:9], v[33:34]
	v_mov_b32_e32 v19, s20
	v_mul_f64 v[4:5], v[35:36], -v[2:3]
	v_mul_f64 v[6:7], v[35:36], v[0:1]
	v_fma_f64 v[0:1], v[0:1], v[10:11], v[4:5]
	v_fma_f64 v[2:3], v[2:3], v[10:11], v[6:7]
	v_add_f64 v[10:11], v[12:13], -v[0:1]
	v_add_f64 v[17:18], v[14:15], -v[2:3]
.LBB270_4:                              ;   in Loop: Header=BB270_5 Depth=1
	s_or_b64 exec, exec, s[2:3]
	v_add_u32_e32 v42, v19, v42
	v_cmp_le_i32_e32 vcc, s21, v42
	v_mov_b32_e32 v6, v17
	v_mov_b32_e32 v4, v10
	s_or_b64 s[4:5], vcc, s[4:5]
	v_mov_b32_e32 v7, v18
	v_mov_b32_e32 v5, v11
	s_andn2_b64 exec, exec, s[4:5]
	s_cbranch_execz .LBB270_14
.LBB270_5:                              ; =>This Inner Loop Header: Depth=1
	v_add_u32_e32 v17, v42, v28
	v_ashrrev_i32_e32 v18, 31, v17
	v_lshlrev_b64 v[0:1], 4, v[17:18]
	v_mov_b32_e32 v12, 0
	v_add_co_u32_e32 v0, vcc, s6, v0
	v_addc_co_u32_e32 v1, vcc, v43, v1, vcc
	global_load_dwordx4 v[8:11], v[0:1], off
	v_mov_b32_e32 v0, 0
	v_mov_b32_e32 v2, 0
	;; [unrolled: 1-line block ×5, first 2 shown]
	v_cmp_gt_u32_e64 s[0:1], s20, v42
	s_and_saveexec_b64 s[2:3], s[0:1]
	s_cbranch_execz .LBB270_7
; %bb.6:                                ;   in Loop: Header=BB270_5 Depth=1
	v_add_u32_e32 v0, v41, v42
	v_ashrrev_i32_e32 v1, 31, v0
	v_lshlrev_b64 v[0:1], 4, v[0:1]
	v_mov_b32_e32 v2, s13
	v_add_co_u32_e32 v0, vcc, s12, v0
	v_addc_co_u32_e32 v1, vcc, v2, v1, vcc
	global_load_dwordx4 v[0:3], v[0:1], off
.LBB270_7:                              ;   in Loop: Header=BB270_5 Depth=1
	s_or_b64 exec, exec, s[2:3]
	v_mov_b32_e32 v14, 0
	v_mov_b32_e32 v15, 0
	s_and_saveexec_b64 s[2:3], s[0:1]
	s_cbranch_execz .LBB270_9
; %bb.8:                                ;   in Loop: Header=BB270_5 Depth=1
	v_add_u32_e32 v12, v41, v42
	v_ashrrev_i32_e32 v13, 31, v12
	v_lshlrev_b64 v[12:13], 4, v[12:13]
	v_mov_b32_e32 v14, s15
	v_add_co_u32_e32 v12, vcc, s14, v12
	v_addc_co_u32_e32 v13, vcc, v14, v13, vcc
	global_load_dwordx4 v[12:15], v[12:13], off
.LBB270_9:                              ;   in Loop: Header=BB270_5 Depth=1
	s_or_b64 exec, exec, s[2:3]
	v_lshlrev_b64 v[18:19], 2, v[17:18]
	v_mov_b32_e32 v16, s17
	v_add_co_u32_e32 v18, vcc, s16, v18
	v_addc_co_u32_e32 v19, vcc, v16, v19, vcc
	global_load_dword v18, v[18:19], off
	s_waitcnt vmcnt(1)
	v_mul_f64 v[33:34], v[10:11], -v[2:3]
	v_mul_f64 v[31:32], v[10:11], v[0:1]
	v_cmp_ne_u32_e32 vcc, s20, v42
	v_add_u32_e32 v29, s23, v17
	v_add_u32_e32 v20, s24, v17
	;; [unrolled: 1-line block ×4, first 2 shown]
	s_waitcnt vmcnt(0)
	v_cmp_ne_u32_e64 s[2:3], 1, v18
	s_and_b64 s[2:3], vcc, s[2:3]
	s_and_saveexec_b64 s[18:19], s[2:3]
	s_xor_b64 s[2:3], exec, s[18:19]
	s_cbranch_execz .LBB270_11
; %bb.10:                               ;   in Loop: Header=BB270_5 Depth=1
	v_mul_f64 v[21:22], v[4:5], v[14:15]
	v_mul_f64 v[17:18], v[14:15], -v[6:7]
	v_fma_f64 v[25:26], v[2:3], v[8:9], v[31:32]
	v_fma_f64 v[23:24], v[0:1], v[8:9], v[33:34]
	v_add_u32_e32 v74, v41, v42
	v_fma_f64 v[21:22], v[6:7], v[12:13], v[21:22]
	v_fma_f64 v[17:18], v[4:5], v[12:13], v[17:18]
	v_add_f64 v[21:22], v[21:22], -v[25:26]
	v_add_f64 v[17:18], v[17:18], -v[23:24]
	v_mul_f64 v[23:24], v[21:22], v[21:22]
	v_fma_f64 v[23:24], v[17:18], v[17:18], v[23:24]
	v_div_scale_f64 v[25:26], s[18:19], v[23:24], v[23:24], 1.0
	v_rcp_f64_e32 v[31:32], v[25:26]
	v_fma_f64 v[33:34], -v[25:26], v[31:32], 1.0
	v_fma_f64 v[31:32], v[31:32], v[33:34], v[31:32]
	v_fma_f64 v[33:34], -v[25:26], v[31:32], 1.0
	v_fma_f64 v[31:32], v[31:32], v[33:34], v[31:32]
	v_div_scale_f64 v[33:34], vcc, 1.0, v[23:24], 1.0
	v_mul_f64 v[36:37], v[33:34], v[31:32]
	v_fma_f64 v[25:26], -v[25:26], v[36:37], v[33:34]
	s_nop 1
	v_div_fmas_f64 v[25:26], v[25:26], v[31:32], v[36:37]
	v_mov_b32_e32 v36, v30
	v_div_fixup_f64 v[23:24], v[25:26], v[23:24], 1.0
	v_fma_f64 v[25:26], v[21:22], 0, v[17:18]
	v_fma_f64 v[17:18], v[17:18], 0, -v[21:22]
	v_mul_f64 v[37:38], v[25:26], v[23:24]
	v_mul_f64 v[39:40], v[17:18], v[23:24]
	v_lshlrev_b64 v[17:18], 4, v[29:30]
	v_mov_b32_e32 v29, s9
	v_add_co_u32_e32 v48, vcc, s8, v17
	v_mov_b32_e32 v17, s9
	v_addc_co_u32_e32 v49, vcc, v17, v18, vcc
	global_load_dwordx4 v[21:24], v[48:49], off
	s_waitcnt vmcnt(0)
	v_mul_f64 v[17:18], v[39:40], -v[23:24]
	v_fma_f64 v[18:19], v[21:22], v[37:38], v[17:18]
	v_mul_f64 v[21:22], v[39:40], v[21:22]
	v_mov_b32_e32 v17, s9
	v_fma_f64 v[24:25], v[23:24], v[37:38], v[21:22]
	v_mov_b32_e32 v21, v30
	v_lshlrev_b64 v[20:21], 4, v[20:21]
	v_add_co_u32_e32 v50, vcc, s8, v20
	v_addc_co_u32_e32 v51, vcc, v17, v21, vcc
	global_load_dwordx4 v[31:34], v[50:51], off
	v_mov_b32_e32 v17, v30
	v_lshlrev_b64 v[16:17], 4, v[16:17]
	v_add_co_u32_e32 v52, vcc, s8, v16
	v_mov_b32_e32 v16, s9
	v_addc_co_u32_e32 v53, vcc, v16, v17, vcc
	s_waitcnt vmcnt(0)
	v_mul_f64 v[20:21], v[39:40], -v[33:34]
	v_mul_f64 v[22:23], v[39:40], v[31:32]
	v_fma_f64 v[20:21], v[31:32], v[37:38], v[20:21]
	v_fma_f64 v[26:27], v[33:34], v[37:38], v[22:23]
	global_load_dwordx4 v[31:34], v[52:53], off
	s_waitcnt vmcnt(0)
	v_mul_f64 v[16:17], v[39:40], -v[33:34]
	v_mul_f64 v[22:23], v[39:40], v[31:32]
	v_fma_f64 v[16:17], v[31:32], v[37:38], v[16:17]
	v_lshlrev_b64 v[31:32], 4, v[35:36]
	v_fma_f64 v[22:23], v[33:34], v[37:38], v[22:23]
	v_add_co_u32_e32 v54, vcc, s8, v31
	v_addc_co_u32_e32 v55, vcc, v29, v32, vcc
	global_load_dwordx4 v[33:36], v[54:55], off
	v_add_u32_e32 v29, s23, v74
	s_waitcnt vmcnt(0)
	v_mul_f64 v[31:32], v[39:40], -v[35:36]
	v_fma_f64 v[31:32], v[33:34], v[37:38], v[31:32]
	v_mul_f64 v[33:34], v[39:40], v[33:34]
	v_fma_f64 v[33:34], v[35:36], v[37:38], v[33:34]
	v_lshlrev_b64 v[35:36], 4, v[29:30]
	v_mov_b32_e32 v29, s9
	v_add_co_u32_e32 v56, vcc, s8, v35
	v_addc_co_u32_e32 v57, vcc, v29, v36, vcc
	global_load_dwordx4 v[44:47], v[56:57], off
	v_add_u32_e32 v29, s24, v74
	s_waitcnt vmcnt(0)
	v_mul_f64 v[35:36], v[39:40], -v[46:47]
	v_fma_f64 v[58:59], v[44:45], v[37:38], v[35:36]
	v_mul_f64 v[35:36], v[39:40], v[44:45]
	v_fma_f64 v[60:61], v[46:47], v[37:38], v[35:36]
	v_lshlrev_b64 v[35:36], 4, v[29:30]
	v_mov_b32_e32 v29, s9
	v_add_co_u32_e32 v62, vcc, s8, v35
	v_addc_co_u32_e32 v63, vcc, v29, v36, vcc
	global_load_dwordx4 v[44:47], v[62:63], off
	v_add_u32_e32 v29, s25, v74
	v_mul_f64 v[76:77], v[8:9], v[60:61]
	v_fma_f64 v[76:77], v[10:11], v[58:59], v[76:77]
	s_waitcnt vmcnt(0)
	v_mul_f64 v[35:36], v[39:40], -v[46:47]
	v_fma_f64 v[64:65], v[44:45], v[37:38], v[35:36]
	v_mul_f64 v[35:36], v[39:40], v[44:45]
	v_fma_f64 v[66:67], v[46:47], v[37:38], v[35:36]
	v_lshlrev_b64 v[35:36], 4, v[29:30]
	v_mov_b32_e32 v29, s9
	v_add_co_u32_e32 v68, vcc, s8, v35
	v_addc_co_u32_e32 v69, vcc, v29, v36, vcc
	global_load_dwordx4 v[44:47], v[68:69], off
	v_add_u32_e32 v29, s26, v74
	s_waitcnt vmcnt(0)
	v_mul_f64 v[35:36], v[39:40], -v[46:47]
	v_fma_f64 v[70:71], v[44:45], v[37:38], v[35:36]
	v_mul_f64 v[35:36], v[39:40], v[44:45]
	v_fma_f64 v[72:73], v[46:47], v[37:38], v[35:36]
	v_lshlrev_b64 v[35:36], 4, v[29:30]
	v_mov_b32_e32 v29, s9
	v_add_co_u32_e32 v35, vcc, s8, v35
	v_addc_co_u32_e32 v36, vcc, v29, v36, vcc
	global_load_dwordx4 v[44:47], v[35:36], off
	s_waitcnt vmcnt(0)
	v_mul_f64 v[74:75], v[39:40], -v[46:47]
	v_mul_f64 v[39:40], v[39:40], v[44:45]
	v_fma_f64 v[74:75], v[44:45], v[37:38], v[74:75]
	v_fma_f64 v[44:45], v[46:47], v[37:38], v[39:40]
	v_mul_f64 v[37:38], v[24:25], -v[14:15]
	v_mul_f64 v[39:40], v[12:13], v[24:25]
	v_mul_f64 v[46:47], v[60:61], -v[10:11]
	v_fma_f64 v[37:38], v[12:13], v[18:19], v[37:38]
	v_fma_f64 v[39:40], v[14:15], v[18:19], v[39:40]
	;; [unrolled: 1-line block ×3, first 2 shown]
	v_add_f64 v[39:40], v[39:40], -v[76:77]
	v_add_f64 v[37:38], v[37:38], -v[46:47]
	v_mul_f64 v[46:47], v[66:67], -v[10:11]
	global_store_dwordx4 v[48:49], v[37:40], off
	s_nop 0
	v_mul_f64 v[37:38], v[26:27], -v[14:15]
	v_mul_f64 v[39:40], v[12:13], v[26:27]
	v_mul_f64 v[48:49], v[8:9], v[66:67]
	v_fma_f64 v[46:47], v[8:9], v[64:65], v[46:47]
	v_fma_f64 v[37:38], v[12:13], v[20:21], v[37:38]
	v_fma_f64 v[39:40], v[14:15], v[20:21], v[39:40]
	v_fma_f64 v[48:49], v[10:11], v[64:65], v[48:49]
	v_add_f64 v[37:38], v[37:38], -v[46:47]
	v_mul_f64 v[46:47], v[72:73], -v[10:11]
	v_add_f64 v[39:40], v[39:40], -v[48:49]
	v_mul_f64 v[48:49], v[8:9], v[72:73]
	v_fma_f64 v[46:47], v[8:9], v[70:71], v[46:47]
	global_store_dwordx4 v[50:51], v[37:40], off
	v_fma_f64 v[48:49], v[10:11], v[70:71], v[48:49]
	v_mul_f64 v[37:38], v[22:23], -v[14:15]
	v_mul_f64 v[39:40], v[12:13], v[22:23]
	v_fma_f64 v[37:38], v[12:13], v[16:17], v[37:38]
	v_fma_f64 v[39:40], v[14:15], v[16:17], v[39:40]
	v_add_f64 v[37:38], v[37:38], -v[46:47]
	v_add_f64 v[39:40], v[39:40], -v[48:49]
	global_store_dwordx4 v[52:53], v[37:40], off
	s_nop 0
	v_mul_f64 v[37:38], v[33:34], -v[14:15]
	v_fma_f64 v[37:38], v[12:13], v[31:32], v[37:38]
	v_mul_f64 v[12:13], v[12:13], v[33:34]
	v_fma_f64 v[12:13], v[14:15], v[31:32], v[12:13]
	v_mul_f64 v[14:15], v[44:45], -v[10:11]
	v_fma_f64 v[14:15], v[8:9], v[74:75], v[14:15]
	v_mul_f64 v[8:9], v[8:9], v[44:45]
	v_fma_f64 v[10:11], v[10:11], v[74:75], v[8:9]
	v_add_f64 v[8:9], v[37:38], -v[14:15]
	v_mul_f64 v[14:15], v[4:5], v[60:61]
	v_add_f64 v[10:11], v[12:13], -v[10:11]
	v_mul_f64 v[12:13], v[60:61], -v[6:7]
	v_fma_f64 v[14:15], v[6:7], v[58:59], v[14:15]
	global_store_dwordx4 v[54:55], v[8:11], off
	s_nop 0
	v_mul_f64 v[8:9], v[2:3], v[24:25]
	v_mul_f64 v[10:11], v[24:25], -v[0:1]
	v_fma_f64 v[12:13], v[4:5], v[58:59], v[12:13]
	v_fma_f64 v[8:9], -v[0:1], v[18:19], v[8:9]
	v_fma_f64 v[10:11], -v[2:3], v[18:19], v[10:11]
	v_add_f64 v[8:9], v[8:9], v[12:13]
	v_add_f64 v[10:11], v[10:11], v[14:15]
	v_mul_f64 v[12:13], v[66:67], -v[6:7]
	v_mul_f64 v[14:15], v[4:5], v[66:67]
	global_store_dwordx4 v[56:57], v[8:11], off
	s_nop 0
	v_mul_f64 v[8:9], v[2:3], v[26:27]
	v_mul_f64 v[10:11], v[26:27], -v[0:1]
	v_fma_f64 v[12:13], v[4:5], v[64:65], v[12:13]
	v_fma_f64 v[14:15], v[6:7], v[64:65], v[14:15]
	v_fma_f64 v[8:9], -v[0:1], v[20:21], v[8:9]
	v_fma_f64 v[10:11], -v[2:3], v[20:21], v[10:11]
                                        ; implicit-def: $vgpr20
	v_add_f64 v[8:9], v[8:9], v[12:13]
	v_add_f64 v[10:11], v[10:11], v[14:15]
	v_mul_f64 v[12:13], v[72:73], -v[6:7]
	v_mul_f64 v[14:15], v[4:5], v[72:73]
	global_store_dwordx4 v[62:63], v[8:11], off
	s_nop 0
	v_mul_f64 v[8:9], v[2:3], v[22:23]
	v_mul_f64 v[10:11], v[22:23], -v[0:1]
	v_fma_f64 v[12:13], v[4:5], v[70:71], v[12:13]
	v_fma_f64 v[14:15], v[6:7], v[70:71], v[14:15]
	v_fma_f64 v[8:9], -v[0:1], v[16:17], v[8:9]
	v_fma_f64 v[10:11], -v[2:3], v[16:17], v[10:11]
                                        ; implicit-def: $vgpr16
	v_add_f64 v[8:9], v[8:9], v[12:13]
	v_add_f64 v[10:11], v[10:11], v[14:15]
                                        ; implicit-def: $vgpr12_vgpr13
	global_store_dwordx4 v[68:69], v[8:11], off
	s_nop 0
	v_mul_f64 v[8:9], v[2:3], v[33:34]
	v_fma_f64 v[8:9], -v[0:1], v[31:32], v[8:9]
	v_mul_f64 v[0:1], v[33:34], -v[0:1]
                                        ; implicit-def: $vgpr33_vgpr34
	v_fma_f64 v[2:3], -v[2:3], v[31:32], v[0:1]
	v_mul_f64 v[0:1], v[44:45], -v[6:7]
                                        ; implicit-def: $vgpr31_vgpr32
	v_fma_f64 v[0:1], v[4:5], v[74:75], v[0:1]
	v_mul_f64 v[4:5], v[4:5], v[44:45]
	v_add_f64 v[0:1], v[8:9], v[0:1]
	v_fma_f64 v[4:5], v[6:7], v[74:75], v[4:5]
                                        ; implicit-def: $vgpr8_vgpr9
	v_add_f64 v[2:3], v[2:3], v[4:5]
                                        ; implicit-def: $vgpr6_vgpr7
	global_store_dwordx4 v[35:36], v[0:3], off
                                        ; implicit-def: $vgpr0_vgpr1
                                        ; implicit-def: $vgpr35
.LBB270_11:                             ;   in Loop: Header=BB270_5 Depth=1
	s_or_saveexec_b64 s[2:3], s[2:3]
	v_mov_b32_e32 v10, 0
	v_mov_b32_e32 v17, 0
	;; [unrolled: 1-line block ×5, first 2 shown]
	s_xor_b64 exec, exec, s[2:3]
	s_cbranch_execz .LBB270_4
; %bb.12:                               ;   in Loop: Header=BB270_5 Depth=1
	v_mul_f64 v[10:11], v[6:7], v[6:7]
	v_lshlrev_b64 v[18:19], 4, v[29:30]
	v_mov_b32_e32 v21, v30
	v_mov_b32_e32 v22, s9
	v_lshlrev_b64 v[20:21], 4, v[20:21]
	v_add_co_u32_e32 v48, vcc, s8, v18
	v_mov_b32_e32 v17, v30
	v_fma_f64 v[10:11], v[4:5], v[4:5], v[10:11]
	v_addc_co_u32_e32 v49, vcc, v22, v19, vcc
	v_mov_b32_e32 v23, s9
	v_lshlrev_b64 v[16:17], 4, v[16:17]
	v_add_co_u32_e32 v50, vcc, s8, v20
	v_mov_b32_e32 v36, v30
	v_div_scale_f64 v[24:25], s[18:19], v[10:11], v[10:11], 1.0
	v_addc_co_u32_e32 v51, vcc, v23, v21, vcc
	v_mov_b32_e32 v29, s9
	v_lshlrev_b64 v[35:36], 4, v[35:36]
	v_add_co_u32_e32 v52, vcc, s8, v16
	v_addc_co_u32_e32 v53, vcc, v29, v17, vcc
	v_mov_b32_e32 v44, s9
	v_add_co_u32_e32 v56, vcc, s8, v35
	v_addc_co_u32_e32 v57, vcc, v44, v36, vcc
	global_load_dwordx4 v[16:19], v[48:49], off
	global_load_dwordx4 v[20:23], v[50:51], off
	v_rcp_f64_e32 v[26:27], v[24:25]
	global_load_dwordx4 v[37:40], v[52:53], off
	global_load_dwordx4 v[44:47], v[56:57], off
	v_div_scale_f64 v[35:36], vcc, 1.0, v[10:11], 1.0
	v_fma_f64 v[54:55], -v[24:25], v[26:27], 1.0
	v_fma_f64 v[26:27], v[26:27], v[54:55], v[26:27]
	v_fma_f64 v[54:55], -v[24:25], v[26:27], 1.0
	v_fma_f64 v[26:27], v[26:27], v[54:55], v[26:27]
	v_mul_f64 v[54:55], v[35:36], v[26:27]
	v_fma_f64 v[24:25], -v[24:25], v[54:55], v[35:36]
	v_div_fmas_f64 v[24:25], v[24:25], v[26:27], v[54:55]
	v_fma_f64 v[26:27], v[4:5], 0, -v[6:7]
	v_fma_f64 v[4:5], v[6:7], 0, v[4:5]
	v_div_fixup_f64 v[10:11], v[24:25], v[10:11], 1.0
	v_mul_f64 v[35:36], v[26:27], v[10:11]
	v_mul_f64 v[10:11], v[4:5], v[10:11]
	s_waitcnt vmcnt(3)
	v_mul_f64 v[4:5], v[35:36], -v[18:19]
	v_mul_f64 v[6:7], v[35:36], v[16:17]
	s_waitcnt vmcnt(2)
	v_mul_f64 v[54:55], v[35:36], -v[22:23]
	;; [unrolled: 3-line block ×4, first 2 shown]
	v_mul_f64 v[66:67], v[35:36], v[44:45]
	v_fma_f64 v[24:25], v[16:17], v[10:11], v[4:5]
	v_fma_f64 v[26:27], v[18:19], v[10:11], v[6:7]
	;; [unrolled: 1-line block ×8, first 2 shown]
	global_store_dwordx4 v[48:49], v[24:27], off
	global_store_dwordx4 v[50:51], v[20:23], off
	;; [unrolled: 1-line block ×4, first 2 shown]
	s_and_saveexec_b64 s[18:19], s[0:1]
	s_cbranch_execz .LBB270_3
; %bb.13:                               ;   in Loop: Header=BB270_5 Depth=1
	v_add_u32_e32 v54, v41, v42
	v_add_u32_e32 v29, s23, v54
	v_lshlrev_b64 v[37:38], 4, v[29:30]
	v_mov_b32_e32 v29, s9
	v_add_co_u32_e32 v48, vcc, s8, v37
	v_addc_co_u32_e32 v49, vcc, v29, v38, vcc
	v_add_u32_e32 v29, s24, v54
	v_lshlrev_b64 v[44:45], 4, v[29:30]
	v_mov_b32_e32 v29, s9
	v_add_co_u32_e32 v50, vcc, s8, v44
	global_load_dwordx4 v[37:40], v[48:49], off
	v_addc_co_u32_e32 v51, vcc, v29, v45, vcc
	global_load_dwordx4 v[44:47], v[50:51], off
	v_add_u32_e32 v29, s25, v54
	v_lshlrev_b64 v[52:53], 4, v[29:30]
	v_add_u32_e32 v29, s26, v54
	v_mov_b32_e32 v56, s9
	v_lshlrev_b64 v[54:55], 4, v[29:30]
	v_mov_b32_e32 v57, s9
	s_waitcnt vmcnt(1)
	v_fma_f64 v[37:38], -v[0:1], v[24:25], v[37:38]
	v_fma_f64 v[39:40], -v[2:3], v[24:25], v[39:40]
	s_waitcnt vmcnt(0)
	v_fma_f64 v[44:45], -v[0:1], v[20:21], v[44:45]
	v_fma_f64 v[46:47], -v[2:3], v[20:21], v[46:47]
	v_fma_f64 v[24:25], v[2:3], v[26:27], v[37:38]
	v_fma_f64 v[26:27], -v[0:1], v[26:27], v[39:40]
	v_add_co_u32_e32 v37, vcc, s8, v52
	v_fma_f64 v[20:21], v[2:3], v[22:23], v[44:45]
	v_fma_f64 v[22:23], -v[0:1], v[22:23], v[46:47]
	v_addc_co_u32_e32 v38, vcc, v56, v53, vcc
	v_add_co_u32_e32 v39, vcc, s8, v54
	global_store_dwordx4 v[48:49], v[24:27], off
	v_addc_co_u32_e32 v40, vcc, v57, v55, vcc
	global_load_dwordx4 v[24:27], v[37:38], off
	s_nop 0
	global_store_dwordx4 v[50:51], v[20:23], off
	global_load_dwordx4 v[20:23], v[39:40], off
	s_waitcnt vmcnt(2)
	v_fma_f64 v[24:25], -v[0:1], v[16:17], v[24:25]
	v_fma_f64 v[26:27], -v[2:3], v[16:17], v[26:27]
	s_waitcnt vmcnt(0)
	v_fma_f64 v[20:21], -v[0:1], v[4:5], v[20:21]
	v_fma_f64 v[22:23], -v[2:3], v[4:5], v[22:23]
	v_fma_f64 v[16:17], v[2:3], v[18:19], v[24:25]
	v_fma_f64 v[18:19], -v[0:1], v[18:19], v[26:27]
	v_fma_f64 v[4:5], v[2:3], v[6:7], v[20:21]
	v_fma_f64 v[6:7], -v[0:1], v[6:7], v[22:23]
	global_store_dwordx4 v[37:38], v[16:19], off
	global_store_dwordx4 v[39:40], v[4:7], off
	s_branch .LBB270_3
.LBB270_14:
	s_or_b64 exec, exec, s[4:5]
	s_branch .LBB270_16
.LBB270_15:
	v_mov_b32_e32 v42, 0
.LBB270_16:
	v_subrev_u32_e32 v2, s20, v42
	v_add_u32_e32 v0, v2, v28
	v_ashrrev_i32_e32 v1, 31, v0
	v_lshlrev_b64 v[0:1], 2, v[0:1]
	s_waitcnt lgkmcnt(0)
	v_mov_b32_e32 v3, s17
	v_add_co_u32_e32 v0, vcc, s16, v0
	v_addc_co_u32_e32 v1, vcc, v3, v1, vcc
	s_waitcnt vmcnt(0)
	buffer_wbinvl1_vol
	global_load_dword v0, v[0:1], off
	s_waitcnt vmcnt(0)
	v_mul_lo_u32 v0, v0, s20
	v_sub_u32_e32 v8, v2, v0
	v_cmp_lt_i32_e32 vcc, -1, v8
	s_and_b64 exec, exec, vcc
	s_cbranch_execz .LBB270_23
; %bb.17:
	s_lshl_b32 s4, s22, 2
	s_add_i32 s5, s4, s21
	s_add_i32 s6, s5, s21
	;; [unrolled: 1-line block ×3, first 2 shown]
	s_and_b32 s12, s21, -2
	s_mov_b64 s[0:1], 0
	v_mov_b32_e32 v9, s17
	v_mov_b32_e32 v10, s11
	;; [unrolled: 1-line block ×3, first 2 shown]
	s_branch .LBB270_19
.LBB270_18:                             ;   in Loop: Header=BB270_19 Depth=1
	s_or_b64 exec, exec, s[2:3]
	v_sub_u32_e32 v8, v8, v4
	v_cmp_gt_i32_e32 vcc, 0, v8
	s_or_b64 s[0:1], vcc, s[0:1]
	s_andn2_b64 exec, exec, s[0:1]
	s_cbranch_execz .LBB270_23
.LBB270_19:                             ; =>This Inner Loop Header: Depth=1
	v_add_u32_e32 v6, v8, v28
	v_ashrrev_i32_e32 v7, 31, v6
	s_waitcnt vmcnt(0)
	v_lshlrev_b64 v[0:1], 2, v[6:7]
	v_add_co_u32_e32 v0, vcc, s16, v0
	v_addc_co_u32_e32 v1, vcc, v9, v1, vcc
	global_load_dword v4, v[0:1], off
	v_lshlrev_b64 v[0:1], 4, v[6:7]
	v_add_co_u32_e32 v0, vcc, s10, v0
	v_addc_co_u32_e32 v1, vcc, v10, v1, vcc
	global_load_dwordx4 v[0:3], v[0:1], off
	s_waitcnt vmcnt(1)
	v_cmp_ne_u32_e32 vcc, 1, v4
	s_and_saveexec_b64 s[2:3], vcc
	s_xor_b64 s[2:3], exec, s[2:3]
	s_cbranch_execz .LBB270_21
; %bb.20:                               ;   in Loop: Header=BB270_19 Depth=1
	v_add_u32_e32 v7, v41, v8
	v_add_u32_e32 v4, s4, v7
	v_lshlrev_b64 v[11:12], 4, v[4:5]
	v_mov_b32_e32 v4, s9
	v_add_co_u32_e32 v11, vcc, s8, v11
	v_addc_co_u32_e32 v12, vcc, v4, v12, vcc
	v_add_u32_e32 v4, s5, v7
	v_lshlrev_b64 v[19:20], 4, v[4:5]
	v_add_u32_e32 v4, s6, v7
	v_lshlrev_b64 v[23:24], 4, v[4:5]
	;; [unrolled: 2-line block ×4, first 2 shown]
	v_mov_b32_e32 v4, s9
	v_add_co_u32_e32 v33, vcc, s8, v15
	v_addc_co_u32_e32 v34, vcc, v4, v16, vcc
	global_load_dwordx4 v[11:14], v[11:12], off
	v_add_co_u32_e32 v19, vcc, s8, v19
	global_load_dwordx4 v[15:18], v[33:34], off
	v_addc_co_u32_e32 v20, vcc, v4, v20, vcc
	global_load_dwordx4 v[19:22], v[19:20], off
	v_mov_b32_e32 v7, s9
	v_add_co_u32_e32 v35, vcc, s8, v23
	v_addc_co_u32_e32 v36, vcc, v7, v24, vcc
	v_add_u32_e32 v4, s5, v6
	v_mov_b32_e32 v27, s9
	v_add_co_u32_e32 v37, vcc, s8, v25
	v_lshlrev_b64 v[39:40], 4, v[4:5]
	v_addc_co_u32_e32 v38, vcc, v27, v26, vcc
	v_mov_b32_e32 v42, s9
	global_load_dwordx4 v[23:26], v[35:36], off
	global_load_dwordx4 v[29:32], v[37:38], off
	v_add_co_u32_e32 v35, vcc, s8, v39
	v_addc_co_u32_e32 v36, vcc, v42, v40, vcc
	v_add_u32_e32 v4, s6, v6
	s_waitcnt vmcnt(3)
	v_fma_f64 v[15:16], -v[0:1], v[11:12], v[15:16]
	v_fma_f64 v[17:18], -v[2:3], v[11:12], v[17:18]
	v_fma_f64 v[15:16], v[2:3], v[13:14], v[15:16]
	v_fma_f64 v[17:18], -v[0:1], v[13:14], v[17:18]
	global_store_dwordx4 v[33:34], v[15:18], off
	global_load_dwordx4 v[15:18], v[35:36], off
	v_lshlrev_b64 v[33:34], 4, v[4:5]
	v_add_u32_e32 v4, s7, v6
	v_add_co_u32_e32 v33, vcc, s8, v33
	v_addc_co_u32_e32 v34, vcc, v7, v34, vcc
	v_lshlrev_b64 v[6:7], 4, v[4:5]
	v_subrev_u32_e32 v4, s20, v8
	v_add_co_u32_e32 v6, vcc, s8, v6
	v_addc_co_u32_e32 v7, vcc, v27, v7, vcc
	v_mov_b32_e32 v27, s11
	s_waitcnt vmcnt(0)
	v_fma_f64 v[15:16], -v[0:1], v[19:20], v[15:16]
	v_fma_f64 v[17:18], -v[2:3], v[19:20], v[17:18]
	v_fma_f64 v[15:16], v[2:3], v[21:22], v[15:16]
	v_fma_f64 v[17:18], -v[0:1], v[21:22], v[17:18]
	global_store_dwordx4 v[35:36], v[15:18], off
	global_load_dwordx4 v[15:18], v[33:34], off
	v_mov_b32_e32 v36, s9
	s_waitcnt vmcnt(0)
	v_fma_f64 v[15:16], -v[0:1], v[23:24], v[15:16]
	v_fma_f64 v[17:18], -v[2:3], v[23:24], v[17:18]
	v_fma_f64 v[15:16], v[2:3], v[25:26], v[15:16]
	v_fma_f64 v[17:18], -v[0:1], v[25:26], v[17:18]
	global_store_dwordx4 v[33:34], v[15:18], off
	global_load_dwordx4 v[15:18], v[6:7], off
	v_add_u32_e32 v33, v4, v28
	v_ashrrev_i32_e32 v34, 31, v33
	v_lshlrev_b64 v[34:35], 4, v[33:34]
	v_add_u32_e32 v4, s4, v33
	v_add_co_u32_e32 v34, vcc, s10, v34
	v_addc_co_u32_e32 v35, vcc, v27, v35, vcc
	s_waitcnt vmcnt(0)
	v_fma_f64 v[15:16], -v[0:1], v[29:30], v[15:16]
	v_fma_f64 v[17:18], -v[2:3], v[29:30], v[17:18]
	v_fma_f64 v[15:16], v[2:3], v[31:32], v[15:16]
	v_fma_f64 v[17:18], -v[0:1], v[31:32], v[17:18]
	global_load_dwordx4 v[0:3], v[34:35], off
	v_lshlrev_b64 v[34:35], 4, v[4:5]
	v_add_u32_e32 v4, s5, v33
	v_add_co_u32_e32 v34, vcc, s8, v34
	v_addc_co_u32_e32 v35, vcc, v36, v35, vcc
	global_store_dwordx4 v[6:7], v[15:18], off
	global_load_dwordx4 v[15:18], v[34:35], off
	s_waitcnt vmcnt(0)
	v_fma_f64 v[6:7], -v[0:1], v[11:12], v[15:16]
	v_fma_f64 v[15:16], -v[2:3], v[11:12], v[17:18]
	v_mov_b32_e32 v17, s9
	v_fma_f64 v[11:12], v[2:3], v[13:14], v[6:7]
	v_fma_f64 v[13:14], -v[0:1], v[13:14], v[15:16]
	v_lshlrev_b64 v[6:7], 4, v[4:5]
	v_mov_b32_e32 v15, s9
	v_add_co_u32_e32 v6, vcc, s8, v6
	v_addc_co_u32_e32 v7, vcc, v15, v7, vcc
	v_add_u32_e32 v4, s6, v33
	global_store_dwordx4 v[34:35], v[11:14], off
	global_load_dwordx4 v[11:14], v[6:7], off
	v_lshlrev_b64 v[15:16], 4, v[4:5]
	v_add_u32_e32 v4, s7, v33
	v_add_co_u32_e32 v15, vcc, s8, v15
	v_addc_co_u32_e32 v16, vcc, v17, v16, vcc
	s_waitcnt vmcnt(0)
	v_fma_f64 v[11:12], -v[0:1], v[19:20], v[11:12]
	v_fma_f64 v[13:14], -v[2:3], v[19:20], v[13:14]
	v_fma_f64 v[11:12], v[2:3], v[21:22], v[11:12]
	v_fma_f64 v[13:14], -v[0:1], v[21:22], v[13:14]
	global_store_dwordx4 v[6:7], v[11:14], off
	global_load_dwordx4 v[11:14], v[15:16], off
	s_waitcnt vmcnt(0)
	v_fma_f64 v[6:7], -v[0:1], v[23:24], v[11:12]
	v_fma_f64 v[13:14], -v[2:3], v[23:24], v[13:14]
	v_fma_f64 v[11:12], v[2:3], v[25:26], v[6:7]
	v_fma_f64 v[13:14], -v[0:1], v[25:26], v[13:14]
	v_lshlrev_b64 v[6:7], 4, v[4:5]
	v_add_co_u32_e32 v6, vcc, s8, v6
	v_addc_co_u32_e32 v7, vcc, v17, v7, vcc
	global_store_dwordx4 v[15:16], v[11:14], off
	global_load_dwordx4 v[11:14], v[6:7], off
	s_waitcnt vmcnt(0)
	v_fma_f64 v[11:12], -v[0:1], v[29:30], v[11:12]
	v_fma_f64 v[13:14], -v[2:3], v[29:30], v[13:14]
	v_fma_f64 v[11:12], v[2:3], v[31:32], v[11:12]
	v_fma_f64 v[13:14], -v[0:1], v[31:32], v[13:14]
                                        ; implicit-def: $vgpr0_vgpr1
	global_store_dwordx4 v[6:7], v[11:14], off
                                        ; implicit-def: $vgpr6
.LBB270_21:                             ;   in Loop: Header=BB270_19 Depth=1
	s_or_saveexec_b64 s[2:3], s[2:3]
	v_mov_b32_e32 v4, s12
	s_xor_b64 exec, exec, s[2:3]
	s_cbranch_execz .LBB270_18
; %bb.22:                               ;   in Loop: Header=BB270_19 Depth=1
	v_add_u32_e32 v7, v41, v8
	v_add_u32_e32 v4, s4, v7
	v_lshlrev_b64 v[11:12], 4, v[4:5]
	v_mov_b32_e32 v4, s9
	v_add_co_u32_e32 v19, vcc, s8, v11
	v_addc_co_u32_e32 v20, vcc, v4, v12, vcc
	v_add_u32_e32 v4, s4, v6
	v_lshlrev_b64 v[11:12], 4, v[4:5]
	v_mov_b32_e32 v4, s9
	v_add_co_u32_e32 v21, vcc, s8, v11
	v_addc_co_u32_e32 v22, vcc, v4, v12, vcc
	global_load_dwordx4 v[11:14], v[19:20], off
	global_load_dwordx4 v[15:18], v[21:22], off
	v_add_u32_e32 v4, s5, v7
	v_lshlrev_b64 v[19:20], 4, v[4:5]
	v_add_u32_e32 v4, s5, v6
	v_mov_b32_e32 v25, s9
	v_lshlrev_b64 v[23:24], 4, v[4:5]
	v_add_co_u32_e32 v19, vcc, s8, v19
	v_addc_co_u32_e32 v20, vcc, v25, v20, vcc
	v_mov_b32_e32 v26, s9
	v_add_co_u32_e32 v23, vcc, s8, v23
	v_addc_co_u32_e32 v24, vcc, v26, v24, vcc
	v_add_u32_e32 v4, s6, v7
	s_waitcnt vmcnt(0)
	v_fma_f64 v[15:16], -v[0:1], v[11:12], v[15:16]
	v_fma_f64 v[17:18], -v[2:3], v[11:12], v[17:18]
	v_fma_f64 v[11:12], v[2:3], v[13:14], v[15:16]
	v_fma_f64 v[13:14], -v[0:1], v[13:14], v[17:18]
	global_store_dwordx4 v[21:22], v[11:14], off
	global_load_dwordx4 v[11:14], v[19:20], off
	s_nop 0
	global_load_dwordx4 v[15:18], v[23:24], off
	v_lshlrev_b64 v[19:20], 4, v[4:5]
	v_add_u32_e32 v4, s6, v6
	v_lshlrev_b64 v[21:22], 4, v[4:5]
	v_add_co_u32_e32 v19, vcc, s8, v19
	v_addc_co_u32_e32 v20, vcc, v25, v20, vcc
	v_add_co_u32_e32 v21, vcc, s8, v21
	v_addc_co_u32_e32 v22, vcc, v26, v22, vcc
	v_add_u32_e32 v4, s7, v7
	s_waitcnt vmcnt(0)
	v_fma_f64 v[15:16], -v[0:1], v[11:12], v[15:16]
	v_fma_f64 v[17:18], -v[2:3], v[11:12], v[17:18]
	v_fma_f64 v[11:12], v[2:3], v[13:14], v[15:16]
	v_fma_f64 v[13:14], -v[0:1], v[13:14], v[17:18]
	global_store_dwordx4 v[23:24], v[11:14], off
	global_load_dwordx4 v[11:14], v[19:20], off
	s_nop 0
	global_load_dwordx4 v[15:18], v[21:22], off
	v_lshlrev_b64 v[19:20], 4, v[4:5]
	v_add_u32_e32 v4, s7, v6
	v_mov_b32_e32 v23, s9
	v_lshlrev_b64 v[6:7], 4, v[4:5]
	v_add_co_u32_e32 v19, vcc, s8, v19
	v_addc_co_u32_e32 v20, vcc, v23, v20, vcc
	v_mov_b32_e32 v24, s9
	v_add_co_u32_e32 v6, vcc, s8, v6
	v_addc_co_u32_e32 v7, vcc, v24, v7, vcc
	v_mov_b32_e32 v4, s20
	s_waitcnt vmcnt(0)
	v_fma_f64 v[15:16], -v[0:1], v[11:12], v[15:16]
	v_fma_f64 v[17:18], -v[2:3], v[11:12], v[17:18]
	v_fma_f64 v[11:12], v[2:3], v[13:14], v[15:16]
	v_fma_f64 v[13:14], -v[0:1], v[13:14], v[17:18]
	global_store_dwordx4 v[21:22], v[11:14], off
	global_load_dwordx4 v[11:14], v[19:20], off
	s_nop 0
	global_load_dwordx4 v[15:18], v[6:7], off
	s_waitcnt vmcnt(0)
	v_fma_f64 v[15:16], -v[0:1], v[11:12], v[15:16]
	v_fma_f64 v[17:18], -v[2:3], v[11:12], v[17:18]
	v_fma_f64 v[11:12], v[2:3], v[13:14], v[15:16]
	v_fma_f64 v[13:14], -v[0:1], v[13:14], v[17:18]
	global_store_dwordx4 v[6:7], v[11:14], off
	s_branch .LBB270_18
.LBB270_23:
	s_endpgm
	.section	.rodata,"a",@progbits
	.p2align	6, 0x0
	.amdhsa_kernel _ZN9rocsparseL19gtsv_LBM_rhs_kernelILj256ELj2ELj4E21rocsparse_complex_numIdEEEviiiPKT2_S5_S5_PS3_S5_PKi
		.amdhsa_group_segment_fixed_size 0
		.amdhsa_private_segment_fixed_size 0
		.amdhsa_kernarg_size 64
		.amdhsa_user_sgpr_count 6
		.amdhsa_user_sgpr_private_segment_buffer 1
		.amdhsa_user_sgpr_dispatch_ptr 0
		.amdhsa_user_sgpr_queue_ptr 0
		.amdhsa_user_sgpr_kernarg_segment_ptr 1
		.amdhsa_user_sgpr_dispatch_id 0
		.amdhsa_user_sgpr_flat_scratch_init 0
		.amdhsa_user_sgpr_private_segment_size 0
		.amdhsa_uses_dynamic_stack 0
		.amdhsa_system_sgpr_private_segment_wavefront_offset 0
		.amdhsa_system_sgpr_workgroup_id_x 1
		.amdhsa_system_sgpr_workgroup_id_y 1
		.amdhsa_system_sgpr_workgroup_id_z 0
		.amdhsa_system_sgpr_workgroup_info 0
		.amdhsa_system_vgpr_workitem_id 0
		.amdhsa_next_free_vgpr 78
		.amdhsa_next_free_sgpr 28
		.amdhsa_reserve_vcc 1
		.amdhsa_reserve_flat_scratch 0
		.amdhsa_float_round_mode_32 0
		.amdhsa_float_round_mode_16_64 0
		.amdhsa_float_denorm_mode_32 3
		.amdhsa_float_denorm_mode_16_64 3
		.amdhsa_dx10_clamp 1
		.amdhsa_ieee_mode 1
		.amdhsa_fp16_overflow 0
		.amdhsa_exception_fp_ieee_invalid_op 0
		.amdhsa_exception_fp_denorm_src 0
		.amdhsa_exception_fp_ieee_div_zero 0
		.amdhsa_exception_fp_ieee_overflow 0
		.amdhsa_exception_fp_ieee_underflow 0
		.amdhsa_exception_fp_ieee_inexact 0
		.amdhsa_exception_int_div_zero 0
	.end_amdhsa_kernel
	.section	.text._ZN9rocsparseL19gtsv_LBM_rhs_kernelILj256ELj2ELj4E21rocsparse_complex_numIdEEEviiiPKT2_S5_S5_PS3_S5_PKi,"axG",@progbits,_ZN9rocsparseL19gtsv_LBM_rhs_kernelILj256ELj2ELj4E21rocsparse_complex_numIdEEEviiiPKT2_S5_S5_PS3_S5_PKi,comdat
.Lfunc_end270:
	.size	_ZN9rocsparseL19gtsv_LBM_rhs_kernelILj256ELj2ELj4E21rocsparse_complex_numIdEEEviiiPKT2_S5_S5_PS3_S5_PKi, .Lfunc_end270-_ZN9rocsparseL19gtsv_LBM_rhs_kernelILj256ELj2ELj4E21rocsparse_complex_numIdEEEviiiPKT2_S5_S5_PS3_S5_PKi
                                        ; -- End function
	.set _ZN9rocsparseL19gtsv_LBM_rhs_kernelILj256ELj2ELj4E21rocsparse_complex_numIdEEEviiiPKT2_S5_S5_PS3_S5_PKi.num_vgpr, 78
	.set _ZN9rocsparseL19gtsv_LBM_rhs_kernelILj256ELj2ELj4E21rocsparse_complex_numIdEEEviiiPKT2_S5_S5_PS3_S5_PKi.num_agpr, 0
	.set _ZN9rocsparseL19gtsv_LBM_rhs_kernelILj256ELj2ELj4E21rocsparse_complex_numIdEEEviiiPKT2_S5_S5_PS3_S5_PKi.numbered_sgpr, 28
	.set _ZN9rocsparseL19gtsv_LBM_rhs_kernelILj256ELj2ELj4E21rocsparse_complex_numIdEEEviiiPKT2_S5_S5_PS3_S5_PKi.num_named_barrier, 0
	.set _ZN9rocsparseL19gtsv_LBM_rhs_kernelILj256ELj2ELj4E21rocsparse_complex_numIdEEEviiiPKT2_S5_S5_PS3_S5_PKi.private_seg_size, 0
	.set _ZN9rocsparseL19gtsv_LBM_rhs_kernelILj256ELj2ELj4E21rocsparse_complex_numIdEEEviiiPKT2_S5_S5_PS3_S5_PKi.uses_vcc, 1
	.set _ZN9rocsparseL19gtsv_LBM_rhs_kernelILj256ELj2ELj4E21rocsparse_complex_numIdEEEviiiPKT2_S5_S5_PS3_S5_PKi.uses_flat_scratch, 0
	.set _ZN9rocsparseL19gtsv_LBM_rhs_kernelILj256ELj2ELj4E21rocsparse_complex_numIdEEEviiiPKT2_S5_S5_PS3_S5_PKi.has_dyn_sized_stack, 0
	.set _ZN9rocsparseL19gtsv_LBM_rhs_kernelILj256ELj2ELj4E21rocsparse_complex_numIdEEEviiiPKT2_S5_S5_PS3_S5_PKi.has_recursion, 0
	.set _ZN9rocsparseL19gtsv_LBM_rhs_kernelILj256ELj2ELj4E21rocsparse_complex_numIdEEEviiiPKT2_S5_S5_PS3_S5_PKi.has_indirect_call, 0
	.section	.AMDGPU.csdata,"",@progbits
; Kernel info:
; codeLenInByte = 4272
; TotalNumSgprs: 32
; NumVgprs: 78
; ScratchSize: 0
; MemoryBound: 1
; FloatMode: 240
; IeeeMode: 1
; LDSByteSize: 0 bytes/workgroup (compile time only)
; SGPRBlocks: 3
; VGPRBlocks: 19
; NumSGPRsForWavesPerEU: 32
; NumVGPRsForWavesPerEU: 78
; Occupancy: 3
; WaveLimiterHint : 0
; COMPUTE_PGM_RSRC2:SCRATCH_EN: 0
; COMPUTE_PGM_RSRC2:USER_SGPR: 6
; COMPUTE_PGM_RSRC2:TRAP_HANDLER: 0
; COMPUTE_PGM_RSRC2:TGID_X_EN: 1
; COMPUTE_PGM_RSRC2:TGID_Y_EN: 1
; COMPUTE_PGM_RSRC2:TGID_Z_EN: 0
; COMPUTE_PGM_RSRC2:TIDIG_COMP_CNT: 0
	.section	.text._ZN9rocsparseL19gtsv_LBM_rhs_kernelILj256ELj2ELj2E21rocsparse_complex_numIdEEEviiiPKT2_S5_S5_PS3_S5_PKi,"axG",@progbits,_ZN9rocsparseL19gtsv_LBM_rhs_kernelILj256ELj2ELj2E21rocsparse_complex_numIdEEEviiiPKT2_S5_S5_PS3_S5_PKi,comdat
	.globl	_ZN9rocsparseL19gtsv_LBM_rhs_kernelILj256ELj2ELj2E21rocsparse_complex_numIdEEEviiiPKT2_S5_S5_PS3_S5_PKi ; -- Begin function _ZN9rocsparseL19gtsv_LBM_rhs_kernelILj256ELj2ELj2E21rocsparse_complex_numIdEEEviiiPKT2_S5_S5_PS3_S5_PKi
	.p2align	8
	.type	_ZN9rocsparseL19gtsv_LBM_rhs_kernelILj256ELj2ELj2E21rocsparse_complex_numIdEEEviiiPKT2_S5_S5_PS3_S5_PKi,@function
_ZN9rocsparseL19gtsv_LBM_rhs_kernelILj256ELj2ELj2E21rocsparse_complex_numIdEEEviiiPKT2_S5_S5_PS3_S5_PKi: ; @_ZN9rocsparseL19gtsv_LBM_rhs_kernelILj256ELj2ELj2E21rocsparse_complex_numIdEEEviiiPKT2_S5_S5_PS3_S5_PKi
; %bb.0:
	s_load_dword s21, s[4:5], 0x0
	v_lshl_or_b32 v20, s6, 8, v0
	s_waitcnt lgkmcnt(0)
	s_lshr_b32 s20, s21, 1
	v_cmp_gt_i32_e32 vcc, s20, v20
	s_and_saveexec_b64 s[0:1], vcc
	s_cbranch_execz .LBB271_23
; %bb.1:
	s_load_dwordx4 s[8:11], s[4:5], 0x28
	s_load_dwordx2 s[16:17], s[4:5], 0x38
	s_cmp_lt_i32 s21, 1
	v_add_u32_e32 v29, s20, v20
	s_mul_i32 s22, s7, s21
	s_cbranch_scc1 .LBB271_15
; %bb.2:
	s_load_dwordx4 s[12:15], s[4:5], 0x10
	s_load_dwordx2 s[6:7], s[4:5], 0x20
	v_ashrrev_i32_e32 v21, 31, v20
	v_lshlrev_b64 v[0:1], 4, v[20:21]
	s_lshl_b32 s23, s22, 1
	s_waitcnt lgkmcnt(0)
	v_mov_b32_e32 v2, s15
	v_add_co_u32_e32 v0, vcc, s14, v0
	v_addc_co_u32_e32 v1, vcc, v2, v1, vcc
	global_load_dwordx4 v[12:15], v[0:1], off
	s_add_i32 s24, s23, s21
	s_and_b32 s25, s21, 0x7ffffffe
	v_mov_b32_e32 v22, 0
	s_mov_b64 s[4:5], 0
	v_mov_b32_e32 v31, s7
	v_mov_b32_e32 v30, 0
	s_branch .LBB271_5
.LBB271_3:                              ;   in Loop: Header=BB271_5 Depth=1
	s_or_b64 exec, exec, s[18:19]
	v_fma_f64 v[6:7], v[6:7], v[0:1], v[25:26]
	v_fma_f64 v[0:1], v[4:5], v[0:1], v[23:24]
	v_mov_b32_e32 v19, s20
	v_mul_f64 v[4:5], v[27:28], -v[6:7]
	v_mul_f64 v[12:13], v[27:28], v[0:1]
	v_fma_f64 v[0:1], v[0:1], v[2:3], v[4:5]
	v_fma_f64 v[4:5], v[6:7], v[2:3], v[12:13]
	v_add_f64 v[2:3], v[8:9], -v[0:1]
	v_add_f64 v[17:18], v[10:11], -v[4:5]
.LBB271_4:                              ;   in Loop: Header=BB271_5 Depth=1
	s_or_b64 exec, exec, s[2:3]
	v_add_u32_e32 v30, v19, v30
	v_cmp_le_i32_e32 vcc, s21, v30
	v_mov_b32_e32 v14, v17
	v_mov_b32_e32 v13, v3
	s_or_b64 s[4:5], vcc, s[4:5]
	v_mov_b32_e32 v15, v18
	v_mov_b32_e32 v12, v2
	s_andn2_b64 exec, exec, s[4:5]
	s_cbranch_execz .LBB271_14
.LBB271_5:                              ; =>This Inner Loop Header: Depth=1
	v_add_u32_e32 v16, v30, v20
	v_ashrrev_i32_e32 v17, 31, v16
	v_lshlrev_b64 v[0:1], 4, v[16:17]
	v_mov_b32_e32 v8, 0
	v_add_co_u32_e32 v0, vcc, s6, v0
	v_addc_co_u32_e32 v1, vcc, v31, v1, vcc
	global_load_dwordx4 v[0:3], v[0:1], off
	v_mov_b32_e32 v4, 0
	v_mov_b32_e32 v6, 0
	;; [unrolled: 1-line block ×5, first 2 shown]
	v_cmp_gt_u32_e64 s[0:1], s20, v30
	s_and_saveexec_b64 s[2:3], s[0:1]
	s_cbranch_execz .LBB271_7
; %bb.6:                                ;   in Loop: Header=BB271_5 Depth=1
	v_add_u32_e32 v4, v29, v30
	v_ashrrev_i32_e32 v5, 31, v4
	v_lshlrev_b64 v[4:5], 4, v[4:5]
	v_mov_b32_e32 v6, s13
	v_add_co_u32_e32 v4, vcc, s12, v4
	v_addc_co_u32_e32 v5, vcc, v6, v5, vcc
	global_load_dwordx4 v[4:7], v[4:5], off
.LBB271_7:                              ;   in Loop: Header=BB271_5 Depth=1
	s_or_b64 exec, exec, s[2:3]
	v_mov_b32_e32 v10, 0
	v_mov_b32_e32 v11, 0
	s_and_saveexec_b64 s[2:3], s[0:1]
	s_cbranch_execz .LBB271_9
; %bb.8:                                ;   in Loop: Header=BB271_5 Depth=1
	v_add_u32_e32 v8, v29, v30
	v_ashrrev_i32_e32 v9, 31, v8
	v_lshlrev_b64 v[8:9], 4, v[8:9]
	v_mov_b32_e32 v10, s15
	v_add_co_u32_e32 v8, vcc, s14, v8
	v_addc_co_u32_e32 v9, vcc, v10, v9, vcc
	global_load_dwordx4 v[8:11], v[8:9], off
.LBB271_9:                              ;   in Loop: Header=BB271_5 Depth=1
	s_or_b64 exec, exec, s[2:3]
	v_lshlrev_b64 v[17:18], 2, v[16:17]
	v_mov_b32_e32 v19, s17
	v_add_co_u32_e32 v17, vcc, s16, v17
	v_addc_co_u32_e32 v18, vcc, v19, v18, vcc
	global_load_dword v17, v[17:18], off
	s_waitcnt vmcnt(1)
	v_mul_f64 v[23:24], v[2:3], -v[6:7]
	v_mul_f64 v[25:26], v[2:3], v[4:5]
	v_cmp_ne_u32_e32 vcc, s20, v30
	v_add_u32_e32 v21, s23, v16
	v_add_u32_e32 v16, s24, v16
	s_waitcnt vmcnt(0)
	v_cmp_ne_u32_e64 s[2:3], 1, v17
	s_and_b64 s[2:3], vcc, s[2:3]
	s_and_saveexec_b64 s[18:19], s[2:3]
	s_xor_b64 s[2:3], exec, s[18:19]
	s_cbranch_execz .LBB271_11
; %bb.10:                               ;   in Loop: Header=BB271_5 Depth=1
	v_mul_f64 v[17:18], v[12:13], v[10:11]
	v_mul_f64 v[27:28], v[10:11], -v[14:15]
	v_fma_f64 v[25:26], v[6:7], v[0:1], v[25:26]
	v_fma_f64 v[23:24], v[4:5], v[0:1], v[23:24]
	v_mov_b32_e32 v34, s9
	v_mov_b32_e32 v55, s9
	v_fma_f64 v[17:18], v[14:15], v[8:9], v[17:18]
	v_fma_f64 v[27:28], v[12:13], v[8:9], v[27:28]
	v_add_f64 v[40:41], v[17:18], -v[25:26]
	v_add_f64 v[27:28], v[27:28], -v[23:24]
	v_mov_b32_e32 v23, s9
	v_add_u32_e32 v25, v29, v30
	v_mov_b32_e32 v24, s9
	v_mul_f64 v[17:18], v[40:41], v[40:41]
	v_fma_f64 v[42:43], v[27:28], v[27:28], v[17:18]
	v_lshlrev_b64 v[18:19], 4, v[21:22]
	v_mov_b32_e32 v17, v22
	v_lshlrev_b64 v[16:17], 4, v[16:17]
	v_add_co_u32_e32 v46, vcc, s8, v18
	v_addc_co_u32_e32 v47, vcc, v23, v19, vcc
	v_div_scale_f64 v[44:45], s[18:19], v[42:43], v[42:43], 1.0
	v_add_u32_e32 v21, s23, v25
	v_add_co_u32_e32 v48, vcc, s8, v16
	v_lshlrev_b64 v[32:33], 4, v[21:22]
	v_add_u32_e32 v21, s24, v25
	v_addc_co_u32_e32 v49, vcc, v24, v17, vcc
	global_load_dwordx4 v[16:19], v[46:47], off
	global_load_dwordx4 v[23:26], v[48:49], off
	v_lshlrev_b64 v[38:39], 4, v[21:22]
	v_add_co_u32_e32 v52, vcc, s8, v32
	v_addc_co_u32_e32 v53, vcc, v34, v33, vcc
	v_add_co_u32_e32 v54, vcc, s8, v38
	v_rcp_f64_e32 v[36:37], v[44:45]
	global_load_dwordx4 v[32:35], v[52:53], off
	v_addc_co_u32_e32 v55, vcc, v55, v39, vcc
	v_div_scale_f64 v[56:57], vcc, 1.0, v[42:43], 1.0
	v_fma_f64 v[50:51], -v[44:45], v[36:37], 1.0
	v_fma_f64 v[50:51], v[36:37], v[50:51], v[36:37]
	global_load_dwordx4 v[36:39], v[54:55], off
	v_fma_f64 v[58:59], -v[44:45], v[50:51], 1.0
	v_fma_f64 v[50:51], v[50:51], v[58:59], v[50:51]
	v_mul_f64 v[58:59], v[56:57], v[50:51]
	v_fma_f64 v[44:45], -v[44:45], v[58:59], v[56:57]
	v_div_fmas_f64 v[44:45], v[44:45], v[50:51], v[58:59]
	v_fma_f64 v[50:51], v[27:28], 0, -v[40:41]
	v_fma_f64 v[27:28], v[40:41], 0, v[27:28]
	v_div_fixup_f64 v[42:43], v[44:45], v[42:43], 1.0
	v_mul_f64 v[40:41], v[50:51], v[42:43]
	v_mul_f64 v[27:28], v[27:28], v[42:43]
	s_waitcnt vmcnt(3)
	v_mul_f64 v[42:43], v[40:41], -v[18:19]
	v_mul_f64 v[44:45], v[40:41], v[16:17]
	s_waitcnt vmcnt(2)
	v_mul_f64 v[56:57], v[40:41], v[23:24]
	s_waitcnt vmcnt(1)
	v_mul_f64 v[60:61], v[40:41], v[32:33]
	v_mul_f64 v[50:51], v[40:41], -v[25:26]
	v_mul_f64 v[58:59], v[40:41], -v[34:35]
	v_fma_f64 v[16:17], v[16:17], v[27:28], v[42:43]
	v_fma_f64 v[18:19], v[18:19], v[27:28], v[44:45]
	s_waitcnt vmcnt(0)
	v_mul_f64 v[42:43], v[40:41], -v[38:39]
	v_mul_f64 v[40:41], v[40:41], v[36:37]
	v_fma_f64 v[25:26], v[25:26], v[27:28], v[56:57]
	v_fma_f64 v[34:35], v[34:35], v[27:28], v[60:61]
	;; [unrolled: 1-line block ×4, first 2 shown]
	v_mul_f64 v[50:51], v[6:7], v[18:19]
	v_fma_f64 v[36:37], v[36:37], v[27:28], v[42:43]
	v_fma_f64 v[27:28], v[38:39], v[27:28], v[40:41]
	v_mul_f64 v[38:39], v[18:19], -v[10:11]
	v_mul_f64 v[40:41], v[8:9], v[18:19]
	v_mul_f64 v[42:43], v[25:26], -v[10:11]
	v_mul_f64 v[44:45], v[8:9], v[25:26]
	;; [unrolled: 2-line block ×3, first 2 shown]
	v_mul_f64 v[25:26], v[25:26], -v[4:5]
	v_mul_f64 v[58:59], v[34:35], -v[2:3]
	v_mul_f64 v[60:61], v[0:1], v[34:35]
	v_fma_f64 v[38:39], v[8:9], v[16:17], v[38:39]
	v_fma_f64 v[40:41], v[10:11], v[16:17], v[40:41]
	;; [unrolled: 1-line block ×4, first 2 shown]
	v_mul_f64 v[42:43], v[27:28], -v[2:3]
	v_mul_f64 v[44:45], v[0:1], v[27:28]
	v_fma_f64 v[50:51], -v[4:5], v[16:17], v[50:51]
	v_fma_f64 v[16:17], -v[6:7], v[16:17], v[18:19]
	v_mul_f64 v[18:19], v[34:35], -v[14:15]
	v_mul_f64 v[34:35], v[12:13], v[34:35]
	v_fma_f64 v[56:57], -v[4:5], v[23:24], v[56:57]
	v_fma_f64 v[23:24], -v[6:7], v[23:24], v[25:26]
	v_mul_f64 v[4:5], v[27:28], -v[14:15]
	v_mul_f64 v[6:7], v[12:13], v[27:28]
	v_fma_f64 v[25:26], v[0:1], v[32:33], v[58:59]
	v_fma_f64 v[27:28], v[2:3], v[32:33], v[60:61]
	;; [unrolled: 1-line block ×8, first 2 shown]
	v_add_f64 v[0:1], v[38:39], -v[25:26]
	v_add_f64 v[2:3], v[40:41], -v[27:28]
	;; [unrolled: 1-line block ×4, first 2 shown]
	v_add_f64 v[8:9], v[50:51], v[18:19]
	v_add_f64 v[10:11], v[16:17], v[32:33]
	;; [unrolled: 1-line block ×4, first 2 shown]
	global_store_dwordx4 v[46:47], v[0:3], off
	global_store_dwordx4 v[48:49], v[4:7], off
	;; [unrolled: 1-line block ×4, first 2 shown]
                                        ; implicit-def: $vgpr14_vgpr15
                                        ; implicit-def: $vgpr4_vgpr5
                                        ; implicit-def: $vgpr8_vgpr9
                                        ; implicit-def: $vgpr0_vgpr1
                                        ; implicit-def: $vgpr23_vgpr24
                                        ; implicit-def: $vgpr25_vgpr26
                                        ; implicit-def: $vgpr16
.LBB271_11:                             ;   in Loop: Header=BB271_5 Depth=1
	s_or_saveexec_b64 s[2:3], s[2:3]
	v_mov_b32_e32 v2, 0
	v_mov_b32_e32 v17, 0
	;; [unrolled: 1-line block ×5, first 2 shown]
	s_xor_b64 exec, exec, s[2:3]
	s_cbranch_execz .LBB271_4
; %bb.12:                               ;   in Loop: Header=BB271_5 Depth=1
	v_mul_f64 v[2:3], v[14:15], v[14:15]
	v_lshlrev_b64 v[18:19], 4, v[21:22]
	v_mov_b32_e32 v17, v22
	v_mov_b32_e32 v21, s9
	v_lshlrev_b64 v[32:33], 4, v[16:17]
	v_add_co_u32_e32 v38, vcc, s8, v18
	v_addc_co_u32_e32 v39, vcc, v21, v19, vcc
	v_fma_f64 v[2:3], v[12:13], v[12:13], v[2:3]
	v_mov_b32_e32 v34, s9
	v_add_co_u32_e32 v42, vcc, s8, v32
	v_addc_co_u32_e32 v43, vcc, v34, v33, vcc
	global_load_dwordx4 v[16:19], v[38:39], off
	global_load_dwordx4 v[32:35], v[42:43], off
	v_div_scale_f64 v[27:28], s[18:19], v[2:3], v[2:3], 1.0
	v_rcp_f64_e32 v[36:37], v[27:28]
	v_fma_f64 v[40:41], -v[27:28], v[36:37], 1.0
	v_fma_f64 v[36:37], v[36:37], v[40:41], v[36:37]
	v_div_scale_f64 v[40:41], vcc, 1.0, v[2:3], 1.0
	v_fma_f64 v[44:45], -v[27:28], v[36:37], 1.0
	v_fma_f64 v[36:37], v[36:37], v[44:45], v[36:37]
	v_mul_f64 v[44:45], v[40:41], v[36:37]
	v_fma_f64 v[27:28], -v[27:28], v[44:45], v[40:41]
	v_div_fmas_f64 v[27:28], v[27:28], v[36:37], v[44:45]
	v_fma_f64 v[36:37], v[12:13], 0, -v[14:15]
	v_fma_f64 v[12:13], v[14:15], 0, v[12:13]
	v_div_fixup_f64 v[2:3], v[27:28], v[2:3], 1.0
	v_mul_f64 v[27:28], v[36:37], v[2:3]
	v_mul_f64 v[2:3], v[12:13], v[2:3]
	s_waitcnt vmcnt(1)
	v_mul_f64 v[12:13], v[27:28], -v[18:19]
	v_mul_f64 v[14:15], v[27:28], v[16:17]
	s_waitcnt vmcnt(0)
	v_mul_f64 v[36:37], v[27:28], -v[34:35]
	v_mul_f64 v[40:41], v[27:28], v[32:33]
	v_fma_f64 v[16:17], v[16:17], v[2:3], v[12:13]
	v_fma_f64 v[18:19], v[18:19], v[2:3], v[14:15]
	;; [unrolled: 1-line block ×4, first 2 shown]
	global_store_dwordx4 v[38:39], v[16:19], off
	global_store_dwordx4 v[42:43], v[12:15], off
	s_and_saveexec_b64 s[18:19], s[0:1]
	s_cbranch_execz .LBB271_3
; %bb.13:                               ;   in Loop: Header=BB271_5 Depth=1
	v_add_u32_e32 v36, v29, v30
	v_add_u32_e32 v21, s23, v36
	v_lshlrev_b64 v[32:33], 4, v[21:22]
	v_mov_b32_e32 v21, s9
	v_add_co_u32_e32 v40, vcc, s8, v32
	v_addc_co_u32_e32 v41, vcc, v21, v33, vcc
	v_add_u32_e32 v21, s24, v36
	v_lshlrev_b64 v[36:37], 4, v[21:22]
	v_mov_b32_e32 v21, s9
	v_add_co_u32_e32 v42, vcc, s8, v36
	global_load_dwordx4 v[32:35], v[40:41], off
	v_addc_co_u32_e32 v43, vcc, v21, v37, vcc
	global_load_dwordx4 v[36:39], v[42:43], off
	s_waitcnt vmcnt(1)
	v_fma_f64 v[32:33], -v[4:5], v[16:17], v[32:33]
	v_fma_f64 v[34:35], -v[6:7], v[16:17], v[34:35]
	s_waitcnt vmcnt(0)
	v_fma_f64 v[36:37], -v[4:5], v[12:13], v[36:37]
	v_fma_f64 v[38:39], -v[6:7], v[12:13], v[38:39]
	v_fma_f64 v[16:17], v[6:7], v[18:19], v[32:33]
	v_fma_f64 v[18:19], -v[4:5], v[18:19], v[34:35]
	v_fma_f64 v[12:13], v[6:7], v[14:15], v[36:37]
	v_fma_f64 v[14:15], -v[4:5], v[14:15], v[38:39]
	global_store_dwordx4 v[40:41], v[16:19], off
	global_store_dwordx4 v[42:43], v[12:15], off
	s_branch .LBB271_3
.LBB271_14:
	s_or_b64 exec, exec, s[4:5]
	s_branch .LBB271_16
.LBB271_15:
	v_mov_b32_e32 v30, 0
.LBB271_16:
	v_subrev_u32_e32 v2, s20, v30
	v_add_u32_e32 v0, v2, v20
	v_ashrrev_i32_e32 v1, 31, v0
	v_lshlrev_b64 v[0:1], 2, v[0:1]
	s_waitcnt lgkmcnt(0)
	v_mov_b32_e32 v3, s17
	v_add_co_u32_e32 v0, vcc, s16, v0
	v_addc_co_u32_e32 v1, vcc, v3, v1, vcc
	s_waitcnt vmcnt(0)
	buffer_wbinvl1_vol
	global_load_dword v0, v[0:1], off
	s_waitcnt vmcnt(0)
	v_mul_lo_u32 v0, v0, s20
	v_sub_u32_e32 v8, v2, v0
	v_cmp_lt_i32_e32 vcc, -1, v8
	s_and_b64 exec, exec, vcc
	s_cbranch_execz .LBB271_23
; %bb.17:
	s_lshl_b32 s4, s22, 1
	s_add_i32 s5, s4, s21
	s_and_b32 s6, s21, -2
	s_mov_b64 s[0:1], 0
	v_mov_b32_e32 v9, s17
	v_mov_b32_e32 v10, s11
	;; [unrolled: 1-line block ×3, first 2 shown]
	s_branch .LBB271_19
.LBB271_18:                             ;   in Loop: Header=BB271_19 Depth=1
	s_or_b64 exec, exec, s[2:3]
	v_sub_u32_e32 v8, v8, v4
	v_cmp_gt_i32_e32 vcc, 0, v8
	s_or_b64 s[0:1], vcc, s[0:1]
	s_andn2_b64 exec, exec, s[0:1]
	s_cbranch_execz .LBB271_23
.LBB271_19:                             ; =>This Inner Loop Header: Depth=1
	v_add_u32_e32 v6, v8, v20
	v_ashrrev_i32_e32 v7, 31, v6
	s_waitcnt vmcnt(0)
	v_lshlrev_b64 v[0:1], 2, v[6:7]
	v_add_co_u32_e32 v0, vcc, s16, v0
	v_addc_co_u32_e32 v1, vcc, v9, v1, vcc
	global_load_dword v4, v[0:1], off
	v_lshlrev_b64 v[0:1], 4, v[6:7]
	v_add_co_u32_e32 v0, vcc, s10, v0
	v_addc_co_u32_e32 v1, vcc, v10, v1, vcc
	global_load_dwordx4 v[0:3], v[0:1], off
	s_waitcnt vmcnt(1)
	v_cmp_ne_u32_e32 vcc, 1, v4
	s_and_saveexec_b64 s[2:3], vcc
	s_xor_b64 s[2:3], exec, s[2:3]
	s_cbranch_execz .LBB271_21
; %bb.20:                               ;   in Loop: Header=BB271_19 Depth=1
	v_add_u32_e32 v7, v29, v8
	v_add_u32_e32 v4, s4, v7
	v_lshlrev_b64 v[11:12], 4, v[4:5]
	v_mov_b32_e32 v4, s9
	v_add_co_u32_e32 v11, vcc, s8, v11
	v_addc_co_u32_e32 v12, vcc, v4, v12, vcc
	v_add_u32_e32 v4, s5, v7
	v_lshlrev_b64 v[21:22], 4, v[4:5]
	v_add_u32_e32 v4, s4, v6
	v_lshlrev_b64 v[15:16], 4, v[4:5]
	v_mov_b32_e32 v4, s9
	v_add_co_u32_e32 v25, vcc, s8, v15
	v_addc_co_u32_e32 v26, vcc, v4, v16, vcc
	global_load_dwordx4 v[11:14], v[11:12], off
	v_add_co_u32_e32 v21, vcc, s8, v21
	global_load_dwordx4 v[15:18], v[25:26], off
	v_addc_co_u32_e32 v22, vcc, v4, v22, vcc
	global_load_dwordx4 v[21:24], v[21:22], off
	v_add_u32_e32 v4, s5, v6
	v_lshlrev_b64 v[6:7], 4, v[4:5]
	v_mov_b32_e32 v19, s9
	v_add_co_u32_e32 v6, vcc, s8, v6
	v_addc_co_u32_e32 v7, vcc, v19, v7, vcc
	v_subrev_u32_e32 v4, s20, v8
	v_mov_b32_e32 v19, s11
	v_mov_b32_e32 v28, s9
	s_waitcnt vmcnt(1)
	v_fma_f64 v[15:16], -v[0:1], v[11:12], v[15:16]
	v_fma_f64 v[17:18], -v[2:3], v[11:12], v[17:18]
	v_fma_f64 v[15:16], v[2:3], v[13:14], v[15:16]
	v_fma_f64 v[17:18], -v[0:1], v[13:14], v[17:18]
	global_store_dwordx4 v[25:26], v[15:18], off
	global_load_dwordx4 v[15:18], v[6:7], off
	v_add_u32_e32 v25, v4, v20
	v_ashrrev_i32_e32 v26, 31, v25
	v_lshlrev_b64 v[26:27], 4, v[25:26]
	v_add_u32_e32 v4, s4, v25
	v_add_co_u32_e32 v26, vcc, s10, v26
	v_addc_co_u32_e32 v27, vcc, v19, v27, vcc
	s_waitcnt vmcnt(0)
	v_fma_f64 v[15:16], -v[0:1], v[21:22], v[15:16]
	v_fma_f64 v[17:18], -v[2:3], v[21:22], v[17:18]
	v_fma_f64 v[15:16], v[2:3], v[23:24], v[15:16]
	v_fma_f64 v[17:18], -v[0:1], v[23:24], v[17:18]
	global_load_dwordx4 v[0:3], v[26:27], off
	v_lshlrev_b64 v[26:27], 4, v[4:5]
	v_add_u32_e32 v4, s5, v25
	v_add_co_u32_e32 v26, vcc, s8, v26
	v_addc_co_u32_e32 v27, vcc, v28, v27, vcc
	global_store_dwordx4 v[6:7], v[15:18], off
	global_load_dwordx4 v[15:18], v[26:27], off
	s_waitcnt vmcnt(0)
	v_fma_f64 v[6:7], -v[0:1], v[11:12], v[15:16]
	v_fma_f64 v[15:16], -v[2:3], v[11:12], v[17:18]
	v_fma_f64 v[11:12], v[2:3], v[13:14], v[6:7]
	v_fma_f64 v[13:14], -v[0:1], v[13:14], v[15:16]
	v_lshlrev_b64 v[6:7], 4, v[4:5]
	v_mov_b32_e32 v15, s9
	v_add_co_u32_e32 v6, vcc, s8, v6
	v_addc_co_u32_e32 v7, vcc, v15, v7, vcc
	global_store_dwordx4 v[26:27], v[11:14], off
	global_load_dwordx4 v[11:14], v[6:7], off
	s_waitcnt vmcnt(0)
	v_fma_f64 v[11:12], -v[0:1], v[21:22], v[11:12]
	v_fma_f64 v[13:14], -v[2:3], v[21:22], v[13:14]
	v_fma_f64 v[11:12], v[2:3], v[23:24], v[11:12]
	v_fma_f64 v[13:14], -v[0:1], v[23:24], v[13:14]
                                        ; implicit-def: $vgpr0_vgpr1
	global_store_dwordx4 v[6:7], v[11:14], off
                                        ; implicit-def: $vgpr6
.LBB271_21:                             ;   in Loop: Header=BB271_19 Depth=1
	s_or_saveexec_b64 s[2:3], s[2:3]
	v_mov_b32_e32 v4, s6
	s_xor_b64 exec, exec, s[2:3]
	s_cbranch_execz .LBB271_18
; %bb.22:                               ;   in Loop: Header=BB271_19 Depth=1
	v_add_u32_e32 v7, v29, v8
	v_add_u32_e32 v4, s4, v7
	v_lshlrev_b64 v[11:12], 4, v[4:5]
	v_mov_b32_e32 v4, s9
	v_add_co_u32_e32 v21, vcc, s8, v11
	v_addc_co_u32_e32 v22, vcc, v4, v12, vcc
	v_add_u32_e32 v4, s4, v6
	v_lshlrev_b64 v[11:12], 4, v[4:5]
	v_mov_b32_e32 v4, s9
	v_add_co_u32_e32 v23, vcc, s8, v11
	v_addc_co_u32_e32 v24, vcc, v4, v12, vcc
	global_load_dwordx4 v[11:14], v[21:22], off
	global_load_dwordx4 v[15:18], v[23:24], off
	v_add_u32_e32 v4, s5, v7
	v_lshlrev_b64 v[21:22], 4, v[4:5]
	v_add_u32_e32 v4, s5, v6
	v_mov_b32_e32 v19, s9
	v_lshlrev_b64 v[6:7], 4, v[4:5]
	v_add_co_u32_e32 v21, vcc, s8, v21
	v_addc_co_u32_e32 v22, vcc, v19, v22, vcc
	v_mov_b32_e32 v25, s9
	v_add_co_u32_e32 v6, vcc, s8, v6
	v_addc_co_u32_e32 v7, vcc, v25, v7, vcc
	v_mov_b32_e32 v4, s20
	s_waitcnt vmcnt(0)
	v_fma_f64 v[15:16], -v[0:1], v[11:12], v[15:16]
	v_fma_f64 v[17:18], -v[2:3], v[11:12], v[17:18]
	v_fma_f64 v[11:12], v[2:3], v[13:14], v[15:16]
	v_fma_f64 v[13:14], -v[0:1], v[13:14], v[17:18]
	global_store_dwordx4 v[23:24], v[11:14], off
	global_load_dwordx4 v[11:14], v[21:22], off
	s_nop 0
	global_load_dwordx4 v[15:18], v[6:7], off
	s_waitcnt vmcnt(0)
	v_fma_f64 v[15:16], -v[0:1], v[11:12], v[15:16]
	v_fma_f64 v[17:18], -v[2:3], v[11:12], v[17:18]
	v_fma_f64 v[11:12], v[2:3], v[13:14], v[15:16]
	v_fma_f64 v[13:14], -v[0:1], v[13:14], v[17:18]
	global_store_dwordx4 v[6:7], v[11:14], off
	s_branch .LBB271_18
.LBB271_23:
	s_endpgm
	.section	.rodata,"a",@progbits
	.p2align	6, 0x0
	.amdhsa_kernel _ZN9rocsparseL19gtsv_LBM_rhs_kernelILj256ELj2ELj2E21rocsparse_complex_numIdEEEviiiPKT2_S5_S5_PS3_S5_PKi
		.amdhsa_group_segment_fixed_size 0
		.amdhsa_private_segment_fixed_size 0
		.amdhsa_kernarg_size 64
		.amdhsa_user_sgpr_count 6
		.amdhsa_user_sgpr_private_segment_buffer 1
		.amdhsa_user_sgpr_dispatch_ptr 0
		.amdhsa_user_sgpr_queue_ptr 0
		.amdhsa_user_sgpr_kernarg_segment_ptr 1
		.amdhsa_user_sgpr_dispatch_id 0
		.amdhsa_user_sgpr_flat_scratch_init 0
		.amdhsa_user_sgpr_private_segment_size 0
		.amdhsa_uses_dynamic_stack 0
		.amdhsa_system_sgpr_private_segment_wavefront_offset 0
		.amdhsa_system_sgpr_workgroup_id_x 1
		.amdhsa_system_sgpr_workgroup_id_y 1
		.amdhsa_system_sgpr_workgroup_id_z 0
		.amdhsa_system_sgpr_workgroup_info 0
		.amdhsa_system_vgpr_workitem_id 0
		.amdhsa_next_free_vgpr 62
		.amdhsa_next_free_sgpr 26
		.amdhsa_reserve_vcc 1
		.amdhsa_reserve_flat_scratch 0
		.amdhsa_float_round_mode_32 0
		.amdhsa_float_round_mode_16_64 0
		.amdhsa_float_denorm_mode_32 3
		.amdhsa_float_denorm_mode_16_64 3
		.amdhsa_dx10_clamp 1
		.amdhsa_ieee_mode 1
		.amdhsa_fp16_overflow 0
		.amdhsa_exception_fp_ieee_invalid_op 0
		.amdhsa_exception_fp_denorm_src 0
		.amdhsa_exception_fp_ieee_div_zero 0
		.amdhsa_exception_fp_ieee_overflow 0
		.amdhsa_exception_fp_ieee_underflow 0
		.amdhsa_exception_fp_ieee_inexact 0
		.amdhsa_exception_int_div_zero 0
	.end_amdhsa_kernel
	.section	.text._ZN9rocsparseL19gtsv_LBM_rhs_kernelILj256ELj2ELj2E21rocsparse_complex_numIdEEEviiiPKT2_S5_S5_PS3_S5_PKi,"axG",@progbits,_ZN9rocsparseL19gtsv_LBM_rhs_kernelILj256ELj2ELj2E21rocsparse_complex_numIdEEEviiiPKT2_S5_S5_PS3_S5_PKi,comdat
.Lfunc_end271:
	.size	_ZN9rocsparseL19gtsv_LBM_rhs_kernelILj256ELj2ELj2E21rocsparse_complex_numIdEEEviiiPKT2_S5_S5_PS3_S5_PKi, .Lfunc_end271-_ZN9rocsparseL19gtsv_LBM_rhs_kernelILj256ELj2ELj2E21rocsparse_complex_numIdEEEviiiPKT2_S5_S5_PS3_S5_PKi
                                        ; -- End function
	.set _ZN9rocsparseL19gtsv_LBM_rhs_kernelILj256ELj2ELj2E21rocsparse_complex_numIdEEEviiiPKT2_S5_S5_PS3_S5_PKi.num_vgpr, 62
	.set _ZN9rocsparseL19gtsv_LBM_rhs_kernelILj256ELj2ELj2E21rocsparse_complex_numIdEEEviiiPKT2_S5_S5_PS3_S5_PKi.num_agpr, 0
	.set _ZN9rocsparseL19gtsv_LBM_rhs_kernelILj256ELj2ELj2E21rocsparse_complex_numIdEEEviiiPKT2_S5_S5_PS3_S5_PKi.numbered_sgpr, 26
	.set _ZN9rocsparseL19gtsv_LBM_rhs_kernelILj256ELj2ELj2E21rocsparse_complex_numIdEEEviiiPKT2_S5_S5_PS3_S5_PKi.num_named_barrier, 0
	.set _ZN9rocsparseL19gtsv_LBM_rhs_kernelILj256ELj2ELj2E21rocsparse_complex_numIdEEEviiiPKT2_S5_S5_PS3_S5_PKi.private_seg_size, 0
	.set _ZN9rocsparseL19gtsv_LBM_rhs_kernelILj256ELj2ELj2E21rocsparse_complex_numIdEEEviiiPKT2_S5_S5_PS3_S5_PKi.uses_vcc, 1
	.set _ZN9rocsparseL19gtsv_LBM_rhs_kernelILj256ELj2ELj2E21rocsparse_complex_numIdEEEviiiPKT2_S5_S5_PS3_S5_PKi.uses_flat_scratch, 0
	.set _ZN9rocsparseL19gtsv_LBM_rhs_kernelILj256ELj2ELj2E21rocsparse_complex_numIdEEEviiiPKT2_S5_S5_PS3_S5_PKi.has_dyn_sized_stack, 0
	.set _ZN9rocsparseL19gtsv_LBM_rhs_kernelILj256ELj2ELj2E21rocsparse_complex_numIdEEEviiiPKT2_S5_S5_PS3_S5_PKi.has_recursion, 0
	.set _ZN9rocsparseL19gtsv_LBM_rhs_kernelILj256ELj2ELj2E21rocsparse_complex_numIdEEEviiiPKT2_S5_S5_PS3_S5_PKi.has_indirect_call, 0
	.section	.AMDGPU.csdata,"",@progbits
; Kernel info:
; codeLenInByte = 2716
; TotalNumSgprs: 30
; NumVgprs: 62
; ScratchSize: 0
; MemoryBound: 1
; FloatMode: 240
; IeeeMode: 1
; LDSByteSize: 0 bytes/workgroup (compile time only)
; SGPRBlocks: 3
; VGPRBlocks: 15
; NumSGPRsForWavesPerEU: 30
; NumVGPRsForWavesPerEU: 62
; Occupancy: 4
; WaveLimiterHint : 0
; COMPUTE_PGM_RSRC2:SCRATCH_EN: 0
; COMPUTE_PGM_RSRC2:USER_SGPR: 6
; COMPUTE_PGM_RSRC2:TRAP_HANDLER: 0
; COMPUTE_PGM_RSRC2:TGID_X_EN: 1
; COMPUTE_PGM_RSRC2:TGID_Y_EN: 1
; COMPUTE_PGM_RSRC2:TGID_Z_EN: 0
; COMPUTE_PGM_RSRC2:TIDIG_COMP_CNT: 0
	.section	.text._ZN9rocsparseL19gtsv_LBM_rhs_kernelILj256ELj2ELj1E21rocsparse_complex_numIdEEEviiiPKT2_S5_S5_PS3_S5_PKi,"axG",@progbits,_ZN9rocsparseL19gtsv_LBM_rhs_kernelILj256ELj2ELj1E21rocsparse_complex_numIdEEEviiiPKT2_S5_S5_PS3_S5_PKi,comdat
	.globl	_ZN9rocsparseL19gtsv_LBM_rhs_kernelILj256ELj2ELj1E21rocsparse_complex_numIdEEEviiiPKT2_S5_S5_PS3_S5_PKi ; -- Begin function _ZN9rocsparseL19gtsv_LBM_rhs_kernelILj256ELj2ELj1E21rocsparse_complex_numIdEEEviiiPKT2_S5_S5_PS3_S5_PKi
	.p2align	8
	.type	_ZN9rocsparseL19gtsv_LBM_rhs_kernelILj256ELj2ELj1E21rocsparse_complex_numIdEEEviiiPKT2_S5_S5_PS3_S5_PKi,@function
_ZN9rocsparseL19gtsv_LBM_rhs_kernelILj256ELj2ELj1E21rocsparse_complex_numIdEEEviiiPKT2_S5_S5_PS3_S5_PKi: ; @_ZN9rocsparseL19gtsv_LBM_rhs_kernelILj256ELj2ELj1E21rocsparse_complex_numIdEEEviiiPKT2_S5_S5_PS3_S5_PKi
; %bb.0:
	s_load_dword s22, s[4:5], 0x0
	v_lshl_or_b32 v16, s6, 8, v0
	s_waitcnt lgkmcnt(0)
	s_lshr_b32 s20, s22, 1
	v_cmp_gt_i32_e32 vcc, s20, v16
	s_and_saveexec_b64 s[0:1], vcc
	s_cbranch_execz .LBB272_23
; %bb.1:
	s_load_dwordx4 s[8:11], s[4:5], 0x28
	s_load_dwordx2 s[16:17], s[4:5], 0x38
	s_cmp_lt_i32 s22, 1
	s_mul_i32 s21, s22, s7
	s_cbranch_scc1 .LBB272_15
; %bb.2:
	s_load_dwordx4 s[12:15], s[4:5], 0x10
	s_load_dwordx2 s[6:7], s[4:5], 0x20
	v_ashrrev_i32_e32 v17, 31, v16
	v_lshlrev_b64 v[0:1], 4, v[16:17]
	v_add_u32_e32 v26, s20, v16
	s_waitcnt lgkmcnt(0)
	v_mov_b32_e32 v2, s15
	v_add_co_u32_e32 v0, vcc, s14, v0
	v_addc_co_u32_e32 v1, vcc, v2, v1, vcc
	global_load_dwordx4 v[4:7], v[0:1], off
	v_add_u32_e32 v27, s21, v26
	s_and_b32 s23, s22, 0x7ffffffe
	v_mov_b32_e32 v18, 0
	s_mov_b64 s[4:5], 0
	v_mov_b32_e32 v28, s7
	v_mov_b32_e32 v25, 0
	s_branch .LBB272_5
.LBB272_3:                              ;   in Loop: Header=BB272_5 Depth=1
	s_or_b64 exec, exec, s[18:19]
	v_fma_f64 v[2:3], v[14:15], v[0:1], v[21:22]
	v_fma_f64 v[0:1], v[12:13], v[0:1], v[19:20]
	v_mov_b32_e32 v29, s20
	v_mul_f64 v[4:5], v[23:24], -v[2:3]
	v_mul_f64 v[12:13], v[23:24], v[0:1]
	v_fma_f64 v[0:1], v[0:1], v[6:7], v[4:5]
	v_fma_f64 v[4:5], v[2:3], v[6:7], v[12:13]
	v_add_f64 v[2:3], v[8:9], -v[0:1]
	v_add_f64 v[23:24], v[10:11], -v[4:5]
.LBB272_4:                              ;   in Loop: Header=BB272_5 Depth=1
	s_or_b64 exec, exec, s[2:3]
	v_add_u32_e32 v25, v29, v25
	v_cmp_le_i32_e32 vcc, s22, v25
	v_mov_b32_e32 v6, v23
	v_mov_b32_e32 v5, v3
	s_or_b64 s[4:5], vcc, s[4:5]
	v_mov_b32_e32 v7, v24
	v_mov_b32_e32 v4, v2
	s_andn2_b64 exec, exec, s[4:5]
	s_cbranch_execz .LBB272_14
.LBB272_5:                              ; =>This Inner Loop Header: Depth=1
	v_add_u32_e32 v23, v25, v16
	v_ashrrev_i32_e32 v24, 31, v23
	v_lshlrev_b64 v[0:1], 4, v[23:24]
	v_mov_b32_e32 v8, 0
	v_add_co_u32_e32 v0, vcc, s6, v0
	v_addc_co_u32_e32 v1, vcc, v28, v1, vcc
	global_load_dwordx4 v[0:3], v[0:1], off
	v_mov_b32_e32 v12, 0
	v_mov_b32_e32 v14, 0
	v_cmp_gt_u32_e64 s[0:1], s20, v25
	v_mov_b32_e32 v9, 0
	v_mov_b32_e32 v13, 0
	;; [unrolled: 1-line block ×3, first 2 shown]
	v_add_u32_e32 v19, v26, v25
	s_and_saveexec_b64 s[2:3], s[0:1]
	s_cbranch_execz .LBB272_7
; %bb.6:                                ;   in Loop: Header=BB272_5 Depth=1
	v_ashrrev_i32_e32 v20, 31, v19
	v_lshlrev_b64 v[10:11], 4, v[19:20]
	v_mov_b32_e32 v12, s13
	v_add_co_u32_e32 v10, vcc, s12, v10
	v_addc_co_u32_e32 v11, vcc, v12, v11, vcc
	global_load_dwordx4 v[12:15], v[10:11], off
.LBB272_7:                              ;   in Loop: Header=BB272_5 Depth=1
	s_or_b64 exec, exec, s[2:3]
	v_mov_b32_e32 v10, 0
	v_mov_b32_e32 v11, 0
	s_and_saveexec_b64 s[2:3], s[0:1]
	s_cbranch_execz .LBB272_9
; %bb.8:                                ;   in Loop: Header=BB272_5 Depth=1
	v_ashrrev_i32_e32 v20, 31, v19
	v_lshlrev_b64 v[8:9], 4, v[19:20]
	v_mov_b32_e32 v10, s15
	v_add_co_u32_e32 v8, vcc, s14, v8
	v_addc_co_u32_e32 v9, vcc, v10, v9, vcc
	global_load_dwordx4 v[8:11], v[8:9], off
.LBB272_9:                              ;   in Loop: Header=BB272_5 Depth=1
	s_or_b64 exec, exec, s[2:3]
	v_lshlrev_b64 v[19:20], 2, v[23:24]
	v_mov_b32_e32 v17, s17
	v_add_co_u32_e32 v19, vcc, s16, v19
	v_addc_co_u32_e32 v20, vcc, v17, v20, vcc
	global_load_dword v17, v[19:20], off
	s_waitcnt vmcnt(1)
	v_mul_f64 v[19:20], v[2:3], -v[14:15]
	v_mul_f64 v[21:22], v[2:3], v[12:13]
	v_cmp_ne_u32_e32 vcc, s20, v25
	s_waitcnt vmcnt(0)
	v_cmp_ne_u32_e64 s[2:3], 1, v17
	s_and_b64 s[2:3], vcc, s[2:3]
	v_add_u32_e32 v17, s21, v23
	s_and_saveexec_b64 s[18:19], s[2:3]
	s_xor_b64 s[18:19], exec, s[18:19]
	s_cbranch_execz .LBB272_11
; %bb.10:                               ;   in Loop: Header=BB272_5 Depth=1
	v_mul_f64 v[23:24], v[4:5], v[10:11]
	v_mul_f64 v[29:30], v[10:11], -v[6:7]
	v_fma_f64 v[21:22], v[14:15], v[0:1], v[21:22]
	v_fma_f64 v[19:20], v[12:13], v[0:1], v[19:20]
	v_mov_b32_e32 v42, s9
	v_mov_b32_e32 v44, s9
	v_fma_f64 v[23:24], v[6:7], v[8:9], v[23:24]
	v_fma_f64 v[29:30], v[4:5], v[8:9], v[29:30]
	v_add_f64 v[23:24], v[23:24], -v[21:22]
	v_add_f64 v[33:34], v[29:30], -v[19:20]
	v_mul_f64 v[19:20], v[23:24], v[23:24]
	v_fma_f64 v[35:36], v[33:34], v[33:34], v[19:20]
	v_div_scale_f64 v[29:30], s[2:3], v[35:36], v[35:36], 1.0
	v_div_scale_f64 v[31:32], vcc, 1.0, v[35:36], 1.0
	v_rcp_f64_e32 v[19:20], v[29:30]
	v_fma_f64 v[21:22], -v[29:30], v[19:20], 1.0
	v_fma_f64 v[19:20], v[19:20], v[21:22], v[19:20]
	v_fma_f64 v[21:22], -v[29:30], v[19:20], 1.0
	v_fma_f64 v[37:38], v[19:20], v[21:22], v[19:20]
	v_lshlrev_b64 v[19:20], 4, v[17:18]
	v_add_u32_e32 v17, v27, v25
	v_lshlrev_b64 v[21:22], 4, v[17:18]
	v_add_co_u32_e64 v41, s[2:3], s8, v19
	v_addc_co_u32_e64 v42, s[2:3], v42, v20, s[2:3]
	v_mul_f64 v[39:40], v[31:32], v[37:38]
	v_add_co_u32_e64 v43, s[2:3], s8, v21
	v_addc_co_u32_e64 v44, s[2:3], v44, v22, s[2:3]
	global_load_dwordx4 v[19:22], v[41:42], off
	v_fma_f64 v[45:46], -v[29:30], v[39:40], v[31:32]
	global_load_dwordx4 v[29:32], v[43:44], off
	v_div_fmas_f64 v[37:38], v[45:46], v[37:38], v[39:40]
	v_fma_f64 v[39:40], v[33:34], 0, -v[23:24]
	v_fma_f64 v[23:24], v[23:24], 0, v[33:34]
	v_div_fixup_f64 v[35:36], v[37:38], v[35:36], 1.0
	v_mul_f64 v[33:34], v[39:40], v[35:36]
	v_mul_f64 v[23:24], v[23:24], v[35:36]
	s_waitcnt vmcnt(1)
	v_mul_f64 v[35:36], v[33:34], v[19:20]
	v_mul_f64 v[39:40], v[33:34], -v[21:22]
	s_waitcnt vmcnt(0)
	v_mul_f64 v[37:38], v[33:34], v[29:30]
	v_mul_f64 v[33:34], v[33:34], -v[31:32]
	v_fma_f64 v[21:22], v[21:22], v[23:24], v[35:36]
	v_fma_f64 v[19:20], v[19:20], v[23:24], v[39:40]
	;; [unrolled: 1-line block ×4, first 2 shown]
	v_mul_f64 v[29:30], v[21:22], -v[10:11]
	v_mul_f64 v[33:34], v[8:9], v[21:22]
	v_mul_f64 v[39:40], v[14:15], v[21:22]
	v_mul_f64 v[21:22], v[21:22], -v[12:13]
	v_mul_f64 v[35:36], v[31:32], -v[2:3]
	v_mul_f64 v[37:38], v[0:1], v[31:32]
	v_mul_f64 v[45:46], v[31:32], -v[6:7]
	v_mul_f64 v[31:32], v[4:5], v[31:32]
	v_fma_f64 v[8:9], v[8:9], v[19:20], v[29:30]
	v_fma_f64 v[10:11], v[10:11], v[19:20], v[33:34]
	v_fma_f64 v[12:13], -v[12:13], v[19:20], v[39:40]
	v_fma_f64 v[14:15], -v[14:15], v[19:20], v[21:22]
	v_fma_f64 v[0:1], v[0:1], v[23:24], v[35:36]
	v_fma_f64 v[2:3], v[2:3], v[23:24], v[37:38]
	;; [unrolled: 1-line block ×4, first 2 shown]
                                        ; implicit-def: $vgpr19_vgpr20
                                        ; implicit-def: $vgpr21_vgpr22
	v_add_f64 v[0:1], v[8:9], -v[0:1]
	v_add_f64 v[2:3], v[10:11], -v[2:3]
	v_add_f64 v[4:5], v[12:13], v[4:5]
	v_add_f64 v[6:7], v[14:15], v[6:7]
                                        ; implicit-def: $vgpr12_vgpr13
                                        ; implicit-def: $vgpr8_vgpr9
	global_store_dwordx4 v[41:42], v[0:3], off
	global_store_dwordx4 v[43:44], v[4:7], off
                                        ; implicit-def: $vgpr6_vgpr7
                                        ; implicit-def: $vgpr0_vgpr1
.LBB272_11:                             ;   in Loop: Header=BB272_5 Depth=1
	s_or_saveexec_b64 s[2:3], s[18:19]
	v_mov_b32_e32 v2, 0
	v_mov_b32_e32 v23, 0
	;; [unrolled: 1-line block ×5, first 2 shown]
	s_xor_b64 exec, exec, s[2:3]
	s_cbranch_execz .LBB272_4
; %bb.12:                               ;   in Loop: Header=BB272_5 Depth=1
	v_mul_f64 v[2:3], v[6:7], v[6:7]
	v_lshlrev_b64 v[29:30], 4, v[17:18]
	v_mov_b32_e32 v17, s9
	v_add_co_u32_e32 v35, vcc, s8, v29
	v_addc_co_u32_e32 v36, vcc, v17, v30, vcc
	global_load_dwordx4 v[29:32], v[35:36], off
	v_fma_f64 v[2:3], v[4:5], v[4:5], v[2:3]
	v_div_scale_f64 v[23:24], s[18:19], v[2:3], v[2:3], 1.0
	v_rcp_f64_e32 v[33:34], v[23:24]
	v_fma_f64 v[37:38], -v[23:24], v[33:34], 1.0
	v_fma_f64 v[33:34], v[33:34], v[37:38], v[33:34]
	v_div_scale_f64 v[37:38], vcc, 1.0, v[2:3], 1.0
	v_fma_f64 v[39:40], -v[23:24], v[33:34], 1.0
	v_fma_f64 v[33:34], v[33:34], v[39:40], v[33:34]
	v_mul_f64 v[39:40], v[37:38], v[33:34]
	v_fma_f64 v[23:24], -v[23:24], v[39:40], v[37:38]
	v_div_fmas_f64 v[23:24], v[23:24], v[33:34], v[39:40]
	v_fma_f64 v[33:34], v[4:5], 0, -v[6:7]
	v_fma_f64 v[4:5], v[6:7], 0, v[4:5]
	v_div_fixup_f64 v[2:3], v[23:24], v[2:3], 1.0
	v_mul_f64 v[23:24], v[33:34], v[2:3]
	v_mul_f64 v[6:7], v[4:5], v[2:3]
	s_waitcnt vmcnt(0)
	v_mul_f64 v[2:3], v[23:24], -v[31:32]
	v_mul_f64 v[4:5], v[23:24], v[29:30]
	v_fma_f64 v[2:3], v[29:30], v[6:7], v[2:3]
	v_fma_f64 v[4:5], v[31:32], v[6:7], v[4:5]
	global_store_dwordx4 v[35:36], v[2:5], off
	s_and_saveexec_b64 s[18:19], s[0:1]
	s_cbranch_execz .LBB272_3
; %bb.13:                               ;   in Loop: Header=BB272_5 Depth=1
	v_add_u32_e32 v17, v27, v25
	v_lshlrev_b64 v[29:30], 4, v[17:18]
	v_mov_b32_e32 v17, s9
	v_add_co_u32_e32 v33, vcc, s8, v29
	v_addc_co_u32_e32 v34, vcc, v17, v30, vcc
	global_load_dwordx4 v[29:32], v[33:34], off
	s_waitcnt vmcnt(0)
	v_fma_f64 v[29:30], -v[12:13], v[2:3], v[29:30]
	v_fma_f64 v[31:32], -v[14:15], v[2:3], v[31:32]
	v_fma_f64 v[2:3], v[14:15], v[4:5], v[29:30]
	v_fma_f64 v[4:5], -v[12:13], v[4:5], v[31:32]
	global_store_dwordx4 v[33:34], v[2:5], off
	s_branch .LBB272_3
.LBB272_14:
	s_or_b64 exec, exec, s[4:5]
	s_branch .LBB272_16
.LBB272_15:
	v_mov_b32_e32 v25, 0
.LBB272_16:
	v_subrev_u32_e32 v2, s20, v25
	v_add_u32_e32 v0, v2, v16
	v_ashrrev_i32_e32 v1, 31, v0
	v_lshlrev_b64 v[0:1], 2, v[0:1]
	s_waitcnt lgkmcnt(0)
	v_mov_b32_e32 v3, s17
	v_add_co_u32_e32 v0, vcc, s16, v0
	v_addc_co_u32_e32 v1, vcc, v3, v1, vcc
	s_waitcnt vmcnt(0)
	buffer_wbinvl1_vol
	global_load_dword v0, v[0:1], off
	s_waitcnt vmcnt(0)
	v_mul_lo_u32 v0, v0, s20
	v_sub_u32_e32 v8, v2, v0
	v_cmp_lt_i32_e32 vcc, -1, v8
	s_and_b64 exec, exec, vcc
	s_cbranch_execz .LBB272_23
; %bb.17:
	s_add_i32 s0, s21, s20
	v_add_u32_e32 v9, s0, v16
	s_and_b32 s4, s22, -2
	s_mov_b64 s[0:1], 0
	v_mov_b32_e32 v10, s17
	v_mov_b32_e32 v11, s11
	;; [unrolled: 1-line block ×3, first 2 shown]
	s_branch .LBB272_19
.LBB272_18:                             ;   in Loop: Header=BB272_19 Depth=1
	s_or_b64 exec, exec, s[2:3]
	v_sub_u32_e32 v8, v8, v4
	v_cmp_gt_i32_e32 vcc, 0, v8
	s_or_b64 s[0:1], vcc, s[0:1]
	s_andn2_b64 exec, exec, s[0:1]
	s_cbranch_execz .LBB272_23
.LBB272_19:                             ; =>This Inner Loop Header: Depth=1
	v_add_u32_e32 v6, v8, v16
	v_ashrrev_i32_e32 v7, 31, v6
	s_waitcnt vmcnt(0)
	v_lshlrev_b64 v[0:1], 2, v[6:7]
	v_add_co_u32_e32 v0, vcc, s16, v0
	v_addc_co_u32_e32 v1, vcc, v10, v1, vcc
	global_load_dword v4, v[0:1], off
	v_lshlrev_b64 v[0:1], 4, v[6:7]
	v_add_co_u32_e32 v0, vcc, s10, v0
	v_addc_co_u32_e32 v1, vcc, v11, v1, vcc
	global_load_dwordx4 v[0:3], v[0:1], off
	s_waitcnt vmcnt(1)
	v_cmp_ne_u32_e32 vcc, 1, v4
	s_and_saveexec_b64 s[2:3], vcc
	s_xor_b64 s[2:3], exec, s[2:3]
	s_cbranch_execz .LBB272_21
; %bb.20:                               ;   in Loop: Header=BB272_19 Depth=1
	v_add_u32_e32 v4, v9, v8
	v_lshlrev_b64 v[12:13], 4, v[4:5]
	v_mov_b32_e32 v4, s9
	v_add_co_u32_e32 v21, vcc, s8, v12
	v_addc_co_u32_e32 v22, vcc, v4, v13, vcc
	v_add_u32_e32 v4, s21, v6
	v_lshlrev_b64 v[6:7], 4, v[4:5]
	v_mov_b32_e32 v4, s9
	v_add_co_u32_e32 v6, vcc, s8, v6
	v_addc_co_u32_e32 v7, vcc, v4, v7, vcc
	global_load_dwordx4 v[12:15], v[21:22], off
	global_load_dwordx4 v[17:20], v[6:7], off
	v_subrev_u32_e32 v4, s20, v8
	v_add_u32_e32 v21, v4, v16
	v_ashrrev_i32_e32 v22, 31, v21
	v_add_u32_e32 v4, s21, v21
	v_lshlrev_b64 v[21:22], 4, v[21:22]
	v_mov_b32_e32 v25, s11
	v_lshlrev_b64 v[23:24], 4, v[4:5]
	v_mov_b32_e32 v26, s9
	s_waitcnt vmcnt(0)
	v_fma_f64 v[17:18], -v[0:1], v[12:13], v[17:18]
	v_fma_f64 v[19:20], -v[2:3], v[12:13], v[19:20]
	v_fma_f64 v[17:18], v[2:3], v[14:15], v[17:18]
	v_fma_f64 v[19:20], -v[0:1], v[14:15], v[19:20]
	v_add_co_u32_e32 v0, vcc, s10, v21
	v_addc_co_u32_e32 v1, vcc, v25, v22, vcc
	v_add_co_u32_e32 v21, vcc, s8, v23
	v_addc_co_u32_e32 v22, vcc, v26, v24, vcc
	global_store_dwordx4 v[6:7], v[17:20], off
	global_load_dwordx4 v[0:3], v[0:1], off
	s_nop 0
	global_load_dwordx4 v[17:20], v[21:22], off
	s_waitcnt vmcnt(0)
	v_fma_f64 v[6:7], -v[0:1], v[12:13], v[17:18]
	v_fma_f64 v[17:18], -v[2:3], v[12:13], v[19:20]
	v_fma_f64 v[12:13], v[2:3], v[14:15], v[6:7]
	v_fma_f64 v[14:15], -v[0:1], v[14:15], v[17:18]
                                        ; implicit-def: $vgpr6
                                        ; implicit-def: $vgpr0_vgpr1
	global_store_dwordx4 v[21:22], v[12:15], off
.LBB272_21:                             ;   in Loop: Header=BB272_19 Depth=1
	s_or_saveexec_b64 s[2:3], s[2:3]
	v_mov_b32_e32 v4, s4
	s_xor_b64 exec, exec, s[2:3]
	s_cbranch_execz .LBB272_18
; %bb.22:                               ;   in Loop: Header=BB272_19 Depth=1
	v_add_u32_e32 v4, v9, v8
	v_lshlrev_b64 v[12:13], 4, v[4:5]
	v_mov_b32_e32 v4, s9
	v_add_co_u32_e32 v21, vcc, s8, v12
	v_addc_co_u32_e32 v22, vcc, v4, v13, vcc
	v_add_u32_e32 v4, s21, v6
	v_lshlrev_b64 v[6:7], 4, v[4:5]
	v_mov_b32_e32 v4, s9
	v_add_co_u32_e32 v6, vcc, s8, v6
	v_addc_co_u32_e32 v7, vcc, v4, v7, vcc
	global_load_dwordx4 v[12:15], v[21:22], off
	global_load_dwordx4 v[17:20], v[6:7], off
	v_mov_b32_e32 v4, s20
	s_waitcnt vmcnt(0)
	v_fma_f64 v[17:18], -v[0:1], v[12:13], v[17:18]
	v_fma_f64 v[19:20], -v[2:3], v[12:13], v[19:20]
	v_fma_f64 v[12:13], v[2:3], v[14:15], v[17:18]
	v_fma_f64 v[14:15], -v[0:1], v[14:15], v[19:20]
	global_store_dwordx4 v[6:7], v[12:15], off
	s_branch .LBB272_18
.LBB272_23:
	s_endpgm
	.section	.rodata,"a",@progbits
	.p2align	6, 0x0
	.amdhsa_kernel _ZN9rocsparseL19gtsv_LBM_rhs_kernelILj256ELj2ELj1E21rocsparse_complex_numIdEEEviiiPKT2_S5_S5_PS3_S5_PKi
		.amdhsa_group_segment_fixed_size 0
		.amdhsa_private_segment_fixed_size 0
		.amdhsa_kernarg_size 64
		.amdhsa_user_sgpr_count 6
		.amdhsa_user_sgpr_private_segment_buffer 1
		.amdhsa_user_sgpr_dispatch_ptr 0
		.amdhsa_user_sgpr_queue_ptr 0
		.amdhsa_user_sgpr_kernarg_segment_ptr 1
		.amdhsa_user_sgpr_dispatch_id 0
		.amdhsa_user_sgpr_flat_scratch_init 0
		.amdhsa_user_sgpr_private_segment_size 0
		.amdhsa_uses_dynamic_stack 0
		.amdhsa_system_sgpr_private_segment_wavefront_offset 0
		.amdhsa_system_sgpr_workgroup_id_x 1
		.amdhsa_system_sgpr_workgroup_id_y 1
		.amdhsa_system_sgpr_workgroup_id_z 0
		.amdhsa_system_sgpr_workgroup_info 0
		.amdhsa_system_vgpr_workitem_id 0
		.amdhsa_next_free_vgpr 47
		.amdhsa_next_free_sgpr 24
		.amdhsa_reserve_vcc 1
		.amdhsa_reserve_flat_scratch 0
		.amdhsa_float_round_mode_32 0
		.amdhsa_float_round_mode_16_64 0
		.amdhsa_float_denorm_mode_32 3
		.amdhsa_float_denorm_mode_16_64 3
		.amdhsa_dx10_clamp 1
		.amdhsa_ieee_mode 1
		.amdhsa_fp16_overflow 0
		.amdhsa_exception_fp_ieee_invalid_op 0
		.amdhsa_exception_fp_denorm_src 0
		.amdhsa_exception_fp_ieee_div_zero 0
		.amdhsa_exception_fp_ieee_overflow 0
		.amdhsa_exception_fp_ieee_underflow 0
		.amdhsa_exception_fp_ieee_inexact 0
		.amdhsa_exception_int_div_zero 0
	.end_amdhsa_kernel
	.section	.text._ZN9rocsparseL19gtsv_LBM_rhs_kernelILj256ELj2ELj1E21rocsparse_complex_numIdEEEviiiPKT2_S5_S5_PS3_S5_PKi,"axG",@progbits,_ZN9rocsparseL19gtsv_LBM_rhs_kernelILj256ELj2ELj1E21rocsparse_complex_numIdEEEviiiPKT2_S5_S5_PS3_S5_PKi,comdat
.Lfunc_end272:
	.size	_ZN9rocsparseL19gtsv_LBM_rhs_kernelILj256ELj2ELj1E21rocsparse_complex_numIdEEEviiiPKT2_S5_S5_PS3_S5_PKi, .Lfunc_end272-_ZN9rocsparseL19gtsv_LBM_rhs_kernelILj256ELj2ELj1E21rocsparse_complex_numIdEEEviiiPKT2_S5_S5_PS3_S5_PKi
                                        ; -- End function
	.set _ZN9rocsparseL19gtsv_LBM_rhs_kernelILj256ELj2ELj1E21rocsparse_complex_numIdEEEviiiPKT2_S5_S5_PS3_S5_PKi.num_vgpr, 47
	.set _ZN9rocsparseL19gtsv_LBM_rhs_kernelILj256ELj2ELj1E21rocsparse_complex_numIdEEEviiiPKT2_S5_S5_PS3_S5_PKi.num_agpr, 0
	.set _ZN9rocsparseL19gtsv_LBM_rhs_kernelILj256ELj2ELj1E21rocsparse_complex_numIdEEEviiiPKT2_S5_S5_PS3_S5_PKi.numbered_sgpr, 24
	.set _ZN9rocsparseL19gtsv_LBM_rhs_kernelILj256ELj2ELj1E21rocsparse_complex_numIdEEEviiiPKT2_S5_S5_PS3_S5_PKi.num_named_barrier, 0
	.set _ZN9rocsparseL19gtsv_LBM_rhs_kernelILj256ELj2ELj1E21rocsparse_complex_numIdEEEviiiPKT2_S5_S5_PS3_S5_PKi.private_seg_size, 0
	.set _ZN9rocsparseL19gtsv_LBM_rhs_kernelILj256ELj2ELj1E21rocsparse_complex_numIdEEEviiiPKT2_S5_S5_PS3_S5_PKi.uses_vcc, 1
	.set _ZN9rocsparseL19gtsv_LBM_rhs_kernelILj256ELj2ELj1E21rocsparse_complex_numIdEEEviiiPKT2_S5_S5_PS3_S5_PKi.uses_flat_scratch, 0
	.set _ZN9rocsparseL19gtsv_LBM_rhs_kernelILj256ELj2ELj1E21rocsparse_complex_numIdEEEviiiPKT2_S5_S5_PS3_S5_PKi.has_dyn_sized_stack, 0
	.set _ZN9rocsparseL19gtsv_LBM_rhs_kernelILj256ELj2ELj1E21rocsparse_complex_numIdEEEviiiPKT2_S5_S5_PS3_S5_PKi.has_recursion, 0
	.set _ZN9rocsparseL19gtsv_LBM_rhs_kernelILj256ELj2ELj1E21rocsparse_complex_numIdEEEviiiPKT2_S5_S5_PS3_S5_PKi.has_indirect_call, 0
	.section	.AMDGPU.csdata,"",@progbits
; Kernel info:
; codeLenInByte = 1952
; TotalNumSgprs: 28
; NumVgprs: 47
; ScratchSize: 0
; MemoryBound: 1
; FloatMode: 240
; IeeeMode: 1
; LDSByteSize: 0 bytes/workgroup (compile time only)
; SGPRBlocks: 3
; VGPRBlocks: 11
; NumSGPRsForWavesPerEU: 28
; NumVGPRsForWavesPerEU: 47
; Occupancy: 5
; WaveLimiterHint : 0
; COMPUTE_PGM_RSRC2:SCRATCH_EN: 0
; COMPUTE_PGM_RSRC2:USER_SGPR: 6
; COMPUTE_PGM_RSRC2:TRAP_HANDLER: 0
; COMPUTE_PGM_RSRC2:TGID_X_EN: 1
; COMPUTE_PGM_RSRC2:TGID_Y_EN: 1
; COMPUTE_PGM_RSRC2:TGID_Z_EN: 0
; COMPUTE_PGM_RSRC2:TIDIG_COMP_CNT: 0
	.section	.text._ZN9rocsparseL29gtsv_spike_block_level_kernelILj256ELj2E21rocsparse_complex_numIdEEEviiiPT1_PKS3_S6_S4_S4_S4_S4_S4_,"axG",@progbits,_ZN9rocsparseL29gtsv_spike_block_level_kernelILj256ELj2E21rocsparse_complex_numIdEEEviiiPT1_PKS3_S6_S4_S4_S4_S4_S4_,comdat
	.globl	_ZN9rocsparseL29gtsv_spike_block_level_kernelILj256ELj2E21rocsparse_complex_numIdEEEviiiPT1_PKS3_S6_S4_S4_S4_S4_S4_ ; -- Begin function _ZN9rocsparseL29gtsv_spike_block_level_kernelILj256ELj2E21rocsparse_complex_numIdEEEviiiPT1_PKS3_S6_S4_S4_S4_S4_S4_
	.p2align	8
	.type	_ZN9rocsparseL29gtsv_spike_block_level_kernelILj256ELj2E21rocsparse_complex_numIdEEEviiiPT1_PKS3_S6_S4_S4_S4_S4_S4_,@function
_ZN9rocsparseL29gtsv_spike_block_level_kernelILj256ELj2E21rocsparse_complex_numIdEEEviiiPT1_PKS3_S6_S4_S4_S4_S4_S4_: ; @_ZN9rocsparseL29gtsv_spike_block_level_kernelILj256ELj2E21rocsparse_complex_numIdEEEviiiPT1_PKS3_S6_S4_S4_S4_S4_S4_
; %bb.0:
	s_load_dword s20, s[4:5], 0x0
	s_load_dwordx2 s[8:9], s[4:5], 0x18
	v_lshl_or_b32 v15, s6, 8, v0
	v_mov_b32_e32 v1, 0
	v_mov_b32_e32 v3, 0
	s_waitcnt lgkmcnt(0)
	s_lshr_b32 s21, s20, 1
	v_mov_b32_e32 v5, 0
	v_mov_b32_e32 v2, 0
	;; [unrolled: 1-line block ×4, first 2 shown]
	v_cmp_gt_i32_e64 s[0:1], s21, v15
	s_and_saveexec_b64 s[2:3], s[0:1]
	s_cbranch_execz .LBB273_2
; %bb.1:
	v_ashrrev_i32_e32 v16, 31, v15
	v_lshlrev_b64 v[3:4], 4, v[15:16]
	v_mov_b32_e32 v5, s9
	v_add_co_u32_e32 v3, vcc, s8, v3
	v_addc_co_u32_e32 v4, vcc, v5, v4, vcc
	global_load_dwordx4 v[3:6], v[3:4], off
.LBB273_2:
	s_or_b64 exec, exec, s[2:3]
	s_load_dwordx2 s[2:3], s[4:5], 0x20
	v_lshlrev_b32_e32 v17, 4, v0
	s_waitcnt vmcnt(0)
	ds_write_b128 v17, v[3:6] offset:8192
	v_mov_b32_e32 v3, 0
	v_or_b32_e32 v18, 0x2000, v17
	v_mov_b32_e32 v4, 0
	v_add_u32_e32 v13, s21, v15
	s_and_saveexec_b64 s[10:11], s[0:1]
	s_cbranch_execz .LBB273_4
; %bb.3:
	v_mov_b32_e32 v14, 0
	v_lshlrev_b64 v[1:2], 4, v[13:14]
	v_mov_b32_e32 v3, s9
	v_add_co_u32_e32 v1, vcc, s8, v1
	v_addc_co_u32_e32 v2, vcc, v3, v2, vcc
	global_load_dwordx4 v[1:4], v[1:2], off
.LBB273_4:
	s_or_b64 exec, exec, s[10:11]
	v_mov_b32_e32 v5, 0
	v_mov_b32_e32 v9, 0
	;; [unrolled: 1-line block ×6, first 2 shown]
	s_waitcnt vmcnt(0)
	ds_write_b128 v18, v[1:4] offset:4096
	s_and_saveexec_b64 s[8:9], s[0:1]
	s_cbranch_execz .LBB273_6
; %bb.5:
	v_ashrrev_i32_e32 v16, 31, v15
	v_lshlrev_b64 v[1:2], 4, v[15:16]
	s_waitcnt lgkmcnt(0)
	v_mov_b32_e32 v3, s3
	v_add_co_u32_e32 v1, vcc, s2, v1
	v_addc_co_u32_e32 v2, vcc, v3, v2, vcc
	global_load_dwordx4 v[9:12], v[1:2], off
.LBB273_6:
	s_or_b64 exec, exec, s[8:9]
	s_load_dwordx2 s[16:17], s[4:5], 0x10
	v_mov_b32_e32 v7, 0
	v_mov_b32_e32 v8, 0
	s_waitcnt vmcnt(0)
	ds_write_b128 v17, v[9:12]
	s_and_saveexec_b64 s[8:9], s[0:1]
	s_cbranch_execz .LBB273_8
; %bb.7:
	v_mov_b32_e32 v14, 0
	v_lshlrev_b64 v[1:2], 4, v[13:14]
	s_waitcnt lgkmcnt(0)
	v_mov_b32_e32 v3, s3
	v_add_co_u32_e32 v1, vcc, s2, v1
	v_addc_co_u32_e32 v2, vcc, v3, v2, vcc
	global_load_dwordx4 v[5:8], v[1:2], off
.LBB273_8:
	s_or_b64 exec, exec, s[8:9]
	s_waitcnt vmcnt(0)
	ds_write_b128 v17, v[5:8] offset:4096
	v_mov_b32_e32 v1, 0
	s_mul_i32 s20, s20, s7
	v_mov_b32_e32 v5, 0
	v_mov_b32_e32 v7, 0
	;; [unrolled: 1-line block ×5, first 2 shown]
	v_add_u32_e32 v9, s20, v15
	s_waitcnt lgkmcnt(0)
	s_and_saveexec_b64 s[2:3], s[0:1]
	s_cbranch_execz .LBB273_10
; %bb.9:
	v_ashrrev_i32_e32 v10, 31, v9
	v_lshlrev_b64 v[3:4], 4, v[9:10]
	v_mov_b32_e32 v5, s17
	v_add_co_u32_e32 v3, vcc, s16, v3
	v_addc_co_u32_e32 v4, vcc, v5, v4, vcc
	global_load_dwordx4 v[5:8], v[3:4], off
.LBB273_10:
	s_or_b64 exec, exec, s[2:3]
	s_load_dwordx2 s[2:3], s[4:5], 0x48
	s_load_dwordx8 s[8:15], s[4:5], 0x28
	v_mov_b32_e32 v3, 0
	v_or_b32_e32 v11, 0x4000, v17
	v_mov_b32_e32 v4, 0
	s_waitcnt vmcnt(0)
	ds_write_b128 v17, v[5:8] offset:16384
	s_and_saveexec_b64 s[18:19], s[0:1]
	s_cbranch_execz .LBB273_12
; %bb.11:
	s_add_i32 s21, s20, s21
	v_add_u32_e32 v1, s21, v15
	v_mov_b32_e32 v2, 0
	v_lshlrev_b64 v[1:2], 4, v[1:2]
	v_mov_b32_e32 v3, s17
	v_add_co_u32_e32 v1, vcc, s16, v1
	v_addc_co_u32_e32 v2, vcc, v3, v2, vcc
	global_load_dwordx4 v[1:4], v[1:2], off
.LBB273_12:
	s_or_b64 exec, exec, s[18:19]
	v_add_u32_e32 v7, 0x1000, v18
	v_or_b32_e32 v6, 0x1000, v17
	v_add_u32_e32 v5, 0x1000, v11
	s_mov_b32 s21, 2
	s_waitcnt vmcnt(0)
	ds_write_b128 v11, v[1:4] offset:4096
	s_waitcnt lgkmcnt(0)
	s_barrier
	s_branch .LBB273_14
.LBB273_13:                             ;   in Loop: Header=BB273_14 Depth=1
	s_or_b64 exec, exec, s[18:19]
	s_lshl_b32 s18, s21, 1
	s_cmpk_lt_u32 s21, 0x81
	s_mov_b32 s21, s18
	s_waitcnt lgkmcnt(0)
	s_barrier
	s_cbranch_scc0 .LBB273_16
.LBB273_14:                             ; =>This Inner Loop Header: Depth=1
	s_ff1_i32_b32 s18, s21
	s_lshr_b32 s18, 0x100, s18
	v_cmp_gt_u32_e32 vcc, s18, v0
	s_and_saveexec_b64 s[18:19], vcc
	s_cbranch_execz .LBB273_13
; %bb.15:                               ;   in Loop: Header=BB273_14 Depth=1
	v_mul_lo_u32 v8, s21, v0
	s_lshr_b32 s24, s21, 1
	v_add_u32_e32 v10, s24, v8
	v_lshlrev_b32_e32 v12, 4, v10
	ds_read_b128 v[1:4], v12 offset:8192
	ds_read_b128 v[19:22], v12 offset:4080
	ds_read_b128 v[23:26], v12
	ds_read_b128 v[27:30], v12 offset:12272
	v_add_lshl_u32 v10, v10, s24, 4
	v_lshlrev_b32_e32 v8, 4, v8
	s_waitcnt lgkmcnt(2)
	v_mul_f64 v[31:32], v[21:22], v[1:2]
	v_mul_f64 v[33:34], v[21:22], -v[3:4]
	s_waitcnt lgkmcnt(1)
	v_mul_f64 v[59:60], v[25:26], -v[21:22]
	v_mul_f64 v[61:62], v[19:20], v[25:26]
	s_waitcnt lgkmcnt(0)
	v_mul_f64 v[63:64], v[3:4], -v[29:30]
	v_fma_f64 v[31:32], v[3:4], v[19:20], v[31:32]
	v_fma_f64 v[33:34], v[1:2], v[19:20], v[33:34]
	v_add_f64 v[43:44], -v[31:32], 0
	v_add_f64 v[45:46], -v[33:34], 1.0
	v_mul_f64 v[31:32], v[43:44], v[43:44]
	v_fma_f64 v[65:66], v[45:46], 0, -v[43:44]
	v_fma_f64 v[43:44], v[43:44], 0, v[45:46]
	v_fma_f64 v[47:48], v[45:46], v[45:46], v[31:32]
	;; [unrolled: 1-line block ×3, first 2 shown]
	v_div_scale_f64 v[31:32], s[22:23], v[47:48], v[47:48], 1.0
	v_rcp_f64_e32 v[33:34], v[31:32]
	v_fma_f64 v[35:36], -v[31:32], v[33:34], 1.0
	v_fma_f64 v[33:34], v[33:34], v[35:36], v[33:34]
	v_div_scale_f64 v[35:36], vcc, 1.0, v[47:48], 1.0
	v_fma_f64 v[37:38], -v[31:32], v[33:34], 1.0
	v_fma_f64 v[33:34], v[33:34], v[37:38], v[33:34]
	v_mul_f64 v[37:38], v[35:36], v[33:34]
	v_fma_f64 v[31:32], -v[31:32], v[37:38], v[35:36]
	v_div_fmas_f64 v[49:50], v[31:32], v[33:34], v[37:38]
	ds_read_b128 v[31:34], v12 offset:16384
	ds_read_b128 v[35:38], v12 offset:20464
	;; [unrolled: 1-line block ×3, first 2 shown]
	s_waitcnt lgkmcnt(2)
	v_mul_f64 v[51:52], v[19:20], v[33:34]
	v_mul_f64 v[53:54], v[33:34], -v[21:22]
	s_waitcnt lgkmcnt(1)
	v_mul_f64 v[55:56], v[3:4], -v[37:38]
	v_mul_f64 v[57:58], v[3:4], v[35:36]
	v_mul_f64 v[3:4], v[3:4], v[27:28]
	v_fma_f64 v[51:52], v[21:22], v[31:32], v[51:52]
	v_fma_f64 v[21:22], v[21:22], v[23:24], v[61:62]
	v_fma_f64 v[55:56], v[35:36], v[1:2], v[55:56]
	v_div_fixup_f64 v[47:48], v[49:50], v[47:48], 1.0
	v_fma_f64 v[49:50], v[19:20], v[31:32], v[53:54]
	v_fma_f64 v[53:54], v[37:38], v[1:2], v[57:58]
	;; [unrolled: 1-line block ×3, first 2 shown]
	v_add_f64 v[19:20], v[37:38], -v[51:52]
	v_add_f64 v[51:52], v[31:32], -v[55:56]
	v_mul_f64 v[37:38], v[65:66], v[47:48]
	v_add_f64 v[35:36], v[35:36], -v[49:50]
	v_mul_f64 v[47:48], v[43:44], v[47:48]
	v_add_f64 v[49:50], v[33:34], -v[53:54]
	v_fma_f64 v[31:32], v[27:28], v[1:2], v[63:64]
	v_mul_f64 v[55:56], v[37:38], v[21:22]
	v_mul_f64 v[33:34], v[37:38], v[35:36]
	v_mul_f64 v[57:58], v[21:22], -v[47:48]
	v_mul_f64 v[21:22], v[37:38], v[3:4]
	v_mul_f64 v[59:60], v[3:4], -v[47:48]
	v_mul_f64 v[61:62], v[29:30], -v[37:38]
	v_mul_f64 v[29:30], v[47:48], v[29:30]
	v_mul_f64 v[1:2], v[37:38], -v[19:20]
	;; [unrolled: 3-line block ×3, first 2 shown]
	v_mul_f64 v[53:54], v[51:52], v[37:38]
	v_fma_f64 v[3:4], v[19:20], v[47:48], v[33:34]
	v_fma_f64 v[19:20], -v[47:48], v[31:32], v[21:22]
	v_fma_f64 v[21:22], -v[37:38], v[31:32], v[59:60]
	v_fma_f64 v[25:26], v[47:48], v[27:28], v[61:62]
	v_fma_f64 v[27:28], v[37:38], v[27:28], v[29:30]
	v_fma_f64 v[29:30], -v[47:48], v[45:46], v[55:56]
	v_fma_f64 v[31:32], -v[37:38], v[45:46], v[57:58]
	v_fma_f64 v[1:2], v[35:36], v[47:48], v[1:2]
	v_fma_f64 v[33:34], v[47:48], v[23:24], v[63:64]
	;; [unrolled: 1-line block ×5, first 2 shown]
	ds_write_b128 v12, v[19:22] offset:8192
	ds_write_b128 v12, v[25:28] offset:12272
	ds_read_b128 v[23:26], v8
	ds_read_b128 v[47:50], v8 offset:8192
	ds_write_b128 v12, v[29:32] offset:4080
	ds_write_b128 v12, v[33:36]
	ds_read_b128 v[27:30], v8
	ds_write_b128 v12, v[1:4] offset:20464
	ds_write_b128 v12, v[43:46] offset:16384
	s_waitcnt lgkmcnt(6)
	v_mul_f64 v[31:32], v[45:46], -v[25:26]
	v_mul_f64 v[37:38], v[45:46], v[23:24]
	ds_read_b128 v[1:4], v8 offset:16384
	s_waitcnt lgkmcnt(3)
	v_mul_f64 v[51:52], v[21:22], -v[29:30]
	v_mul_f64 v[21:22], v[21:22], v[27:28]
	v_mul_f64 v[45:46], v[35:36], v[29:30]
	v_mul_f64 v[35:36], v[35:36], -v[27:28]
	v_fma_f64 v[23:24], v[23:24], v[43:44], v[31:32]
	v_fma_f64 v[25:26], v[25:26], v[43:44], v[37:38]
	v_fma_f64 v[31:32], v[27:28], v[19:20], v[51:52]
	v_fma_f64 v[37:38], v[29:30], v[19:20], v[21:22]
	v_fma_f64 v[19:20], -v[27:28], v[33:34], v[45:46]
	v_fma_f64 v[21:22], -v[29:30], v[33:34], v[35:36]
	s_waitcnt lgkmcnt(0)
	v_add_f64 v[1:2], v[1:2], -v[23:24]
	v_add_f64 v[3:4], v[3:4], -v[25:26]
	ds_write_b128 v8, v[19:22]
	ds_write_b128 v8, v[1:4] offset:16384
	v_add_f64 v[23:24], v[47:48], -v[31:32]
	v_add_f64 v[25:26], v[49:50], -v[37:38]
	ds_read_b128 v[1:4], v12 offset:20464
	ds_read_b128 v[19:22], v12 offset:4080
	s_waitcnt lgkmcnt(1)
	v_mul_f64 v[43:44], v[3:4], -v[41:42]
	v_mul_f64 v[3:4], v[3:4], v[39:40]
	ds_write_b128 v8, v[23:26] offset:8192
	ds_read_b128 v[23:26], v10 offset:12272
	ds_read_b128 v[27:30], v10 offset:4080
	;; [unrolled: 1-line block ×4, first 2 shown]
	s_waitcnt lgkmcnt(3)
	v_mul_f64 v[45:46], v[25:26], -v[21:22]
	v_mul_f64 v[47:48], v[25:26], v[19:20]
	v_fma_f64 v[39:40], v[39:40], v[1:2], v[43:44]
	v_fma_f64 v[3:4], v[41:42], v[1:2], v[3:4]
	s_waitcnt lgkmcnt(1)
	v_mul_f64 v[49:50], v[25:26], v[33:34]
	v_mul_f64 v[33:34], v[33:34], -v[23:24]
	v_fma_f64 v[41:42], v[19:20], v[23:24], v[45:46]
	v_fma_f64 v[43:44], v[21:22], v[23:24], v[47:48]
	s_waitcnt lgkmcnt(0)
	v_add_f64 v[19:20], v[35:36], -v[39:40]
	v_add_f64 v[21:22], v[37:38], -v[3:4]
	v_fma_f64 v[1:2], -v[23:24], v[31:32], v[49:50]
	v_fma_f64 v[3:4], -v[25:26], v[31:32], v[33:34]
	v_add_f64 v[27:28], v[27:28], -v[41:42]
	v_add_f64 v[29:30], v[29:30], -v[43:44]
	ds_write_b128 v10, v[19:22] offset:20464
	ds_write_b128 v10, v[27:30] offset:4080
	;; [unrolled: 1-line block ×3, first 2 shown]
	s_branch .LBB273_13
.LBB273_16:
	s_and_saveexec_b64 s[18:19], s[0:1]
	s_cbranch_execnz .LBB273_19
; %bb.17:
	s_or_b64 exec, exec, s[18:19]
	v_cmp_eq_u32_e32 vcc, 0, v0
	s_and_saveexec_b64 s[0:1], vcc
	s_cbranch_execnz .LBB273_22
.LBB273_18:
	s_endpgm
.LBB273_19:
	s_cmp_lg_u32 s7, 0
	s_cbranch_scc1 .LBB273_21
; %bb.20:
	v_mov_b32_e32 v14, 0
	v_lshlrev_b64 v[1:2], 4, v[13:14]
	v_ashrrev_i32_e32 v16, 31, v15
	v_mov_b32_e32 v3, s11
	v_add_co_u32_e32 v26, vcc, s10, v1
	v_lshlrev_b64 v[28:29], 4, v[15:16]
	v_addc_co_u32_e32 v27, vcc, v3, v2, vcc
	v_add_co_u32_e32 v30, vcc, s10, v28
	v_addc_co_u32_e32 v31, vcc, v3, v29, vcc
	v_mov_b32_e32 v3, s9
	v_add_co_u32_e32 v32, vcc, s8, v1
	v_addc_co_u32_e32 v33, vcc, v3, v2, vcc
	ds_read2_b64 v[1:4], v18 offset1:1
	ds_read2_b64 v[18:21], v7 offset1:1
	;; [unrolled: 1-line block ×4, first 2 shown]
	v_mov_b32_e32 v8, s9
	v_add_co_u32_e32 v6, vcc, s8, v28
	v_addc_co_u32_e32 v7, vcc, v8, v29, vcc
	s_waitcnt lgkmcnt(3)
	global_store_dwordx4 v[6:7], v[1:4], off
	s_waitcnt lgkmcnt(2)
	global_store_dwordx4 v[32:33], v[18:21], off
	;; [unrolled: 2-line block ×4, first 2 shown]
.LBB273_21:
	v_ashrrev_i32_e32 v10, 31, v9
	ds_read2_b64 v[1:4], v11 offset1:1
	v_lshlrev_b64 v[6:7], 4, v[9:10]
	v_mov_b32_e32 v8, s17
	v_add_co_u32_e32 v9, vcc, s16, v6
	v_addc_co_u32_e32 v10, vcc, v8, v7, vcc
	ds_read2_b64 v[5:8], v5 offset1:1
	s_waitcnt lgkmcnt(1)
	global_store_dwordx4 v[9:10], v[1:4], off
	s_nop 0
	v_add_u32_e32 v1, s20, v13
	v_mov_b32_e32 v2, 0
	v_lshlrev_b64 v[1:2], 4, v[1:2]
	v_mov_b32_e32 v3, s17
	v_add_co_u32_e32 v1, vcc, s16, v1
	v_addc_co_u32_e32 v2, vcc, v3, v2, vcc
	s_waitcnt lgkmcnt(0)
	global_store_dwordx4 v[1:2], v[5:8], off
	s_or_b64 exec, exec, s[18:19]
	v_cmp_eq_u32_e32 vcc, 0, v0
	s_and_saveexec_b64 s[0:1], vcc
	s_cbranch_execz .LBB273_18
.LBB273_22:
	s_cmp_eq_u32 s7, 0
	s_cbranch_scc1 .LBB273_26
; %bb.23:
	s_load_dword s8, s[4:5], 0x50
	s_cbranch_execnz .LBB273_25
.LBB273_24:
	v_mov_b32_e32 v8, 0
	ds_read_b128 v[0:3], v8 offset:8192
	ds_read_b128 v[4:7], v8 offset:16368
	s_waitcnt lgkmcnt(0)
	s_load_dword s8, s[4:5], 0x50
	s_mov_b32 s0, s7
	s_ashr_i32 s7, s6, 31
	s_lshl_b64 s[10:11], s[6:7], 4
	s_mov_b32 s7, s0
	s_add_u32 s0, s14, s10
	s_addc_u32 s1, s15, s11
	global_store_dwordx4 v8, v[0:3], s[0:1]
	s_waitcnt lgkmcnt(0)
	s_add_i32 s0, s8, s6
	s_mov_b32 s1, 0
	s_lshl_b64 s[0:1], s[0:1], 4
	s_add_u32 s4, s14, s0
	s_addc_u32 s5, s15, s1
	ds_read_b128 v[0:3], v8
	global_store_dwordx4 v8, v[4:7], s[4:5]
	ds_read_b128 v[4:7], v8 offset:8176
	s_add_u32 s4, s2, s10
	s_addc_u32 s5, s3, s11
	s_add_u32 s0, s2, s0
	s_addc_u32 s1, s3, s1
	s_waitcnt lgkmcnt(1)
	global_store_dwordx4 v8, v[0:3], s[4:5]
	s_waitcnt lgkmcnt(0)
	global_store_dwordx4 v8, v[4:7], s[0:1]
.LBB273_25:
	s_waitcnt lgkmcnt(0)
	s_mul_i32 s0, s8, s7
	s_lshl_b32 s0, s0, 1
	s_add_i32 s0, s0, s6
	s_mov_b32 s1, 0
	v_mov_b32_e32 v8, 0
	s_lshl_b64 s[2:3], s[0:1], 4
	ds_read_b128 v[0:3], v8 offset:16384
	ds_read_b128 v[4:7], v8 offset:24560
	s_add_u32 s2, s12, s2
	s_addc_u32 s3, s13, s3
	s_add_i32 s0, s0, s8
	s_lshl_b64 s[0:1], s[0:1], 4
	s_add_u32 s0, s12, s0
	s_addc_u32 s1, s13, s1
	s_waitcnt lgkmcnt(1)
	global_store_dwordx4 v8, v[0:3], s[2:3]
	s_waitcnt lgkmcnt(0)
	global_store_dwordx4 v8, v[4:7], s[0:1]
	s_endpgm
.LBB273_26:
                                        ; implicit-def: $sgpr8
	s_branch .LBB273_24
	.section	.rodata,"a",@progbits
	.p2align	6, 0x0
	.amdhsa_kernel _ZN9rocsparseL29gtsv_spike_block_level_kernelILj256ELj2E21rocsparse_complex_numIdEEEviiiPT1_PKS3_S6_S4_S4_S4_S4_S4_
		.amdhsa_group_segment_fixed_size 24576
		.amdhsa_private_segment_fixed_size 0
		.amdhsa_kernarg_size 336
		.amdhsa_user_sgpr_count 6
		.amdhsa_user_sgpr_private_segment_buffer 1
		.amdhsa_user_sgpr_dispatch_ptr 0
		.amdhsa_user_sgpr_queue_ptr 0
		.amdhsa_user_sgpr_kernarg_segment_ptr 1
		.amdhsa_user_sgpr_dispatch_id 0
		.amdhsa_user_sgpr_flat_scratch_init 0
		.amdhsa_user_sgpr_private_segment_size 0
		.amdhsa_uses_dynamic_stack 0
		.amdhsa_system_sgpr_private_segment_wavefront_offset 0
		.amdhsa_system_sgpr_workgroup_id_x 1
		.amdhsa_system_sgpr_workgroup_id_y 1
		.amdhsa_system_sgpr_workgroup_id_z 0
		.amdhsa_system_sgpr_workgroup_info 0
		.amdhsa_system_vgpr_workitem_id 0
		.amdhsa_next_free_vgpr 85
		.amdhsa_next_free_sgpr 98
		.amdhsa_reserve_vcc 1
		.amdhsa_reserve_flat_scratch 0
		.amdhsa_float_round_mode_32 0
		.amdhsa_float_round_mode_16_64 0
		.amdhsa_float_denorm_mode_32 3
		.amdhsa_float_denorm_mode_16_64 3
		.amdhsa_dx10_clamp 1
		.amdhsa_ieee_mode 1
		.amdhsa_fp16_overflow 0
		.amdhsa_exception_fp_ieee_invalid_op 0
		.amdhsa_exception_fp_denorm_src 0
		.amdhsa_exception_fp_ieee_div_zero 0
		.amdhsa_exception_fp_ieee_overflow 0
		.amdhsa_exception_fp_ieee_underflow 0
		.amdhsa_exception_fp_ieee_inexact 0
		.amdhsa_exception_int_div_zero 0
	.end_amdhsa_kernel
	.section	.text._ZN9rocsparseL29gtsv_spike_block_level_kernelILj256ELj2E21rocsparse_complex_numIdEEEviiiPT1_PKS3_S6_S4_S4_S4_S4_S4_,"axG",@progbits,_ZN9rocsparseL29gtsv_spike_block_level_kernelILj256ELj2E21rocsparse_complex_numIdEEEviiiPT1_PKS3_S6_S4_S4_S4_S4_S4_,comdat
.Lfunc_end273:
	.size	_ZN9rocsparseL29gtsv_spike_block_level_kernelILj256ELj2E21rocsparse_complex_numIdEEEviiiPT1_PKS3_S6_S4_S4_S4_S4_S4_, .Lfunc_end273-_ZN9rocsparseL29gtsv_spike_block_level_kernelILj256ELj2E21rocsparse_complex_numIdEEEviiiPT1_PKS3_S6_S4_S4_S4_S4_S4_
                                        ; -- End function
	.set _ZN9rocsparseL29gtsv_spike_block_level_kernelILj256ELj2E21rocsparse_complex_numIdEEEviiiPT1_PKS3_S6_S4_S4_S4_S4_S4_.num_vgpr, 67
	.set _ZN9rocsparseL29gtsv_spike_block_level_kernelILj256ELj2E21rocsparse_complex_numIdEEEviiiPT1_PKS3_S6_S4_S4_S4_S4_S4_.num_agpr, 0
	.set _ZN9rocsparseL29gtsv_spike_block_level_kernelILj256ELj2E21rocsparse_complex_numIdEEEviiiPT1_PKS3_S6_S4_S4_S4_S4_S4_.numbered_sgpr, 25
	.set _ZN9rocsparseL29gtsv_spike_block_level_kernelILj256ELj2E21rocsparse_complex_numIdEEEviiiPT1_PKS3_S6_S4_S4_S4_S4_S4_.num_named_barrier, 0
	.set _ZN9rocsparseL29gtsv_spike_block_level_kernelILj256ELj2E21rocsparse_complex_numIdEEEviiiPT1_PKS3_S6_S4_S4_S4_S4_S4_.private_seg_size, 0
	.set _ZN9rocsparseL29gtsv_spike_block_level_kernelILj256ELj2E21rocsparse_complex_numIdEEEviiiPT1_PKS3_S6_S4_S4_S4_S4_S4_.uses_vcc, 1
	.set _ZN9rocsparseL29gtsv_spike_block_level_kernelILj256ELj2E21rocsparse_complex_numIdEEEviiiPT1_PKS3_S6_S4_S4_S4_S4_S4_.uses_flat_scratch, 0
	.set _ZN9rocsparseL29gtsv_spike_block_level_kernelILj256ELj2E21rocsparse_complex_numIdEEEviiiPT1_PKS3_S6_S4_S4_S4_S4_S4_.has_dyn_sized_stack, 0
	.set _ZN9rocsparseL29gtsv_spike_block_level_kernelILj256ELj2E21rocsparse_complex_numIdEEEviiiPT1_PKS3_S6_S4_S4_S4_S4_S4_.has_recursion, 0
	.set _ZN9rocsparseL29gtsv_spike_block_level_kernelILj256ELj2E21rocsparse_complex_numIdEEEviiiPT1_PKS3_S6_S4_S4_S4_S4_S4_.has_indirect_call, 0
	.section	.AMDGPU.csdata,"",@progbits
; Kernel info:
; codeLenInByte = 2320
; TotalNumSgprs: 29
; NumVgprs: 67
; ScratchSize: 0
; MemoryBound: 1
; FloatMode: 240
; IeeeMode: 1
; LDSByteSize: 24576 bytes/workgroup (compile time only)
; SGPRBlocks: 12
; VGPRBlocks: 21
; NumSGPRsForWavesPerEU: 102
; NumVGPRsForWavesPerEU: 85
; Occupancy: 2
; WaveLimiterHint : 0
; COMPUTE_PGM_RSRC2:SCRATCH_EN: 0
; COMPUTE_PGM_RSRC2:USER_SGPR: 6
; COMPUTE_PGM_RSRC2:TRAP_HANDLER: 0
; COMPUTE_PGM_RSRC2:TGID_X_EN: 1
; COMPUTE_PGM_RSRC2:TGID_Y_EN: 1
; COMPUTE_PGM_RSRC2:TGID_Z_EN: 0
; COMPUTE_PGM_RSRC2:TIDIG_COMP_CNT: 0
	.section	.text._ZN9rocsparseL34gtsv_solve_spike_grid_level_kernelILj2E21rocsparse_complex_numIdEEEviiiPT0_PKS3_S6_,"axG",@progbits,_ZN9rocsparseL34gtsv_solve_spike_grid_level_kernelILj2E21rocsparse_complex_numIdEEEviiiPT0_PKS3_S6_,comdat
	.globl	_ZN9rocsparseL34gtsv_solve_spike_grid_level_kernelILj2E21rocsparse_complex_numIdEEEviiiPT0_PKS3_S6_ ; -- Begin function _ZN9rocsparseL34gtsv_solve_spike_grid_level_kernelILj2E21rocsparse_complex_numIdEEEviiiPT0_PKS3_S6_
	.p2align	8
	.type	_ZN9rocsparseL34gtsv_solve_spike_grid_level_kernelILj2E21rocsparse_complex_numIdEEEviiiPT0_PKS3_S6_,@function
_ZN9rocsparseL34gtsv_solve_spike_grid_level_kernelILj2E21rocsparse_complex_numIdEEEviiiPT0_PKS3_S6_: ; @_ZN9rocsparseL34gtsv_solve_spike_grid_level_kernelILj2E21rocsparse_complex_numIdEEEviiiPT0_PKS3_S6_
; %bb.0:
	s_load_dwordx4 s[0:3], s[4:5], 0x10
	s_load_dwordx2 s[8:9], s[4:5], 0x20
	v_lshl_or_b32 v10, s7, 2, v0
	v_mov_b32_e32 v11, 0
	v_lshlrev_b64 v[5:6], 4, v[10:11]
	s_waitcnt lgkmcnt(0)
	v_mov_b32_e32 v13, s1
	v_add_co_u32_e32 v8, vcc, s0, v5
	v_or_b32_e32 v10, 2, v10
	v_addc_co_u32_e32 v9, vcc, v13, v6, vcc
	v_lshlrev_b64 v[5:6], 4, v[10:11]
	v_lshlrev_b32_e32 v7, 4, v0
	v_add_co_u32_e32 v12, vcc, s0, v5
	global_load_dwordx4 v[1:4], v7, s[2:3]
	global_load_dwordx4 v[15:18], v7, s[2:3] offset:32
	v_addc_co_u32_e32 v13, vcc, v13, v6, vcc
	global_load_dwordx4 v[19:22], v7, s[8:9]
	global_load_dwordx4 v[23:26], v7, s[8:9] offset:32
	global_load_dwordx4 v[27:30], v[8:9], off
	global_load_dwordx4 v[31:34], v[12:13], off
	v_or_b32_e32 v14, 0x80, v7
	v_or_b32_e32 v10, 0xa0, v7
	v_cmp_eq_u32_e32 vcc, 0, v0
	s_waitcnt vmcnt(5)
	ds_write2_b64 v7, v[1:2], v[3:4] offset0:8 offset1:9
	s_waitcnt vmcnt(4)
	ds_write2_b64 v7, v[15:16], v[17:18] offset0:12 offset1:13
	s_waitcnt vmcnt(3)
	ds_write2_b64 v7, v[19:20], v[21:22] offset1:1
	s_waitcnt vmcnt(2)
	ds_write2_b64 v7, v[23:24], v[25:26] offset0:4 offset1:5
	s_waitcnt vmcnt(1)
	ds_write2_b64 v7, v[27:28], v[29:30] offset0:16 offset1:17
	;; [unrolled: 2-line block ×3, first 2 shown]
	s_waitcnt lgkmcnt(0)
	; wave barrier
	s_and_saveexec_b64 s[0:1], vcc
	s_cbranch_execz .LBB274_2
; %bb.1:
	ds_read_b128 v[15:18], v11
	ds_read_b128 v[4:7], v11 offset:16
	ds_read_b128 v[19:22], v11 offset:32
	ds_read_b128 v[23:26], v11 offset:80
	s_waitcnt lgkmcnt(0)
	v_mul_f64 v[2:3], v[21:22], v[23:24]
	v_mul_f64 v[0:1], v[21:22], -v[25:26]
	v_fma_f64 v[2:3], v[25:26], v[19:20], v[2:3]
	v_fma_f64 v[0:1], v[23:24], v[19:20], v[0:1]
	v_add_f64 v[2:3], -v[2:3], 0
	v_add_f64 v[0:1], -v[0:1], 1.0
	v_mul_f64 v[27:28], v[2:3], v[2:3]
	v_fma_f64 v[27:28], v[0:1], v[0:1], v[27:28]
	v_div_scale_f64 v[29:30], s[2:3], v[27:28], v[27:28], 1.0
	v_rcp_f64_e32 v[31:32], v[29:30]
	v_fma_f64 v[33:34], -v[29:30], v[31:32], 1.0
	v_fma_f64 v[31:32], v[31:32], v[33:34], v[31:32]
	v_fma_f64 v[33:34], -v[29:30], v[31:32], 1.0
	v_fma_f64 v[31:32], v[31:32], v[33:34], v[31:32]
	v_div_scale_f64 v[33:34], vcc, 1.0, v[27:28], 1.0
	v_mul_f64 v[35:36], v[33:34], v[31:32]
	v_fma_f64 v[29:30], -v[29:30], v[35:36], v[33:34]
	s_nop 1
	v_div_fmas_f64 v[29:30], v[29:30], v[31:32], v[35:36]
	v_div_fixup_f64 v[27:28], v[29:30], v[27:28], 1.0
	v_fma_f64 v[29:30], v[2:3], 0, v[0:1]
	v_fma_f64 v[0:1], v[0:1], 0, -v[2:3]
	v_mul_f64 v[35:36], v[29:30], v[27:28]
	v_mul_f64 v[37:38], v[0:1], v[27:28]
	ds_read_b128 v[0:3], v11 offset:160
	ds_read_b128 v[27:30], v11 offset:144
	s_waitcnt lgkmcnt(0)
	v_mul_f64 v[33:34], v[19:20], v[29:30]
	v_mul_f64 v[31:32], v[29:30], -v[21:22]
	v_fma_f64 v[33:34], v[21:22], v[27:28], v[33:34]
	v_fma_f64 v[31:32], v[19:20], v[27:28], v[31:32]
	v_add_f64 v[33:34], v[2:3], -v[33:34]
	v_add_f64 v[39:40], v[0:1], -v[31:32]
	v_mul_f64 v[31:32], v[37:38], -v[33:34]
	v_fma_f64 v[31:32], v[39:40], v[35:36], v[31:32]
	v_mul_f64 v[39:40], v[37:38], v[39:40]
	v_fma_f64 v[33:34], v[33:34], v[35:36], v[39:40]
	v_mul_f64 v[39:40], v[25:26], -v[2:3]
	ds_write_b128 v11, v[31:34] offset:160
	v_fma_f64 v[39:40], v[0:1], v[23:24], v[39:40]
	v_mul_f64 v[0:1], v[0:1], v[25:26]
	v_fma_f64 v[0:1], v[2:3], v[23:24], v[0:1]
	v_add_f64 v[2:3], v[27:28], -v[39:40]
	v_add_f64 v[27:28], v[29:30], -v[0:1]
	v_mul_f64 v[0:1], v[37:38], -v[27:28]
	v_fma_f64 v[0:1], v[2:3], v[35:36], v[0:1]
	v_mul_f64 v[2:3], v[37:38], v[2:3]
	v_fma_f64 v[2:3], v[27:28], v[35:36], v[2:3]
	ds_write_b128 v11, v[0:3] offset:144
	v_mul_f64 v[27:28], v[2:3], -v[17:18]
	v_mul_f64 v[2:3], v[15:16], v[2:3]
	v_fma_f64 v[27:28], v[15:16], v[0:1], v[27:28]
	v_fma_f64 v[29:30], v[17:18], v[0:1], v[2:3]
	ds_read_b128 v[0:3], v11 offset:128
	s_waitcnt lgkmcnt(0)
	v_add_f64 v[0:1], v[0:1], -v[27:28]
	v_add_f64 v[2:3], v[2:3], -v[29:30]
	ds_write_b128 v11, v[0:3] offset:128
	ds_read_b128 v[0:3], v11 offset:112
	s_waitcnt lgkmcnt(0)
	v_mul_f64 v[27:28], v[33:34], -v[2:3]
	v_fma_f64 v[39:40], v[0:1], v[31:32], v[27:28]
	v_mul_f64 v[27:28], v[33:34], v[0:1]
	v_fma_f64 v[31:32], v[2:3], v[31:32], v[27:28]
	ds_read_b128 v[27:30], v11 offset:176
	s_waitcnt lgkmcnt(0)
	v_add_f64 v[27:28], v[27:28], -v[39:40]
	v_add_f64 v[29:30], v[29:30], -v[31:32]
	ds_read_b128 v[31:34], v11 offset:96
	ds_write_b128 v11, v[27:30] offset:176
	v_mul_f64 v[27:28], v[6:7], -v[21:22]
	v_fma_f64 v[27:28], v[19:20], v[4:5], v[27:28]
	v_mul_f64 v[19:20], v[19:20], v[6:7]
	v_fma_f64 v[21:22], v[21:22], v[4:5], v[19:20]
	v_mul_f64 v[19:20], v[37:38], v[21:22]
	v_mul_f64 v[21:22], v[21:22], -v[35:36]
	v_fma_f64 v[19:20], -v[35:36], v[27:28], v[19:20]
	v_fma_f64 v[21:22], -v[37:38], v[27:28], v[21:22]
	v_mul_f64 v[27:28], v[6:7], -v[37:38]
	v_mul_f64 v[6:7], v[35:36], v[6:7]
	ds_write_b128 v11, v[19:22] offset:32
	v_fma_f64 v[27:28], v[35:36], v[4:5], v[27:28]
	v_fma_f64 v[29:30], v[37:38], v[4:5], v[6:7]
	s_waitcnt lgkmcnt(2)
	v_mul_f64 v[6:7], v[25:26], v[31:32]
	v_mul_f64 v[4:5], v[25:26], -v[33:34]
	ds_write_b128 v11, v[27:30] offset:16
	v_fma_f64 v[6:7], v[33:34], v[23:24], v[6:7]
	v_fma_f64 v[4:5], v[31:32], v[23:24], v[4:5]
	v_mul_f64 v[23:24], v[37:38], v[6:7]
	v_mul_f64 v[6:7], v[6:7], -v[35:36]
	v_fma_f64 v[23:24], -v[35:36], v[4:5], v[23:24]
	v_fma_f64 v[25:26], -v[37:38], v[4:5], v[6:7]
	v_mul_f64 v[4:5], v[33:34], -v[37:38]
	v_mul_f64 v[6:7], v[35:36], v[33:34]
	ds_write_b128 v11, v[23:26] offset:80
	v_fma_f64 v[4:5], v[35:36], v[31:32], v[4:5]
	v_fma_f64 v[6:7], v[37:38], v[31:32], v[6:7]
	v_mul_f64 v[31:32], v[25:26], -v[17:18]
	v_mul_f64 v[25:26], v[15:16], v[25:26]
	ds_write_b128 v11, v[4:7] offset:96
	v_fma_f64 v[31:32], v[15:16], v[23:24], v[31:32]
	v_fma_f64 v[33:34], v[17:18], v[23:24], v[25:26]
	ds_read_b128 v[23:26], v11 offset:64
	s_waitcnt lgkmcnt(0)
	v_add_f64 v[23:24], v[23:24], -v[31:32]
	v_add_f64 v[25:26], v[25:26], -v[33:34]
	ds_write_b128 v11, v[23:26] offset:64
	v_mul_f64 v[23:24], v[17:18], v[29:30]
	v_fma_f64 v[23:24], -v[15:16], v[27:28], v[23:24]
	v_mul_f64 v[15:16], v[29:30], -v[15:16]
	v_fma_f64 v[25:26], -v[17:18], v[27:28], v[15:16]
	v_mul_f64 v[15:16], v[2:3], -v[21:22]
	ds_write_b128 v11, v[23:26]
	v_fma_f64 v[23:24], v[19:20], v[0:1], v[15:16]
	v_mul_f64 v[15:16], v[19:20], v[2:3]
	v_fma_f64 v[19:20], v[21:22], v[0:1], v[15:16]
	ds_read_b128 v[15:18], v11 offset:48
	s_waitcnt lgkmcnt(0)
	v_add_f64 v[15:16], v[15:16], -v[23:24]
	v_add_f64 v[17:18], v[17:18], -v[19:20]
	ds_write_b128 v11, v[15:18] offset:48
	v_mul_f64 v[15:16], v[2:3], v[6:7]
	v_fma_f64 v[15:16], -v[0:1], v[4:5], v[15:16]
	v_mul_f64 v[0:1], v[6:7], -v[0:1]
	v_fma_f64 v[17:18], -v[2:3], v[4:5], v[0:1]
	ds_write_b128 v11, v[15:18] offset:112
.LBB274_2:
	s_or_b64 exec, exec, s[0:1]
	s_waitcnt lgkmcnt(0)
	; wave barrier
	ds_read2_b64 v[0:3], v14 offset1:1
	ds_read2_b64 v[4:7], v10 offset1:1
	s_waitcnt lgkmcnt(1)
	global_store_dwordx4 v[8:9], v[0:3], off
	s_waitcnt lgkmcnt(0)
	global_store_dwordx4 v[12:13], v[4:7], off
	s_endpgm
	.section	.rodata,"a",@progbits
	.p2align	6, 0x0
	.amdhsa_kernel _ZN9rocsparseL34gtsv_solve_spike_grid_level_kernelILj2E21rocsparse_complex_numIdEEEviiiPT0_PKS3_S6_
		.amdhsa_group_segment_fixed_size 192
		.amdhsa_private_segment_fixed_size 0
		.amdhsa_kernarg_size 40
		.amdhsa_user_sgpr_count 6
		.amdhsa_user_sgpr_private_segment_buffer 1
		.amdhsa_user_sgpr_dispatch_ptr 0
		.amdhsa_user_sgpr_queue_ptr 0
		.amdhsa_user_sgpr_kernarg_segment_ptr 1
		.amdhsa_user_sgpr_dispatch_id 0
		.amdhsa_user_sgpr_flat_scratch_init 0
		.amdhsa_user_sgpr_private_segment_size 0
		.amdhsa_uses_dynamic_stack 0
		.amdhsa_system_sgpr_private_segment_wavefront_offset 0
		.amdhsa_system_sgpr_workgroup_id_x 1
		.amdhsa_system_sgpr_workgroup_id_y 1
		.amdhsa_system_sgpr_workgroup_id_z 0
		.amdhsa_system_sgpr_workgroup_info 0
		.amdhsa_system_vgpr_workitem_id 0
		.amdhsa_next_free_vgpr 41
		.amdhsa_next_free_sgpr 10
		.amdhsa_reserve_vcc 1
		.amdhsa_reserve_flat_scratch 0
		.amdhsa_float_round_mode_32 0
		.amdhsa_float_round_mode_16_64 0
		.amdhsa_float_denorm_mode_32 3
		.amdhsa_float_denorm_mode_16_64 3
		.amdhsa_dx10_clamp 1
		.amdhsa_ieee_mode 1
		.amdhsa_fp16_overflow 0
		.amdhsa_exception_fp_ieee_invalid_op 0
		.amdhsa_exception_fp_denorm_src 0
		.amdhsa_exception_fp_ieee_div_zero 0
		.amdhsa_exception_fp_ieee_overflow 0
		.amdhsa_exception_fp_ieee_underflow 0
		.amdhsa_exception_fp_ieee_inexact 0
		.amdhsa_exception_int_div_zero 0
	.end_amdhsa_kernel
	.section	.text._ZN9rocsparseL34gtsv_solve_spike_grid_level_kernelILj2E21rocsparse_complex_numIdEEEviiiPT0_PKS3_S6_,"axG",@progbits,_ZN9rocsparseL34gtsv_solve_spike_grid_level_kernelILj2E21rocsparse_complex_numIdEEEviiiPT0_PKS3_S6_,comdat
.Lfunc_end274:
	.size	_ZN9rocsparseL34gtsv_solve_spike_grid_level_kernelILj2E21rocsparse_complex_numIdEEEviiiPT0_PKS3_S6_, .Lfunc_end274-_ZN9rocsparseL34gtsv_solve_spike_grid_level_kernelILj2E21rocsparse_complex_numIdEEEviiiPT0_PKS3_S6_
                                        ; -- End function
	.set _ZN9rocsparseL34gtsv_solve_spike_grid_level_kernelILj2E21rocsparse_complex_numIdEEEviiiPT0_PKS3_S6_.num_vgpr, 41
	.set _ZN9rocsparseL34gtsv_solve_spike_grid_level_kernelILj2E21rocsparse_complex_numIdEEEviiiPT0_PKS3_S6_.num_agpr, 0
	.set _ZN9rocsparseL34gtsv_solve_spike_grid_level_kernelILj2E21rocsparse_complex_numIdEEEviiiPT0_PKS3_S6_.numbered_sgpr, 10
	.set _ZN9rocsparseL34gtsv_solve_spike_grid_level_kernelILj2E21rocsparse_complex_numIdEEEviiiPT0_PKS3_S6_.num_named_barrier, 0
	.set _ZN9rocsparseL34gtsv_solve_spike_grid_level_kernelILj2E21rocsparse_complex_numIdEEEviiiPT0_PKS3_S6_.private_seg_size, 0
	.set _ZN9rocsparseL34gtsv_solve_spike_grid_level_kernelILj2E21rocsparse_complex_numIdEEEviiiPT0_PKS3_S6_.uses_vcc, 1
	.set _ZN9rocsparseL34gtsv_solve_spike_grid_level_kernelILj2E21rocsparse_complex_numIdEEEviiiPT0_PKS3_S6_.uses_flat_scratch, 0
	.set _ZN9rocsparseL34gtsv_solve_spike_grid_level_kernelILj2E21rocsparse_complex_numIdEEEviiiPT0_PKS3_S6_.has_dyn_sized_stack, 0
	.set _ZN9rocsparseL34gtsv_solve_spike_grid_level_kernelILj2E21rocsparse_complex_numIdEEEviiiPT0_PKS3_S6_.has_recursion, 0
	.set _ZN9rocsparseL34gtsv_solve_spike_grid_level_kernelILj2E21rocsparse_complex_numIdEEEviiiPT0_PKS3_S6_.has_indirect_call, 0
	.section	.AMDGPU.csdata,"",@progbits
; Kernel info:
; codeLenInByte = 1296
; TotalNumSgprs: 14
; NumVgprs: 41
; ScratchSize: 0
; MemoryBound: 0
; FloatMode: 240
; IeeeMode: 1
; LDSByteSize: 192 bytes/workgroup (compile time only)
; SGPRBlocks: 1
; VGPRBlocks: 10
; NumSGPRsForWavesPerEU: 14
; NumVGPRsForWavesPerEU: 41
; Occupancy: 5
; WaveLimiterHint : 0
; COMPUTE_PGM_RSRC2:SCRATCH_EN: 0
; COMPUTE_PGM_RSRC2:USER_SGPR: 6
; COMPUTE_PGM_RSRC2:TRAP_HANDLER: 0
; COMPUTE_PGM_RSRC2:TGID_X_EN: 1
; COMPUTE_PGM_RSRC2:TGID_Y_EN: 1
; COMPUTE_PGM_RSRC2:TGID_Z_EN: 0
; COMPUTE_PGM_RSRC2:TIDIG_COMP_CNT: 0
	.section	.text._ZN9rocsparseL34gtsv_solve_spike_grid_level_kernelILj4E21rocsparse_complex_numIdEEEviiiPT0_PKS3_S6_,"axG",@progbits,_ZN9rocsparseL34gtsv_solve_spike_grid_level_kernelILj4E21rocsparse_complex_numIdEEEviiiPT0_PKS3_S6_,comdat
	.globl	_ZN9rocsparseL34gtsv_solve_spike_grid_level_kernelILj4E21rocsparse_complex_numIdEEEviiiPT0_PKS3_S6_ ; -- Begin function _ZN9rocsparseL34gtsv_solve_spike_grid_level_kernelILj4E21rocsparse_complex_numIdEEEviiiPT0_PKS3_S6_
	.p2align	8
	.type	_ZN9rocsparseL34gtsv_solve_spike_grid_level_kernelILj4E21rocsparse_complex_numIdEEEviiiPT0_PKS3_S6_,@function
_ZN9rocsparseL34gtsv_solve_spike_grid_level_kernelILj4E21rocsparse_complex_numIdEEEviiiPT0_PKS3_S6_: ; @_ZN9rocsparseL34gtsv_solve_spike_grid_level_kernelILj4E21rocsparse_complex_numIdEEEviiiPT0_PKS3_S6_
; %bb.0:
	s_load_dwordx4 s[0:3], s[4:5], 0x10
	s_load_dwordx2 s[8:9], s[4:5], 0x20
	v_lshl_or_b32 v9, s7, 3, v0
	v_mov_b32_e32 v10, 0
	v_lshlrev_b64 v[11:12], 4, v[9:10]
	v_or_b32_e32 v9, 4, v9
	s_waitcnt lgkmcnt(0)
	v_mov_b32_e32 v13, s1
	v_add_co_u32_e32 v45, vcc, s0, v11
	v_lshlrev_b64 v[9:10], 4, v[9:10]
	v_addc_co_u32_e32 v46, vcc, v13, v12, vcc
	v_lshlrev_b32_e32 v50, 4, v0
	v_add_co_u32_e32 v47, vcc, s0, v9
	global_load_dwordx4 v[1:4], v50, s[2:3]
	global_load_dwordx4 v[5:8], v50, s[2:3] offset:64
	v_addc_co_u32_e32 v48, vcc, v13, v10, vcc
	global_load_dwordx4 v[9:12], v50, s[8:9]
	global_load_dwordx4 v[13:16], v50, s[8:9] offset:64
	global_load_dwordx4 v[17:20], v[45:46], off
	global_load_dwordx4 v[21:24], v[47:48], off
	v_or_b32_e32 v49, 0x100, v50
	v_cmp_gt_u32_e64 s[0:1], 2, v0
	s_waitcnt vmcnt(5)
	ds_write2_b64 v50, v[1:2], v[3:4] offset0:16 offset1:17
	s_waitcnt vmcnt(4)
	ds_write2_b64 v50, v[5:6], v[7:8] offset0:24 offset1:25
	s_waitcnt vmcnt(3)
	ds_write2_b64 v50, v[9:10], v[11:12] offset1:1
	s_waitcnt vmcnt(2)
	ds_write2_b64 v50, v[13:14], v[15:16] offset0:8 offset1:9
	s_waitcnt vmcnt(1)
	ds_write2_b64 v50, v[17:18], v[19:20] offset0:32 offset1:33
	;; [unrolled: 2-line block ×3, first 2 shown]
	s_waitcnt lgkmcnt(0)
	; wave barrier
	s_and_saveexec_b64 s[2:3], s[0:1]
	s_cbranch_execz .LBB275_2
; %bb.1:
	v_or_b32_e32 v1, 0x80, v50
	v_add_u32_e32 v52, v50, v50
	v_add_u32_e32 v51, v1, v50
	ds_read_b128 v[5:8], v52 offset:64
	ds_read_b128 v[9:12], v51 offset:16
	v_add_u32_e32 v53, v49, v50
	s_waitcnt lgkmcnt(0)
	v_mul_f64 v[1:2], v[7:8], v[9:10]
	v_mul_f64 v[3:4], v[7:8], -v[11:12]
	v_fma_f64 v[1:2], v[11:12], v[5:6], v[1:2]
	v_fma_f64 v[3:4], v[9:10], v[5:6], v[3:4]
	v_add_f64 v[1:2], -v[1:2], 0
	v_add_f64 v[3:4], -v[3:4], 1.0
	v_mul_f64 v[13:14], v[1:2], v[1:2]
	v_fma_f64 v[13:14], v[3:4], v[3:4], v[13:14]
	v_div_scale_f64 v[15:16], s[4:5], v[13:14], v[13:14], 1.0
	v_rcp_f64_e32 v[17:18], v[15:16]
	v_fma_f64 v[19:20], -v[15:16], v[17:18], 1.0
	v_fma_f64 v[17:18], v[17:18], v[19:20], v[17:18]
	v_div_scale_f64 v[19:20], vcc, 1.0, v[13:14], 1.0
	v_fma_f64 v[21:22], -v[15:16], v[17:18], 1.0
	v_fma_f64 v[17:18], v[17:18], v[21:22], v[17:18]
	v_mul_f64 v[21:22], v[19:20], v[17:18]
	v_fma_f64 v[15:16], -v[15:16], v[21:22], v[19:20]
	v_div_fmas_f64 v[15:16], v[15:16], v[17:18], v[21:22]
	v_fma_f64 v[17:18], v[3:4], 0, -v[1:2]
	v_fma_f64 v[1:2], v[1:2], 0, v[3:4]
	v_div_fixup_f64 v[13:14], v[15:16], v[13:14], 1.0
	v_mul_f64 v[21:22], v[17:18], v[13:14]
	v_mul_f64 v[23:24], v[1:2], v[13:14]
	ds_read_b128 v[13:16], v52 offset:16
	ds_read_b128 v[17:20], v53 offset:16
	s_waitcnt lgkmcnt(1)
	v_mul_f64 v[25:26], v[15:16], -v[7:8]
	v_mul_f64 v[1:2], v[15:16], -v[21:22]
	v_mul_f64 v[3:4], v[23:24], v[15:16]
	v_mul_f64 v[15:16], v[5:6], v[15:16]
	s_waitcnt lgkmcnt(0)
	v_mul_f64 v[27:28], v[19:20], -v[7:8]
	v_mul_f64 v[29:30], v[5:6], v[19:20]
	v_fma_f64 v[25:26], v[5:6], v[13:14], v[25:26]
	v_fma_f64 v[1:2], v[23:24], v[13:14], v[1:2]
	;; [unrolled: 1-line block ×4, first 2 shown]
	ds_read_b128 v[13:16], v53 offset:64
	v_fma_f64 v[5:6], v[5:6], v[17:18], v[27:28]
	v_fma_f64 v[7:8], v[7:8], v[17:18], v[29:30]
	s_waitcnt lgkmcnt(0)
	v_mul_f64 v[27:28], v[11:12], -v[15:16]
	v_mul_f64 v[29:30], v[11:12], v[13:14]
	v_add_f64 v[5:6], v[13:14], -v[5:6]
	v_add_f64 v[7:8], v[15:16], -v[7:8]
	v_fma_f64 v[27:28], v[13:14], v[9:10], v[27:28]
	v_fma_f64 v[29:30], v[15:16], v[9:10], v[29:30]
	ds_read_b128 v[13:16], v51 offset:64
	s_waitcnt lgkmcnt(0)
	v_mul_f64 v[33:34], v[11:12], -v[15:16]
	v_mul_f64 v[11:12], v[11:12], v[13:14]
	v_fma_f64 v[54:55], v[13:14], v[9:10], v[33:34]
	v_fma_f64 v[9:10], v[15:16], v[9:10], v[11:12]
	v_add_f64 v[11:12], v[17:18], -v[27:28]
	v_add_f64 v[17:18], v[19:20], -v[29:30]
	v_mul_f64 v[19:20], v[21:22], -v[7:8]
	v_mul_f64 v[27:28], v[21:22], v[5:6]
	v_fma_f64 v[33:34], v[5:6], v[23:24], v[19:20]
	v_fma_f64 v[35:36], v[7:8], v[23:24], v[27:28]
	v_mul_f64 v[5:6], v[21:22], -v[17:18]
	v_mul_f64 v[7:8], v[11:12], v[21:22]
	v_fma_f64 v[37:38], v[11:12], v[23:24], v[5:6]
	v_fma_f64 v[39:40], v[17:18], v[23:24], v[7:8]
	v_mul_f64 v[5:6], v[21:22], v[31:32]
	v_mul_f64 v[7:8], v[31:32], -v[23:24]
	v_mul_f64 v[11:12], v[23:24], v[15:16]
	v_fma_f64 v[41:42], -v[23:24], v[25:26], v[5:6]
	v_fma_f64 v[43:44], -v[21:22], v[25:26], v[7:8]
	v_mul_f64 v[5:6], v[21:22], v[9:10]
	v_mul_f64 v[7:8], v[9:10], -v[23:24]
	v_mul_f64 v[9:10], v[15:16], -v[21:22]
	v_fma_f64 v[11:12], v[21:22], v[13:14], v[11:12]
	v_fma_f64 v[5:6], -v[23:24], v[54:55], v[5:6]
	v_fma_f64 v[7:8], -v[21:22], v[54:55], v[7:8]
	v_fma_f64 v[9:10], v[23:24], v[13:14], v[9:10]
	ds_read_b128 v[13:16], v52
	ds_read_b128 v[54:57], v51 offset:80
	s_waitcnt lgkmcnt(1)
	v_mul_f64 v[17:18], v[39:40], -v[15:16]
	v_mul_f64 v[19:20], v[39:40], v[13:14]
	v_mul_f64 v[29:30], v[7:8], -v[15:16]
	s_waitcnt lgkmcnt(0)
	v_mul_f64 v[58:59], v[56:57], -v[43:44]
	v_fma_f64 v[21:22], v[13:14], v[37:38], v[17:18]
	v_fma_f64 v[23:24], v[15:16], v[37:38], v[19:20]
	ds_read_b128 v[17:20], v53
	v_fma_f64 v[29:30], v[13:14], v[5:6], v[29:30]
	v_fma_f64 v[58:59], v[41:42], v[54:55], v[58:59]
	s_waitcnt lgkmcnt(0)
	v_add_f64 v[17:18], v[17:18], -v[21:22]
	v_mul_f64 v[21:22], v[35:36], -v[56:57]
	v_add_f64 v[19:20], v[19:20], -v[23:24]
	v_fma_f64 v[25:26], v[54:55], v[33:34], v[21:22]
	v_mul_f64 v[21:22], v[35:36], v[54:55]
	v_fma_f64 v[27:28], v[56:57], v[33:34], v[21:22]
	ds_read_b128 v[21:24], v53 offset:80
	s_waitcnt lgkmcnt(0)
	v_add_f64 v[21:22], v[21:22], -v[25:26]
	v_mul_f64 v[25:26], v[3:4], v[15:16]
	v_add_f64 v[23:24], v[23:24], -v[27:28]
	v_mul_f64 v[27:28], v[3:4], -v[13:14]
	v_fma_f64 v[25:26], -v[13:14], v[1:2], v[25:26]
	v_mul_f64 v[13:14], v[7:8], v[13:14]
	v_fma_f64 v[27:28], -v[15:16], v[1:2], v[27:28]
	v_fma_f64 v[31:32], v[15:16], v[5:6], v[13:14]
	ds_read_b128 v[13:16], v51
	s_waitcnt lgkmcnt(0)
	v_add_f64 v[29:30], v[13:14], -v[29:30]
	v_mul_f64 v[13:14], v[56:57], v[11:12]
	v_add_f64 v[31:32], v[15:16], -v[31:32]
	v_mul_f64 v[15:16], v[11:12], -v[54:55]
	v_fma_f64 v[13:14], -v[54:55], v[9:10], v[13:14]
	v_fma_f64 v[15:16], -v[56:57], v[9:10], v[15:16]
	v_mul_f64 v[56:57], v[56:57], v[41:42]
	v_fma_f64 v[60:61], v[43:44], v[54:55], v[56:57]
	ds_read_b128 v[54:57], v52 offset:80
	s_waitcnt lgkmcnt(0)
	v_add_f64 v[54:55], v[54:55], -v[58:59]
	v_add_f64 v[56:57], v[56:57], -v[60:61]
	ds_write_b128 v53, v[33:36] offset:64
	ds_write_b128 v53, v[37:40] offset:16
	ds_write_b128 v52, v[41:44] offset:64
	ds_write_b128 v52, v[1:4] offset:16
	ds_write_b128 v51, v[5:8] offset:16
	ds_write_b128 v51, v[9:12] offset:64
	ds_write_b128 v52, v[25:28]
	ds_write_b128 v53, v[17:20]
	ds_write_b128 v53, v[21:24] offset:80
	ds_write_b128 v51, v[29:32]
	ds_write_b128 v52, v[54:57] offset:80
	ds_write_b128 v51, v[13:16] offset:80
.LBB275_2:
	s_or_b64 exec, exec, s[2:3]
	v_cmp_eq_u32_e64 s[2:3], 0, v0
	s_waitcnt lgkmcnt(0)
	; wave barrier
	s_and_saveexec_b64 s[4:5], s[2:3]
	s_cbranch_execz .LBB275_4
; %bb.3:
	v_mov_b32_e32 v9, 0
	ds_read_b128 v[5:8], v9 offset:80
	ds_read_b128 v[10:13], v9 offset:160
	s_waitcnt lgkmcnt(0)
	v_mul_f64 v[3:4], v[7:8], v[10:11]
	v_mul_f64 v[1:2], v[7:8], -v[12:13]
	v_fma_f64 v[3:4], v[12:13], v[5:6], v[3:4]
	v_fma_f64 v[1:2], v[10:11], v[5:6], v[1:2]
	v_add_f64 v[3:4], -v[3:4], 0
	v_add_f64 v[1:2], -v[1:2], 1.0
	v_mul_f64 v[14:15], v[3:4], v[3:4]
	v_fma_f64 v[14:15], v[1:2], v[1:2], v[14:15]
	v_div_scale_f64 v[16:17], s[6:7], v[14:15], v[14:15], 1.0
	v_rcp_f64_e32 v[18:19], v[16:17]
	v_fma_f64 v[20:21], -v[16:17], v[18:19], 1.0
	v_fma_f64 v[18:19], v[18:19], v[20:21], v[18:19]
	v_fma_f64 v[20:21], -v[16:17], v[18:19], 1.0
	v_fma_f64 v[18:19], v[18:19], v[20:21], v[18:19]
	v_div_scale_f64 v[20:21], vcc, 1.0, v[14:15], 1.0
	v_mul_f64 v[22:23], v[20:21], v[18:19]
	v_fma_f64 v[16:17], -v[16:17], v[22:23], v[20:21]
	s_nop 1
	v_div_fmas_f64 v[16:17], v[16:17], v[18:19], v[22:23]
	v_div_fixup_f64 v[14:15], v[16:17], v[14:15], 1.0
	v_fma_f64 v[16:17], v[3:4], 0, v[1:2]
	v_fma_f64 v[1:2], v[1:2], 0, -v[3:4]
	v_mul_f64 v[30:31], v[16:17], v[14:15]
	v_mul_f64 v[32:33], v[1:2], v[14:15]
	ds_read_b128 v[1:4], v9 offset:336
	ds_read_b128 v[14:17], v9 offset:288
	s_waitcnt lgkmcnt(0)
	v_mul_f64 v[20:21], v[5:6], v[16:17]
	v_mul_f64 v[18:19], v[16:17], -v[7:8]
	v_fma_f64 v[20:21], v[7:8], v[14:15], v[20:21]
	v_fma_f64 v[18:19], v[5:6], v[14:15], v[18:19]
	v_add_f64 v[20:21], v[3:4], -v[20:21]
	v_add_f64 v[22:23], v[1:2], -v[18:19]
	v_mul_f64 v[18:19], v[32:33], -v[20:21]
	v_fma_f64 v[18:19], v[22:23], v[30:31], v[18:19]
	v_mul_f64 v[22:23], v[32:33], v[22:23]
	v_fma_f64 v[20:21], v[20:21], v[30:31], v[22:23]
	v_mul_f64 v[22:23], v[12:13], -v[3:4]
	ds_write_b128 v9, v[18:21] offset:336
	v_fma_f64 v[22:23], v[1:2], v[10:11], v[22:23]
	v_mul_f64 v[1:2], v[12:13], v[1:2]
	v_fma_f64 v[1:2], v[3:4], v[10:11], v[1:2]
	v_add_f64 v[3:4], v[14:15], -v[22:23]
	v_add_f64 v[14:15], v[16:17], -v[1:2]
	v_mul_f64 v[1:2], v[32:33], -v[14:15]
	v_fma_f64 v[1:2], v[3:4], v[30:31], v[1:2]
	v_mul_f64 v[3:4], v[3:4], v[32:33]
	v_fma_f64 v[3:4], v[14:15], v[30:31], v[3:4]
	ds_write_b128 v9, v[1:4] offset:288
	ds_read_b128 v[14:17], v9
	ds_read_b128 v[22:25], v9 offset:32
	s_waitcnt lgkmcnt(1)
	v_mul_f64 v[26:27], v[3:4], -v[16:17]
	v_mul_f64 v[3:4], v[3:4], v[14:15]
	v_fma_f64 v[26:27], v[14:15], v[1:2], v[26:27]
	v_fma_f64 v[28:29], v[16:17], v[1:2], v[3:4]
	ds_read_b128 v[1:4], v9 offset:256
	s_waitcnt lgkmcnt(0)
	v_add_f64 v[1:2], v[1:2], -v[26:27]
	v_add_f64 v[3:4], v[3:4], -v[28:29]
	ds_write_b128 v9, v[1:4] offset:256
	ds_read_b128 v[1:4], v9 offset:240
	s_waitcnt lgkmcnt(0)
	v_mul_f64 v[26:27], v[20:21], -v[3:4]
	v_mul_f64 v[20:21], v[20:21], v[1:2]
	v_fma_f64 v[26:27], v[1:2], v[18:19], v[26:27]
	v_fma_f64 v[28:29], v[3:4], v[18:19], v[20:21]
	ds_read_b128 v[18:21], v9 offset:368
	s_waitcnt lgkmcnt(0)
	v_add_f64 v[18:19], v[18:19], -v[26:27]
	v_add_f64 v[20:21], v[20:21], -v[28:29]
	ds_write_b128 v9, v[18:21] offset:368
	v_mul_f64 v[18:19], v[24:25], -v[7:8]
	v_fma_f64 v[20:21], v[5:6], v[22:23], v[18:19]
	v_mul_f64 v[5:6], v[5:6], v[24:25]
	v_fma_f64 v[5:6], v[7:8], v[22:23], v[5:6]
	v_mul_f64 v[7:8], v[32:33], v[5:6]
	v_mul_f64 v[5:6], v[5:6], -v[30:31]
	v_fma_f64 v[18:19], -v[30:31], v[20:21], v[7:8]
	v_fma_f64 v[20:21], -v[32:33], v[20:21], v[5:6]
	v_mul_f64 v[5:6], v[24:25], -v[32:33]
	ds_write_b128 v9, v[18:21] offset:80
	v_fma_f64 v[26:27], v[30:31], v[22:23], v[5:6]
	v_mul_f64 v[5:6], v[30:31], v[24:25]
	v_fma_f64 v[28:29], v[32:33], v[22:23], v[5:6]
	ds_read_b128 v[22:25], v9 offset:208
	s_waitcnt lgkmcnt(0)
	v_mul_f64 v[7:8], v[12:13], v[22:23]
	v_mul_f64 v[5:6], v[12:13], -v[24:25]
	ds_write_b128 v9, v[26:29] offset:32
	v_fma_f64 v[7:8], v[24:25], v[10:11], v[7:8]
	v_fma_f64 v[5:6], v[22:23], v[10:11], v[5:6]
	v_mul_f64 v[10:11], v[32:33], v[7:8]
	v_mul_f64 v[7:8], v[7:8], -v[30:31]
	v_fma_f64 v[10:11], -v[30:31], v[5:6], v[10:11]
	v_fma_f64 v[12:13], -v[32:33], v[5:6], v[7:8]
	v_mul_f64 v[5:6], v[24:25], -v[32:33]
	v_mul_f64 v[7:8], v[30:31], v[24:25]
	ds_write_b128 v9, v[10:13] offset:160
	v_fma_f64 v[5:6], v[30:31], v[22:23], v[5:6]
	v_fma_f64 v[7:8], v[32:33], v[22:23], v[7:8]
	v_mul_f64 v[22:23], v[12:13], -v[16:17]
	v_mul_f64 v[12:13], v[12:13], v[14:15]
	ds_write_b128 v9, v[5:8] offset:208
	v_fma_f64 v[22:23], v[14:15], v[10:11], v[22:23]
	v_fma_f64 v[24:25], v[16:17], v[10:11], v[12:13]
	ds_read_b128 v[10:13], v9 offset:128
	s_waitcnt lgkmcnt(0)
	v_add_f64 v[10:11], v[10:11], -v[22:23]
	v_add_f64 v[12:13], v[12:13], -v[24:25]
	ds_write_b128 v9, v[10:13] offset:128
	v_mul_f64 v[10:11], v[28:29], v[16:17]
	v_mul_f64 v[12:13], v[28:29], -v[14:15]
	v_fma_f64 v[10:11], -v[14:15], v[26:27], v[10:11]
	v_fma_f64 v[12:13], -v[16:17], v[26:27], v[12:13]
	ds_write_b128 v9, v[10:13]
	v_mul_f64 v[10:11], v[3:4], -v[20:21]
	v_fma_f64 v[14:15], v[18:19], v[1:2], v[10:11]
	v_mul_f64 v[10:11], v[3:4], v[18:19]
	v_fma_f64 v[16:17], v[20:21], v[1:2], v[10:11]
	ds_read_b128 v[10:13], v9 offset:112
	s_waitcnt lgkmcnt(0)
	v_add_f64 v[10:11], v[10:11], -v[14:15]
	v_add_f64 v[12:13], v[12:13], -v[16:17]
	ds_write_b128 v9, v[10:13] offset:112
	v_mul_f64 v[10:11], v[3:4], v[7:8]
	v_fma_f64 v[10:11], -v[1:2], v[5:6], v[10:11]
	v_mul_f64 v[1:2], v[7:8], -v[1:2]
	v_fma_f64 v[12:13], -v[3:4], v[5:6], v[1:2]
	ds_write_b128 v9, v[10:13] offset:240
.LBB275_4:
	s_or_b64 exec, exec, s[4:5]
	v_or_b32_e32 v1, 0x140, v50
	s_waitcnt lgkmcnt(0)
	; wave barrier
	s_and_saveexec_b64 s[4:5], s[0:1]
	s_cbranch_execz .LBB275_6
; %bb.5:
	v_lshlrev_b32_e32 v2, 1, v0
	v_max_u32_e32 v2, 1, v2
	v_lshlrev_b32_e32 v28, 4, v2
	v_lshlrev_b32_e32 v0, 5, v0
	ds_read_b128 v[2:5], v28 offset:304
	ds_read_b128 v[6:9], v0 offset:192
	v_mov_b32_e32 v10, 0x130
	v_mov_b32_e32 v11, 0x120
	v_cndmask_b32_e64 v29, v10, v11, s[2:3]
	ds_read_b128 v[10:13], v29
	ds_read_b128 v[14:17], v0 offset:144
	s_waitcnt lgkmcnt(2)
	v_mul_f64 v[22:23], v[4:5], -v[8:9]
	v_mul_f64 v[4:5], v[4:5], v[6:7]
	ds_read_b128 v[18:21], v0 offset:64
	s_waitcnt lgkmcnt(0)
	v_mul_f64 v[24:25], v[12:13], -v[20:21]
	v_mul_f64 v[12:13], v[12:13], v[18:19]
	v_fma_f64 v[22:23], v[6:7], v[2:3], v[22:23]
	v_fma_f64 v[26:27], v[8:9], v[2:3], v[4:5]
	ds_read_b128 v[2:5], v0 offset:320
	ds_read_b128 v[6:9], v0 offset:272
	v_fma_f64 v[18:19], v[18:19], v[10:11], v[24:25]
	v_fma_f64 v[10:11], v[20:21], v[10:11], v[12:13]
	s_waitcnt lgkmcnt(1)
	v_add_f64 v[2:3], v[2:3], -v[22:23]
	v_add_f64 v[4:5], v[4:5], -v[26:27]
	;; [unrolled: 1-line block ×4, first 2 shown]
	ds_write_b128 v0, v[2:5] offset:320
	ds_read_b128 v[2:5], v28 offset:304
	s_waitcnt lgkmcnt(0)
	v_mul_f64 v[10:11], v[4:5], -v[16:17]
	v_mul_f64 v[4:5], v[4:5], v[14:15]
	v_fma_f64 v[10:11], v[14:15], v[2:3], v[10:11]
	v_fma_f64 v[4:5], v[16:17], v[2:3], v[4:5]
	v_add_f64 v[2:3], v[6:7], -v[10:11]
	v_add_f64 v[4:5], v[8:9], -v[4:5]
	ds_read_b128 v[6:9], v0 offset:16
	ds_write_b128 v0, v[2:5] offset:272
	ds_read_b128 v[10:13], v29
	s_waitcnt lgkmcnt(0)
	v_mul_f64 v[14:15], v[12:13], -v[8:9]
	v_mul_f64 v[12:13], v[12:13], v[6:7]
	v_fma_f64 v[6:7], v[6:7], v[10:11], v[14:15]
	v_fma_f64 v[8:9], v[8:9], v[10:11], v[12:13]
	v_add_f64 v[2:3], v[2:3], -v[6:7]
	v_add_f64 v[4:5], v[4:5], -v[8:9]
	ds_write_b128 v0, v[2:5] offset:272
.LBB275_6:
	s_or_b64 exec, exec, s[4:5]
	s_waitcnt lgkmcnt(0)
	; wave barrier
	ds_read2_b64 v[2:5], v49 offset1:1
	ds_read2_b64 v[6:9], v1 offset1:1
	s_waitcnt lgkmcnt(1)
	global_store_dwordx4 v[45:46], v[2:5], off
	s_waitcnt lgkmcnt(0)
	global_store_dwordx4 v[47:48], v[6:9], off
	s_endpgm
	.section	.rodata,"a",@progbits
	.p2align	6, 0x0
	.amdhsa_kernel _ZN9rocsparseL34gtsv_solve_spike_grid_level_kernelILj4E21rocsparse_complex_numIdEEEviiiPT0_PKS3_S6_
		.amdhsa_group_segment_fixed_size 384
		.amdhsa_private_segment_fixed_size 0
		.amdhsa_kernarg_size 40
		.amdhsa_user_sgpr_count 6
		.amdhsa_user_sgpr_private_segment_buffer 1
		.amdhsa_user_sgpr_dispatch_ptr 0
		.amdhsa_user_sgpr_queue_ptr 0
		.amdhsa_user_sgpr_kernarg_segment_ptr 1
		.amdhsa_user_sgpr_dispatch_id 0
		.amdhsa_user_sgpr_flat_scratch_init 0
		.amdhsa_user_sgpr_private_segment_size 0
		.amdhsa_uses_dynamic_stack 0
		.amdhsa_system_sgpr_private_segment_wavefront_offset 0
		.amdhsa_system_sgpr_workgroup_id_x 1
		.amdhsa_system_sgpr_workgroup_id_y 1
		.amdhsa_system_sgpr_workgroup_id_z 0
		.amdhsa_system_sgpr_workgroup_info 0
		.amdhsa_system_vgpr_workitem_id 0
		.amdhsa_next_free_vgpr 62
		.amdhsa_next_free_sgpr 10
		.amdhsa_reserve_vcc 1
		.amdhsa_reserve_flat_scratch 0
		.amdhsa_float_round_mode_32 0
		.amdhsa_float_round_mode_16_64 0
		.amdhsa_float_denorm_mode_32 3
		.amdhsa_float_denorm_mode_16_64 3
		.amdhsa_dx10_clamp 1
		.amdhsa_ieee_mode 1
		.amdhsa_fp16_overflow 0
		.amdhsa_exception_fp_ieee_invalid_op 0
		.amdhsa_exception_fp_denorm_src 0
		.amdhsa_exception_fp_ieee_div_zero 0
		.amdhsa_exception_fp_ieee_overflow 0
		.amdhsa_exception_fp_ieee_underflow 0
		.amdhsa_exception_fp_ieee_inexact 0
		.amdhsa_exception_int_div_zero 0
	.end_amdhsa_kernel
	.section	.text._ZN9rocsparseL34gtsv_solve_spike_grid_level_kernelILj4E21rocsparse_complex_numIdEEEviiiPT0_PKS3_S6_,"axG",@progbits,_ZN9rocsparseL34gtsv_solve_spike_grid_level_kernelILj4E21rocsparse_complex_numIdEEEviiiPT0_PKS3_S6_,comdat
.Lfunc_end275:
	.size	_ZN9rocsparseL34gtsv_solve_spike_grid_level_kernelILj4E21rocsparse_complex_numIdEEEviiiPT0_PKS3_S6_, .Lfunc_end275-_ZN9rocsparseL34gtsv_solve_spike_grid_level_kernelILj4E21rocsparse_complex_numIdEEEviiiPT0_PKS3_S6_
                                        ; -- End function
	.set _ZN9rocsparseL34gtsv_solve_spike_grid_level_kernelILj4E21rocsparse_complex_numIdEEEviiiPT0_PKS3_S6_.num_vgpr, 62
	.set _ZN9rocsparseL34gtsv_solve_spike_grid_level_kernelILj4E21rocsparse_complex_numIdEEEviiiPT0_PKS3_S6_.num_agpr, 0
	.set _ZN9rocsparseL34gtsv_solve_spike_grid_level_kernelILj4E21rocsparse_complex_numIdEEEviiiPT0_PKS3_S6_.numbered_sgpr, 10
	.set _ZN9rocsparseL34gtsv_solve_spike_grid_level_kernelILj4E21rocsparse_complex_numIdEEEviiiPT0_PKS3_S6_.num_named_barrier, 0
	.set _ZN9rocsparseL34gtsv_solve_spike_grid_level_kernelILj4E21rocsparse_complex_numIdEEEviiiPT0_PKS3_S6_.private_seg_size, 0
	.set _ZN9rocsparseL34gtsv_solve_spike_grid_level_kernelILj4E21rocsparse_complex_numIdEEEviiiPT0_PKS3_S6_.uses_vcc, 1
	.set _ZN9rocsparseL34gtsv_solve_spike_grid_level_kernelILj4E21rocsparse_complex_numIdEEEviiiPT0_PKS3_S6_.uses_flat_scratch, 0
	.set _ZN9rocsparseL34gtsv_solve_spike_grid_level_kernelILj4E21rocsparse_complex_numIdEEEviiiPT0_PKS3_S6_.has_dyn_sized_stack, 0
	.set _ZN9rocsparseL34gtsv_solve_spike_grid_level_kernelILj4E21rocsparse_complex_numIdEEEviiiPT0_PKS3_S6_.has_recursion, 0
	.set _ZN9rocsparseL34gtsv_solve_spike_grid_level_kernelILj4E21rocsparse_complex_numIdEEEviiiPT0_PKS3_S6_.has_indirect_call, 0
	.section	.AMDGPU.csdata,"",@progbits
; Kernel info:
; codeLenInByte = 2748
; TotalNumSgprs: 14
; NumVgprs: 62
; ScratchSize: 0
; MemoryBound: 0
; FloatMode: 240
; IeeeMode: 1
; LDSByteSize: 384 bytes/workgroup (compile time only)
; SGPRBlocks: 1
; VGPRBlocks: 15
; NumSGPRsForWavesPerEU: 14
; NumVGPRsForWavesPerEU: 62
; Occupancy: 4
; WaveLimiterHint : 0
; COMPUTE_PGM_RSRC2:SCRATCH_EN: 0
; COMPUTE_PGM_RSRC2:USER_SGPR: 6
; COMPUTE_PGM_RSRC2:TRAP_HANDLER: 0
; COMPUTE_PGM_RSRC2:TGID_X_EN: 1
; COMPUTE_PGM_RSRC2:TGID_Y_EN: 1
; COMPUTE_PGM_RSRC2:TGID_Z_EN: 0
; COMPUTE_PGM_RSRC2:TIDIG_COMP_CNT: 0
	.section	.text._ZN9rocsparseL34gtsv_solve_spike_grid_level_kernelILj8E21rocsparse_complex_numIdEEEviiiPT0_PKS3_S6_,"axG",@progbits,_ZN9rocsparseL34gtsv_solve_spike_grid_level_kernelILj8E21rocsparse_complex_numIdEEEviiiPT0_PKS3_S6_,comdat
	.globl	_ZN9rocsparseL34gtsv_solve_spike_grid_level_kernelILj8E21rocsparse_complex_numIdEEEviiiPT0_PKS3_S6_ ; -- Begin function _ZN9rocsparseL34gtsv_solve_spike_grid_level_kernelILj8E21rocsparse_complex_numIdEEEviiiPT0_PKS3_S6_
	.p2align	8
	.type	_ZN9rocsparseL34gtsv_solve_spike_grid_level_kernelILj8E21rocsparse_complex_numIdEEEviiiPT0_PKS3_S6_,@function
_ZN9rocsparseL34gtsv_solve_spike_grid_level_kernelILj8E21rocsparse_complex_numIdEEEviiiPT0_PKS3_S6_: ; @_ZN9rocsparseL34gtsv_solve_spike_grid_level_kernelILj8E21rocsparse_complex_numIdEEEviiiPT0_PKS3_S6_
; %bb.0:
	s_load_dwordx4 s[0:3], s[4:5], 0x10
	s_load_dwordx2 s[8:9], s[4:5], 0x20
	v_lshl_or_b32 v11, s7, 4, v0
	v_mov_b32_e32 v12, 0
	v_lshlrev_b64 v[9:10], 4, v[11:12]
	v_or_b32_e32 v11, 8, v11
	s_waitcnt lgkmcnt(0)
	v_mov_b32_e32 v13, s1
	v_add_co_u32_e32 v9, vcc, s0, v9
	v_lshlrev_b64 v[11:12], 4, v[11:12]
	v_addc_co_u32_e32 v10, vcc, v13, v10, vcc
	v_lshlrev_b32_e32 v14, 4, v0
	v_add_co_u32_e32 v11, vcc, s0, v11
	global_load_dwordx4 v[1:4], v14, s[2:3]
	global_load_dwordx4 v[5:8], v14, s[2:3] offset:128
	v_addc_co_u32_e32 v12, vcc, v13, v12, vcc
	global_load_dwordx4 v[15:18], v14, s[8:9]
	global_load_dwordx4 v[19:22], v14, s[8:9] offset:128
	global_load_dwordx4 v[23:26], v[9:10], off
	global_load_dwordx4 v[27:30], v[11:12], off
	v_or_b32_e32 v13, 0x200, v14
	v_cmp_gt_u32_e64 s[0:1], 4, v0
	s_waitcnt vmcnt(5)
	ds_write2_b64 v14, v[1:2], v[3:4] offset0:32 offset1:33
	s_waitcnt vmcnt(4)
	ds_write2_b64 v14, v[5:6], v[7:8] offset0:48 offset1:49
	s_waitcnt vmcnt(3)
	ds_write2_b64 v14, v[15:16], v[17:18] offset1:1
	s_waitcnt vmcnt(2)
	ds_write2_b64 v14, v[19:20], v[21:22] offset0:16 offset1:17
	s_waitcnt vmcnt(1)
	ds_write2_b64 v14, v[23:24], v[25:26] offset0:64 offset1:65
	;; [unrolled: 2-line block ×3, first 2 shown]
	s_waitcnt lgkmcnt(0)
	; wave barrier
	s_and_saveexec_b64 s[2:3], s[0:1]
	s_cbranch_execz .LBB276_2
; %bb.1:
	v_or_b32_e32 v1, 0x100, v14
	v_add_u32_e32 v42, v14, v14
	v_add_u32_e32 v15, v1, v14
	ds_read_b128 v[5:8], v42 offset:128
	ds_read_b128 v[16:19], v15 offset:16
	v_add_u32_e32 v43, v13, v14
	s_waitcnt lgkmcnt(0)
	v_mul_f64 v[3:4], v[7:8], v[16:17]
	v_mul_f64 v[1:2], v[7:8], -v[18:19]
	v_fma_f64 v[3:4], v[18:19], v[5:6], v[3:4]
	v_fma_f64 v[1:2], v[16:17], v[5:6], v[1:2]
	v_add_f64 v[3:4], -v[3:4], 0
	v_add_f64 v[1:2], -v[1:2], 1.0
	v_mul_f64 v[20:21], v[3:4], v[3:4]
	v_fma_f64 v[20:21], v[1:2], v[1:2], v[20:21]
	v_div_scale_f64 v[22:23], s[4:5], v[20:21], v[20:21], 1.0
	v_rcp_f64_e32 v[24:25], v[22:23]
	v_fma_f64 v[26:27], -v[22:23], v[24:25], 1.0
	v_fma_f64 v[24:25], v[24:25], v[26:27], v[24:25]
	v_fma_f64 v[26:27], -v[22:23], v[24:25], 1.0
	v_fma_f64 v[24:25], v[24:25], v[26:27], v[24:25]
	v_div_scale_f64 v[26:27], vcc, 1.0, v[20:21], 1.0
	v_mul_f64 v[28:29], v[26:27], v[24:25]
	v_fma_f64 v[22:23], -v[22:23], v[28:29], v[26:27]
	s_nop 1
	v_div_fmas_f64 v[22:23], v[22:23], v[24:25], v[28:29]
	v_div_fixup_f64 v[20:21], v[22:23], v[20:21], 1.0
	v_fma_f64 v[22:23], v[3:4], 0, v[1:2]
	v_fma_f64 v[1:2], v[1:2], 0, -v[3:4]
	v_mul_f64 v[36:37], v[22:23], v[20:21]
	v_mul_f64 v[38:39], v[1:2], v[20:21]
	ds_read_b128 v[1:4], v43 offset:128
	ds_read_b128 v[20:23], v43
	ds_read_b128 v[24:27], v43 offset:16
	s_waitcnt lgkmcnt(0)
	v_mul_f64 v[30:31], v[5:6], v[26:27]
	v_mul_f64 v[28:29], v[26:27], -v[7:8]
	v_fma_f64 v[30:31], v[7:8], v[24:25], v[30:31]
	v_fma_f64 v[28:29], v[5:6], v[24:25], v[28:29]
	v_add_f64 v[30:31], v[3:4], -v[30:31]
	v_add_f64 v[32:33], v[1:2], -v[28:29]
	v_mul_f64 v[28:29], v[38:39], -v[30:31]
	v_fma_f64 v[28:29], v[32:33], v[36:37], v[28:29]
	v_mul_f64 v[32:33], v[38:39], v[32:33]
	v_fma_f64 v[30:31], v[30:31], v[36:37], v[32:33]
	v_mul_f64 v[32:33], v[18:19], -v[3:4]
	ds_write_b128 v43, v[28:31] offset:128
	v_fma_f64 v[32:33], v[1:2], v[16:17], v[32:33]
	v_mul_f64 v[1:2], v[18:19], v[1:2]
	v_fma_f64 v[1:2], v[3:4], v[16:17], v[1:2]
	v_add_f64 v[3:4], v[24:25], -v[32:33]
	v_add_f64 v[24:25], v[26:27], -v[1:2]
	v_mul_f64 v[1:2], v[38:39], -v[24:25]
	v_fma_f64 v[1:2], v[3:4], v[36:37], v[1:2]
	v_mul_f64 v[3:4], v[3:4], v[38:39]
	v_fma_f64 v[3:4], v[24:25], v[36:37], v[3:4]
	ds_write_b128 v43, v[1:4] offset:16
	ds_read_b128 v[24:27], v42
	ds_read_b128 v[32:35], v42 offset:16
	s_waitcnt lgkmcnt(1)
	v_mul_f64 v[40:41], v[3:4], -v[26:27]
	v_mul_f64 v[3:4], v[3:4], v[24:25]
	v_fma_f64 v[40:41], v[24:25], v[1:2], v[40:41]
	v_fma_f64 v[3:4], v[26:27], v[1:2], v[3:4]
	v_add_f64 v[1:2], v[20:21], -v[40:41]
	v_add_f64 v[3:4], v[22:23], -v[3:4]
	ds_write_b128 v43, v[1:4]
	ds_read_b128 v[1:4], v15 offset:144
	s_waitcnt lgkmcnt(0)
	v_mul_f64 v[20:21], v[30:31], -v[3:4]
	v_fma_f64 v[40:41], v[1:2], v[28:29], v[20:21]
	v_mul_f64 v[20:21], v[30:31], v[1:2]
	v_fma_f64 v[28:29], v[3:4], v[28:29], v[20:21]
	ds_read_b128 v[20:23], v43 offset:144
	s_waitcnt lgkmcnt(0)
	v_add_f64 v[20:21], v[20:21], -v[40:41]
	v_add_f64 v[22:23], v[22:23], -v[28:29]
	ds_write_b128 v43, v[20:23] offset:144
	v_mul_f64 v[20:21], v[34:35], -v[7:8]
	v_fma_f64 v[22:23], v[5:6], v[32:33], v[20:21]
	v_mul_f64 v[5:6], v[5:6], v[34:35]
	v_fma_f64 v[5:6], v[7:8], v[32:33], v[5:6]
	v_mul_f64 v[7:8], v[38:39], v[5:6]
	v_mul_f64 v[5:6], v[5:6], -v[36:37]
	v_fma_f64 v[20:21], -v[36:37], v[22:23], v[7:8]
	v_fma_f64 v[22:23], -v[38:39], v[22:23], v[5:6]
	v_mul_f64 v[5:6], v[34:35], -v[38:39]
	ds_write_b128 v42, v[20:23] offset:128
	v_fma_f64 v[28:29], v[36:37], v[32:33], v[5:6]
	v_mul_f64 v[5:6], v[36:37], v[34:35]
	v_fma_f64 v[30:31], v[38:39], v[32:33], v[5:6]
	ds_read_b128 v[32:35], v15 offset:128
	s_waitcnt lgkmcnt(0)
	v_mul_f64 v[7:8], v[18:19], v[32:33]
	v_mul_f64 v[5:6], v[18:19], -v[34:35]
	ds_write_b128 v42, v[28:31] offset:16
	v_fma_f64 v[7:8], v[34:35], v[16:17], v[7:8]
	v_fma_f64 v[5:6], v[32:33], v[16:17], v[5:6]
	v_mul_f64 v[16:17], v[38:39], v[7:8]
	v_mul_f64 v[7:8], v[7:8], -v[36:37]
	v_fma_f64 v[16:17], -v[36:37], v[5:6], v[16:17]
	v_fma_f64 v[18:19], -v[38:39], v[5:6], v[7:8]
	v_mul_f64 v[5:6], v[34:35], -v[38:39]
	v_mul_f64 v[7:8], v[36:37], v[34:35]
	ds_write_b128 v15, v[16:19] offset:16
	v_fma_f64 v[5:6], v[36:37], v[32:33], v[5:6]
	v_fma_f64 v[7:8], v[38:39], v[32:33], v[7:8]
	v_mul_f64 v[32:33], v[18:19], -v[26:27]
	v_mul_f64 v[18:19], v[18:19], v[24:25]
	ds_write_b128 v15, v[5:8] offset:128
	v_fma_f64 v[32:33], v[24:25], v[16:17], v[32:33]
	v_fma_f64 v[34:35], v[26:27], v[16:17], v[18:19]
	ds_read_b128 v[16:19], v15
	s_waitcnt lgkmcnt(0)
	v_add_f64 v[16:17], v[16:17], -v[32:33]
	v_add_f64 v[18:19], v[18:19], -v[34:35]
	ds_write_b128 v15, v[16:19]
	v_mul_f64 v[16:17], v[30:31], v[26:27]
	v_mul_f64 v[18:19], v[30:31], -v[24:25]
	v_fma_f64 v[16:17], -v[24:25], v[28:29], v[16:17]
	v_fma_f64 v[18:19], -v[26:27], v[28:29], v[18:19]
	ds_write_b128 v42, v[16:19]
	v_mul_f64 v[16:17], v[3:4], -v[22:23]
	v_fma_f64 v[24:25], v[20:21], v[1:2], v[16:17]
	v_mul_f64 v[16:17], v[3:4], v[20:21]
	v_fma_f64 v[20:21], v[22:23], v[1:2], v[16:17]
	ds_read_b128 v[16:19], v42 offset:144
	s_waitcnt lgkmcnt(0)
	v_add_f64 v[16:17], v[16:17], -v[24:25]
	v_add_f64 v[18:19], v[18:19], -v[20:21]
	ds_write_b128 v42, v[16:19] offset:144
	v_mul_f64 v[16:17], v[3:4], v[7:8]
	v_fma_f64 v[16:17], -v[1:2], v[5:6], v[16:17]
	v_mul_f64 v[1:2], v[7:8], -v[1:2]
	v_fma_f64 v[18:19], -v[3:4], v[5:6], v[1:2]
	ds_write_b128 v15, v[16:19] offset:144
.LBB276_2:
	s_or_b64 exec, exec, s[2:3]
	v_cmp_gt_u32_e64 s[2:3], 2, v0
	v_lshlrev_b32_e32 v15, 6, v0
	s_waitcnt lgkmcnt(0)
	; wave barrier
	s_and_saveexec_b64 s[4:5], s[2:3]
	s_cbranch_execz .LBB276_4
; %bb.3:
	ds_read_b128 v[5:8], v15 offset:144
	ds_read_b128 v[16:19], v15 offset:288
	s_waitcnt lgkmcnt(0)
	v_mul_f64 v[3:4], v[7:8], v[16:17]
	v_mul_f64 v[1:2], v[7:8], -v[18:19]
	v_fma_f64 v[3:4], v[18:19], v[5:6], v[3:4]
	v_fma_f64 v[1:2], v[16:17], v[5:6], v[1:2]
	v_add_f64 v[3:4], -v[3:4], 0
	v_add_f64 v[1:2], -v[1:2], 1.0
	v_mul_f64 v[20:21], v[3:4], v[3:4]
	v_fma_f64 v[20:21], v[1:2], v[1:2], v[20:21]
	v_div_scale_f64 v[22:23], s[6:7], v[20:21], v[20:21], 1.0
	v_rcp_f64_e32 v[24:25], v[22:23]
	v_fma_f64 v[26:27], -v[22:23], v[24:25], 1.0
	v_fma_f64 v[24:25], v[24:25], v[26:27], v[24:25]
	v_fma_f64 v[26:27], -v[22:23], v[24:25], 1.0
	v_fma_f64 v[24:25], v[24:25], v[26:27], v[24:25]
	v_div_scale_f64 v[26:27], vcc, 1.0, v[20:21], 1.0
	v_mul_f64 v[28:29], v[26:27], v[24:25]
	v_fma_f64 v[22:23], -v[22:23], v[28:29], v[26:27]
	s_nop 1
	v_div_fmas_f64 v[22:23], v[22:23], v[24:25], v[28:29]
	v_div_fixup_f64 v[20:21], v[22:23], v[20:21], 1.0
	v_fma_f64 v[22:23], v[3:4], 0, v[1:2]
	v_fma_f64 v[1:2], v[1:2], 0, -v[3:4]
	v_mul_f64 v[36:37], v[22:23], v[20:21]
	v_mul_f64 v[38:39], v[1:2], v[20:21]
	ds_read_b128 v[1:4], v15 offset:656
	ds_read_b128 v[20:23], v15 offset:544
	s_waitcnt lgkmcnt(0)
	v_mul_f64 v[26:27], v[5:6], v[22:23]
	v_mul_f64 v[24:25], v[22:23], -v[7:8]
	v_fma_f64 v[26:27], v[7:8], v[20:21], v[26:27]
	v_fma_f64 v[24:25], v[5:6], v[20:21], v[24:25]
	v_add_f64 v[26:27], v[3:4], -v[26:27]
	v_add_f64 v[28:29], v[1:2], -v[24:25]
	v_mul_f64 v[24:25], v[38:39], -v[26:27]
	v_fma_f64 v[24:25], v[28:29], v[36:37], v[24:25]
	v_mul_f64 v[28:29], v[38:39], v[28:29]
	v_fma_f64 v[26:27], v[26:27], v[36:37], v[28:29]
	v_mul_f64 v[28:29], v[18:19], -v[3:4]
	ds_write_b128 v15, v[24:27] offset:656
	v_fma_f64 v[28:29], v[1:2], v[16:17], v[28:29]
	v_mul_f64 v[1:2], v[18:19], v[1:2]
	v_fma_f64 v[1:2], v[3:4], v[16:17], v[1:2]
	v_add_f64 v[3:4], v[20:21], -v[28:29]
	v_add_f64 v[20:21], v[22:23], -v[1:2]
	v_mul_f64 v[1:2], v[38:39], -v[20:21]
	v_fma_f64 v[1:2], v[3:4], v[36:37], v[1:2]
	v_mul_f64 v[3:4], v[3:4], v[38:39]
	v_fma_f64 v[3:4], v[20:21], v[36:37], v[3:4]
	ds_write_b128 v15, v[1:4] offset:544
	ds_read_b128 v[20:23], v15
	ds_read_b128 v[28:31], v15 offset:32
	s_waitcnt lgkmcnt(1)
	v_mul_f64 v[32:33], v[3:4], -v[22:23]
	v_mul_f64 v[3:4], v[3:4], v[20:21]
	v_fma_f64 v[32:33], v[20:21], v[1:2], v[32:33]
	v_fma_f64 v[34:35], v[22:23], v[1:2], v[3:4]
	ds_read_b128 v[1:4], v15 offset:512
	s_waitcnt lgkmcnt(0)
	v_add_f64 v[1:2], v[1:2], -v[32:33]
	v_add_f64 v[3:4], v[3:4], -v[34:35]
	ds_write_b128 v15, v[1:4] offset:512
	ds_read_b128 v[1:4], v15 offset:432
	s_waitcnt lgkmcnt(0)
	v_mul_f64 v[32:33], v[26:27], -v[3:4]
	v_mul_f64 v[26:27], v[26:27], v[1:2]
	v_fma_f64 v[32:33], v[1:2], v[24:25], v[32:33]
	v_fma_f64 v[34:35], v[3:4], v[24:25], v[26:27]
	ds_read_b128 v[24:27], v15 offset:688
	s_waitcnt lgkmcnt(0)
	v_add_f64 v[24:25], v[24:25], -v[32:33]
	v_add_f64 v[26:27], v[26:27], -v[34:35]
	ds_write_b128 v15, v[24:27] offset:688
	v_mul_f64 v[24:25], v[30:31], -v[7:8]
	v_fma_f64 v[26:27], v[5:6], v[28:29], v[24:25]
	v_mul_f64 v[5:6], v[5:6], v[30:31]
	v_fma_f64 v[5:6], v[7:8], v[28:29], v[5:6]
	v_mul_f64 v[7:8], v[38:39], v[5:6]
	v_mul_f64 v[5:6], v[5:6], -v[36:37]
	v_fma_f64 v[24:25], -v[36:37], v[26:27], v[7:8]
	v_fma_f64 v[26:27], -v[38:39], v[26:27], v[5:6]
	v_mul_f64 v[5:6], v[30:31], -v[38:39]
	ds_write_b128 v15, v[24:27] offset:144
	v_fma_f64 v[32:33], v[36:37], v[28:29], v[5:6]
	v_mul_f64 v[5:6], v[36:37], v[30:31]
	v_fma_f64 v[34:35], v[38:39], v[28:29], v[5:6]
	ds_read_b128 v[28:31], v15 offset:400
	s_waitcnt lgkmcnt(0)
	v_mul_f64 v[7:8], v[18:19], v[28:29]
	v_mul_f64 v[5:6], v[18:19], -v[30:31]
	ds_write_b128 v15, v[32:35] offset:32
	v_fma_f64 v[7:8], v[30:31], v[16:17], v[7:8]
	v_fma_f64 v[5:6], v[28:29], v[16:17], v[5:6]
	v_mul_f64 v[16:17], v[38:39], v[7:8]
	v_mul_f64 v[7:8], v[7:8], -v[36:37]
	v_fma_f64 v[16:17], -v[36:37], v[5:6], v[16:17]
	v_fma_f64 v[18:19], -v[38:39], v[5:6], v[7:8]
	v_mul_f64 v[5:6], v[30:31], -v[38:39]
	v_mul_f64 v[7:8], v[36:37], v[30:31]
	ds_write_b128 v15, v[16:19] offset:288
	v_fma_f64 v[5:6], v[36:37], v[28:29], v[5:6]
	v_fma_f64 v[7:8], v[38:39], v[28:29], v[7:8]
	v_mul_f64 v[28:29], v[18:19], -v[22:23]
	v_mul_f64 v[18:19], v[18:19], v[20:21]
	ds_write_b128 v15, v[5:8] offset:400
	v_fma_f64 v[28:29], v[20:21], v[16:17], v[28:29]
	v_fma_f64 v[30:31], v[22:23], v[16:17], v[18:19]
	ds_read_b128 v[16:19], v15 offset:256
	s_waitcnt lgkmcnt(0)
	v_add_f64 v[16:17], v[16:17], -v[28:29]
	v_add_f64 v[18:19], v[18:19], -v[30:31]
	ds_write_b128 v15, v[16:19] offset:256
	v_mul_f64 v[16:17], v[34:35], v[22:23]
	v_mul_f64 v[18:19], v[34:35], -v[20:21]
	v_fma_f64 v[16:17], -v[20:21], v[32:33], v[16:17]
	v_fma_f64 v[18:19], -v[22:23], v[32:33], v[18:19]
	ds_write_b128 v15, v[16:19]
	v_mul_f64 v[16:17], v[3:4], -v[26:27]
	v_fma_f64 v[20:21], v[24:25], v[1:2], v[16:17]
	v_mul_f64 v[16:17], v[3:4], v[24:25]
	v_fma_f64 v[22:23], v[26:27], v[1:2], v[16:17]
	ds_read_b128 v[16:19], v15 offset:176
	s_waitcnt lgkmcnt(0)
	v_add_f64 v[16:17], v[16:17], -v[20:21]
	v_add_f64 v[18:19], v[18:19], -v[22:23]
	ds_write_b128 v15, v[16:19] offset:176
	v_mul_f64 v[16:17], v[3:4], v[7:8]
	v_fma_f64 v[16:17], -v[1:2], v[5:6], v[16:17]
	v_mul_f64 v[1:2], v[7:8], -v[1:2]
	v_fma_f64 v[18:19], -v[3:4], v[5:6], v[1:2]
	ds_write_b128 v15, v[16:19] offset:432
.LBB276_4:
	s_or_b64 exec, exec, s[4:5]
	v_cmp_eq_u32_e32 vcc, 0, v0
	s_waitcnt lgkmcnt(0)
	; wave barrier
	s_and_saveexec_b64 s[4:5], vcc
	s_cbranch_execz .LBB276_6
; %bb.5:
	v_mov_b32_e32 v16, 0
	ds_read_b128 v[5:8], v16 offset:176
	ds_read_b128 v[17:20], v16 offset:320
	s_waitcnt lgkmcnt(0)
	v_mul_f64 v[3:4], v[7:8], v[17:18]
	v_mul_f64 v[1:2], v[7:8], -v[19:20]
	v_fma_f64 v[3:4], v[19:20], v[5:6], v[3:4]
	v_fma_f64 v[1:2], v[17:18], v[5:6], v[1:2]
	v_add_f64 v[3:4], -v[3:4], 0
	v_add_f64 v[1:2], -v[1:2], 1.0
	v_mul_f64 v[21:22], v[3:4], v[3:4]
	v_fma_f64 v[21:22], v[1:2], v[1:2], v[21:22]
	v_div_scale_f64 v[23:24], s[6:7], v[21:22], v[21:22], 1.0
	v_rcp_f64_e32 v[25:26], v[23:24]
	v_fma_f64 v[27:28], -v[23:24], v[25:26], 1.0
	v_fma_f64 v[25:26], v[25:26], v[27:28], v[25:26]
	v_fma_f64 v[27:28], -v[23:24], v[25:26], 1.0
	v_fma_f64 v[25:26], v[25:26], v[27:28], v[25:26]
	v_div_scale_f64 v[27:28], vcc, 1.0, v[21:22], 1.0
	v_mul_f64 v[29:30], v[27:28], v[25:26]
	v_fma_f64 v[23:24], -v[23:24], v[29:30], v[27:28]
	s_nop 1
	v_div_fmas_f64 v[23:24], v[23:24], v[25:26], v[29:30]
	v_div_fixup_f64 v[21:22], v[23:24], v[21:22], 1.0
	v_fma_f64 v[23:24], v[3:4], 0, v[1:2]
	v_fma_f64 v[1:2], v[1:2], 0, -v[3:4]
	v_mul_f64 v[37:38], v[23:24], v[21:22]
	v_mul_f64 v[39:40], v[1:2], v[21:22]
	ds_read_b128 v[1:4], v16 offset:688
	ds_read_b128 v[21:24], v16 offset:576
	s_waitcnt lgkmcnt(0)
	v_mul_f64 v[27:28], v[5:6], v[23:24]
	v_mul_f64 v[25:26], v[23:24], -v[7:8]
	v_fma_f64 v[27:28], v[7:8], v[21:22], v[27:28]
	v_fma_f64 v[25:26], v[5:6], v[21:22], v[25:26]
	v_add_f64 v[27:28], v[3:4], -v[27:28]
	v_add_f64 v[29:30], v[1:2], -v[25:26]
	v_mul_f64 v[25:26], v[39:40], -v[27:28]
	v_fma_f64 v[25:26], v[29:30], v[37:38], v[25:26]
	v_mul_f64 v[29:30], v[39:40], v[29:30]
	v_fma_f64 v[27:28], v[27:28], v[37:38], v[29:30]
	v_mul_f64 v[29:30], v[19:20], -v[3:4]
	ds_write_b128 v16, v[25:28] offset:688
	v_fma_f64 v[29:30], v[1:2], v[17:18], v[29:30]
	v_mul_f64 v[1:2], v[19:20], v[1:2]
	v_fma_f64 v[1:2], v[3:4], v[17:18], v[1:2]
	v_add_f64 v[3:4], v[21:22], -v[29:30]
	v_add_f64 v[21:22], v[23:24], -v[1:2]
	v_mul_f64 v[1:2], v[39:40], -v[21:22]
	v_fma_f64 v[1:2], v[3:4], v[37:38], v[1:2]
	v_mul_f64 v[3:4], v[3:4], v[39:40]
	v_fma_f64 v[3:4], v[21:22], v[37:38], v[3:4]
	ds_read_b128 v[21:24], v16
	ds_write_b128 v16, v[1:4] offset:576
	s_waitcnt lgkmcnt(1)
	v_mul_f64 v[29:30], v[3:4], -v[23:24]
	v_mul_f64 v[3:4], v[3:4], v[21:22]
	v_fma_f64 v[29:30], v[21:22], v[1:2], v[29:30]
	v_fma_f64 v[31:32], v[23:24], v[1:2], v[3:4]
	ds_read_b128 v[1:4], v16 offset:512
	s_waitcnt lgkmcnt(0)
	v_add_f64 v[1:2], v[1:2], -v[29:30]
	v_add_f64 v[3:4], v[3:4], -v[31:32]
	ds_write_b128 v16, v[1:4] offset:512
	ds_read_b128 v[1:4], v16 offset:496
	s_waitcnt lgkmcnt(0)
	v_mul_f64 v[29:30], v[27:28], -v[3:4]
	v_mul_f64 v[27:28], v[27:28], v[1:2]
	v_fma_f64 v[29:30], v[1:2], v[25:26], v[29:30]
	v_fma_f64 v[31:32], v[3:4], v[25:26], v[27:28]
	ds_read_b128 v[25:28], v16 offset:752
	s_waitcnt lgkmcnt(0)
	v_add_f64 v[25:26], v[25:26], -v[29:30]
	v_add_f64 v[27:28], v[27:28], -v[31:32]
	ds_write_b128 v16, v[25:28] offset:752
	ds_read_b128 v[25:28], v16 offset:64
	s_waitcnt lgkmcnt(0)
	v_mul_f64 v[29:30], v[27:28], -v[7:8]
	v_fma_f64 v[31:32], v[5:6], v[25:26], v[29:30]
	v_mul_f64 v[5:6], v[5:6], v[27:28]
	v_fma_f64 v[5:6], v[7:8], v[25:26], v[5:6]
	v_mul_f64 v[7:8], v[39:40], v[5:6]
	v_mul_f64 v[5:6], v[5:6], -v[37:38]
	v_fma_f64 v[29:30], -v[37:38], v[31:32], v[7:8]
	v_fma_f64 v[31:32], -v[39:40], v[31:32], v[5:6]
	v_mul_f64 v[5:6], v[27:28], -v[39:40]
	ds_write_b128 v16, v[29:32] offset:176
	v_fma_f64 v[33:34], v[37:38], v[25:26], v[5:6]
	v_mul_f64 v[5:6], v[37:38], v[27:28]
	v_fma_f64 v[35:36], v[39:40], v[25:26], v[5:6]
	ds_read_b128 v[25:28], v16 offset:432
	s_waitcnt lgkmcnt(0)
	v_mul_f64 v[7:8], v[19:20], v[25:26]
	v_mul_f64 v[5:6], v[19:20], -v[27:28]
	ds_write_b128 v16, v[33:36] offset:64
	v_fma_f64 v[7:8], v[27:28], v[17:18], v[7:8]
	v_fma_f64 v[5:6], v[25:26], v[17:18], v[5:6]
	v_mul_f64 v[17:18], v[39:40], v[7:8]
	v_mul_f64 v[7:8], v[7:8], -v[37:38]
	v_fma_f64 v[17:18], -v[37:38], v[5:6], v[17:18]
	v_fma_f64 v[19:20], -v[39:40], v[5:6], v[7:8]
	v_mul_f64 v[5:6], v[27:28], -v[39:40]
	v_mul_f64 v[7:8], v[37:38], v[27:28]
	ds_write_b128 v16, v[17:20] offset:320
	v_fma_f64 v[5:6], v[37:38], v[25:26], v[5:6]
	v_fma_f64 v[7:8], v[39:40], v[25:26], v[7:8]
	v_mul_f64 v[25:26], v[19:20], -v[23:24]
	v_mul_f64 v[19:20], v[19:20], v[21:22]
	ds_write_b128 v16, v[5:8] offset:432
	v_fma_f64 v[25:26], v[21:22], v[17:18], v[25:26]
	v_fma_f64 v[27:28], v[23:24], v[17:18], v[19:20]
	ds_read_b128 v[17:20], v16 offset:256
	s_waitcnt lgkmcnt(0)
	v_add_f64 v[17:18], v[17:18], -v[25:26]
	v_add_f64 v[19:20], v[19:20], -v[27:28]
	ds_write_b128 v16, v[17:20] offset:256
	v_mul_f64 v[17:18], v[35:36], v[23:24]
	v_mul_f64 v[19:20], v[35:36], -v[21:22]
	v_fma_f64 v[17:18], -v[21:22], v[33:34], v[17:18]
	v_fma_f64 v[19:20], -v[23:24], v[33:34], v[19:20]
	ds_write_b128 v16, v[17:20]
	v_mul_f64 v[17:18], v[3:4], -v[31:32]
	v_fma_f64 v[21:22], v[29:30], v[1:2], v[17:18]
	v_mul_f64 v[17:18], v[3:4], v[29:30]
	v_fma_f64 v[23:24], v[31:32], v[1:2], v[17:18]
	ds_read_b128 v[17:20], v16 offset:240
	s_waitcnt lgkmcnt(0)
	v_add_f64 v[17:18], v[17:18], -v[21:22]
	v_add_f64 v[19:20], v[19:20], -v[23:24]
	ds_write_b128 v16, v[17:20] offset:240
	v_mul_f64 v[17:18], v[3:4], v[7:8]
	v_fma_f64 v[17:18], -v[1:2], v[5:6], v[17:18]
	v_mul_f64 v[1:2], v[7:8], -v[1:2]
	v_fma_f64 v[19:20], -v[3:4], v[5:6], v[1:2]
	ds_write_b128 v16, v[17:20] offset:496
.LBB276_6:
	s_or_b64 exec, exec, s[4:5]
	s_waitcnt lgkmcnt(0)
	; wave barrier
	s_and_saveexec_b64 s[4:5], s[2:3]
	s_cbranch_execz .LBB276_8
; %bb.7:
	v_lshlrev_b32_e32 v16, 2, v0
	v_max_u32_e32 v1, 1, v16
	v_lshlrev_b32_e32 v36, 4, v1
	ds_read_b128 v[1:4], v36 offset:624
	ds_read_b128 v[5:8], v15 offset:400
	v_min_u32_e32 v16, 3, v16
	v_lshlrev_b32_e32 v37, 4, v16
	ds_read_b128 v[16:19], v37 offset:576
	ds_read_b128 v[20:23], v15 offset:544
	;; [unrolled: 1-line block ×4, first 2 shown]
	s_waitcnt lgkmcnt(4)
	v_mul_f64 v[32:33], v[3:4], -v[7:8]
	v_mul_f64 v[3:4], v[3:4], v[5:6]
	s_waitcnt lgkmcnt(1)
	v_mul_f64 v[34:35], v[18:19], -v[26:27]
	v_mul_f64 v[18:19], v[18:19], v[24:25]
	v_fma_f64 v[5:6], v[5:6], v[1:2], v[32:33]
	v_fma_f64 v[7:8], v[7:8], v[1:2], v[3:4]
	ds_read_b128 v[1:4], v15 offset:656
	v_fma_f64 v[24:25], v[24:25], v[16:17], v[34:35]
	v_fma_f64 v[16:17], v[26:27], v[16:17], v[18:19]
	s_waitcnt lgkmcnt(0)
	v_add_f64 v[1:2], v[1:2], -v[5:6]
	v_add_f64 v[3:4], v[3:4], -v[7:8]
	;; [unrolled: 1-line block ×4, first 2 shown]
	ds_write_b128 v15, v[1:4] offset:656
	ds_read_b128 v[1:4], v36 offset:624
	ds_read_b128 v[5:8], v15 offset:32
	s_waitcnt lgkmcnt(1)
	v_mul_f64 v[16:17], v[3:4], -v[30:31]
	v_mul_f64 v[3:4], v[3:4], v[28:29]
	v_fma_f64 v[16:17], v[28:29], v[1:2], v[16:17]
	v_fma_f64 v[3:4], v[30:31], v[1:2], v[3:4]
	v_add_f64 v[1:2], v[20:21], -v[16:17]
	v_add_f64 v[3:4], v[22:23], -v[3:4]
	ds_write_b128 v15, v[1:4] offset:544
	ds_read_b128 v[16:19], v37 offset:576
	s_waitcnt lgkmcnt(0)
	v_mul_f64 v[20:21], v[18:19], -v[7:8]
	v_mul_f64 v[18:19], v[18:19], v[5:6]
	v_fma_f64 v[5:6], v[5:6], v[16:17], v[20:21]
	v_fma_f64 v[7:8], v[7:8], v[16:17], v[18:19]
	v_add_f64 v[1:2], v[1:2], -v[5:6]
	v_add_f64 v[3:4], v[3:4], -v[7:8]
	ds_write_b128 v15, v[1:4] offset:544
.LBB276_8:
	s_or_b64 exec, exec, s[4:5]
	v_or_b32_e32 v1, 0x280, v14
	s_waitcnt lgkmcnt(0)
	; wave barrier
	s_and_saveexec_b64 s[2:3], s[0:1]
	s_cbranch_execz .LBB276_10
; %bb.9:
	v_lshlrev_b32_e32 v6, 1, v0
	v_max_u32_e32 v2, 1, v6
	v_lshlrev_b32_e32 v8, 4, v2
	v_lshlrev_b32_e32 v0, 5, v0
	ds_read_b128 v[2:5], v8 offset:624
	ds_read_b128 v[14:17], v0 offset:384
	v_min_u32_e32 v6, 5, v6
	v_lshlrev_b32_e32 v38, 4, v6
	ds_read_b128 v[18:21], v38 offset:544
	ds_read_b128 v[22:25], v0 offset:272
	s_waitcnt lgkmcnt(2)
	v_mul_f64 v[30:31], v[4:5], -v[16:17]
	v_mul_f64 v[32:33], v[4:5], v[14:15]
	ds_read_b128 v[4:7], v0 offset:128
	ds_read_b128 v[26:29], v0 offset:16
	s_waitcnt lgkmcnt(1)
	v_mul_f64 v[34:35], v[20:21], -v[6:7]
	v_mul_f64 v[20:21], v[20:21], v[4:5]
	v_fma_f64 v[36:37], v[14:15], v[2:3], v[30:31]
	v_fma_f64 v[2:3], v[16:17], v[2:3], v[32:33]
	ds_read_b128 v[14:17], v0 offset:640
	ds_read_b128 v[30:33], v0 offset:528
	v_fma_f64 v[4:5], v[4:5], v[18:19], v[34:35]
	v_fma_f64 v[6:7], v[6:7], v[18:19], v[20:21]
	s_waitcnt lgkmcnt(1)
	v_add_f64 v[14:15], v[14:15], -v[36:37]
	v_add_f64 v[16:17], v[16:17], -v[2:3]
	;; [unrolled: 1-line block ×4, first 2 shown]
	ds_write_b128 v0, v[2:5] offset:640
	ds_read_b128 v[2:5], v8 offset:624
	s_waitcnt lgkmcnt(0)
	v_mul_f64 v[6:7], v[4:5], -v[24:25]
	v_mul_f64 v[4:5], v[4:5], v[22:23]
	v_fma_f64 v[6:7], v[22:23], v[2:3], v[6:7]
	v_fma_f64 v[4:5], v[24:25], v[2:3], v[4:5]
	v_add_f64 v[2:3], v[30:31], -v[6:7]
	v_add_f64 v[4:5], v[32:33], -v[4:5]
	ds_write_b128 v0, v[2:5] offset:528
	ds_read_b128 v[14:17], v38 offset:544
	s_waitcnt lgkmcnt(0)
	v_mul_f64 v[6:7], v[16:17], -v[28:29]
	v_mul_f64 v[16:17], v[16:17], v[26:27]
	v_fma_f64 v[6:7], v[26:27], v[14:15], v[6:7]
	v_fma_f64 v[14:15], v[28:29], v[14:15], v[16:17]
	v_add_f64 v[2:3], v[2:3], -v[6:7]
	v_add_f64 v[4:5], v[4:5], -v[14:15]
	ds_write_b128 v0, v[2:5] offset:528
.LBB276_10:
	s_or_b64 exec, exec, s[2:3]
	s_waitcnt lgkmcnt(0)
	; wave barrier
	ds_read2_b64 v[2:5], v13 offset1:1
	ds_read2_b64 v[13:16], v1 offset1:1
	s_waitcnt lgkmcnt(1)
	global_store_dwordx4 v[9:10], v[2:5], off
	s_waitcnt lgkmcnt(0)
	global_store_dwordx4 v[11:12], v[13:16], off
	s_endpgm
	.section	.rodata,"a",@progbits
	.p2align	6, 0x0
	.amdhsa_kernel _ZN9rocsparseL34gtsv_solve_spike_grid_level_kernelILj8E21rocsparse_complex_numIdEEEviiiPT0_PKS3_S6_
		.amdhsa_group_segment_fixed_size 768
		.amdhsa_private_segment_fixed_size 0
		.amdhsa_kernarg_size 40
		.amdhsa_user_sgpr_count 6
		.amdhsa_user_sgpr_private_segment_buffer 1
		.amdhsa_user_sgpr_dispatch_ptr 0
		.amdhsa_user_sgpr_queue_ptr 0
		.amdhsa_user_sgpr_kernarg_segment_ptr 1
		.amdhsa_user_sgpr_dispatch_id 0
		.amdhsa_user_sgpr_flat_scratch_init 0
		.amdhsa_user_sgpr_private_segment_size 0
		.amdhsa_uses_dynamic_stack 0
		.amdhsa_system_sgpr_private_segment_wavefront_offset 0
		.amdhsa_system_sgpr_workgroup_id_x 1
		.amdhsa_system_sgpr_workgroup_id_y 1
		.amdhsa_system_sgpr_workgroup_id_z 0
		.amdhsa_system_sgpr_workgroup_info 0
		.amdhsa_system_vgpr_workitem_id 0
		.amdhsa_next_free_vgpr 44
		.amdhsa_next_free_sgpr 10
		.amdhsa_reserve_vcc 1
		.amdhsa_reserve_flat_scratch 0
		.amdhsa_float_round_mode_32 0
		.amdhsa_float_round_mode_16_64 0
		.amdhsa_float_denorm_mode_32 3
		.amdhsa_float_denorm_mode_16_64 3
		.amdhsa_dx10_clamp 1
		.amdhsa_ieee_mode 1
		.amdhsa_fp16_overflow 0
		.amdhsa_exception_fp_ieee_invalid_op 0
		.amdhsa_exception_fp_denorm_src 0
		.amdhsa_exception_fp_ieee_div_zero 0
		.amdhsa_exception_fp_ieee_overflow 0
		.amdhsa_exception_fp_ieee_underflow 0
		.amdhsa_exception_fp_ieee_inexact 0
		.amdhsa_exception_int_div_zero 0
	.end_amdhsa_kernel
	.section	.text._ZN9rocsparseL34gtsv_solve_spike_grid_level_kernelILj8E21rocsparse_complex_numIdEEEviiiPT0_PKS3_S6_,"axG",@progbits,_ZN9rocsparseL34gtsv_solve_spike_grid_level_kernelILj8E21rocsparse_complex_numIdEEEviiiPT0_PKS3_S6_,comdat
.Lfunc_end276:
	.size	_ZN9rocsparseL34gtsv_solve_spike_grid_level_kernelILj8E21rocsparse_complex_numIdEEEviiiPT0_PKS3_S6_, .Lfunc_end276-_ZN9rocsparseL34gtsv_solve_spike_grid_level_kernelILj8E21rocsparse_complex_numIdEEEviiiPT0_PKS3_S6_
                                        ; -- End function
	.set _ZN9rocsparseL34gtsv_solve_spike_grid_level_kernelILj8E21rocsparse_complex_numIdEEEviiiPT0_PKS3_S6_.num_vgpr, 44
	.set _ZN9rocsparseL34gtsv_solve_spike_grid_level_kernelILj8E21rocsparse_complex_numIdEEEviiiPT0_PKS3_S6_.num_agpr, 0
	.set _ZN9rocsparseL34gtsv_solve_spike_grid_level_kernelILj8E21rocsparse_complex_numIdEEEviiiPT0_PKS3_S6_.numbered_sgpr, 10
	.set _ZN9rocsparseL34gtsv_solve_spike_grid_level_kernelILj8E21rocsparse_complex_numIdEEEviiiPT0_PKS3_S6_.num_named_barrier, 0
	.set _ZN9rocsparseL34gtsv_solve_spike_grid_level_kernelILj8E21rocsparse_complex_numIdEEEviiiPT0_PKS3_S6_.private_seg_size, 0
	.set _ZN9rocsparseL34gtsv_solve_spike_grid_level_kernelILj8E21rocsparse_complex_numIdEEEviiiPT0_PKS3_S6_.uses_vcc, 1
	.set _ZN9rocsparseL34gtsv_solve_spike_grid_level_kernelILj8E21rocsparse_complex_numIdEEEviiiPT0_PKS3_S6_.uses_flat_scratch, 0
	.set _ZN9rocsparseL34gtsv_solve_spike_grid_level_kernelILj8E21rocsparse_complex_numIdEEEviiiPT0_PKS3_S6_.has_dyn_sized_stack, 0
	.set _ZN9rocsparseL34gtsv_solve_spike_grid_level_kernelILj8E21rocsparse_complex_numIdEEEviiiPT0_PKS3_S6_.has_recursion, 0
	.set _ZN9rocsparseL34gtsv_solve_spike_grid_level_kernelILj8E21rocsparse_complex_numIdEEEviiiPT0_PKS3_S6_.has_indirect_call, 0
	.section	.AMDGPU.csdata,"",@progbits
; Kernel info:
; codeLenInByte = 4124
; TotalNumSgprs: 14
; NumVgprs: 44
; ScratchSize: 0
; MemoryBound: 0
; FloatMode: 240
; IeeeMode: 1
; LDSByteSize: 768 bytes/workgroup (compile time only)
; SGPRBlocks: 1
; VGPRBlocks: 10
; NumSGPRsForWavesPerEU: 14
; NumVGPRsForWavesPerEU: 44
; Occupancy: 5
; WaveLimiterHint : 0
; COMPUTE_PGM_RSRC2:SCRATCH_EN: 0
; COMPUTE_PGM_RSRC2:USER_SGPR: 6
; COMPUTE_PGM_RSRC2:TRAP_HANDLER: 0
; COMPUTE_PGM_RSRC2:TGID_X_EN: 1
; COMPUTE_PGM_RSRC2:TGID_Y_EN: 1
; COMPUTE_PGM_RSRC2:TGID_Z_EN: 0
; COMPUTE_PGM_RSRC2:TIDIG_COMP_CNT: 0
	.section	.text._ZN9rocsparseL34gtsv_solve_spike_grid_level_kernelILj16E21rocsparse_complex_numIdEEEviiiPT0_PKS3_S6_,"axG",@progbits,_ZN9rocsparseL34gtsv_solve_spike_grid_level_kernelILj16E21rocsparse_complex_numIdEEEviiiPT0_PKS3_S6_,comdat
	.globl	_ZN9rocsparseL34gtsv_solve_spike_grid_level_kernelILj16E21rocsparse_complex_numIdEEEviiiPT0_PKS3_S6_ ; -- Begin function _ZN9rocsparseL34gtsv_solve_spike_grid_level_kernelILj16E21rocsparse_complex_numIdEEEviiiPT0_PKS3_S6_
	.p2align	8
	.type	_ZN9rocsparseL34gtsv_solve_spike_grid_level_kernelILj16E21rocsparse_complex_numIdEEEviiiPT0_PKS3_S6_,@function
_ZN9rocsparseL34gtsv_solve_spike_grid_level_kernelILj16E21rocsparse_complex_numIdEEEviiiPT0_PKS3_S6_: ; @_ZN9rocsparseL34gtsv_solve_spike_grid_level_kernelILj16E21rocsparse_complex_numIdEEEviiiPT0_PKS3_S6_
; %bb.0:
	s_load_dwordx4 s[0:3], s[4:5], 0x10
	s_load_dwordx2 s[8:9], s[4:5], 0x20
	v_lshl_or_b32 v11, s7, 5, v0
	v_mov_b32_e32 v12, 0
	v_lshlrev_b64 v[9:10], 4, v[11:12]
	v_or_b32_e32 v11, 16, v11
	s_waitcnt lgkmcnt(0)
	v_mov_b32_e32 v13, s1
	v_add_co_u32_e32 v9, vcc, s0, v9
	v_lshlrev_b64 v[11:12], 4, v[11:12]
	v_addc_co_u32_e32 v10, vcc, v13, v10, vcc
	v_lshlrev_b32_e32 v14, 4, v0
	v_add_co_u32_e32 v11, vcc, s0, v11
	global_load_dwordx4 v[1:4], v14, s[2:3]
	global_load_dwordx4 v[5:8], v14, s[2:3] offset:256
	v_addc_co_u32_e32 v12, vcc, v13, v12, vcc
	global_load_dwordx4 v[15:18], v14, s[8:9]
	global_load_dwordx4 v[19:22], v14, s[8:9] offset:256
	global_load_dwordx4 v[23:26], v[9:10], off
	global_load_dwordx4 v[27:30], v[11:12], off
	v_or_b32_e32 v13, 0x400, v14
	v_cmp_gt_u32_e64 s[0:1], 8, v0
	s_waitcnt vmcnt(5)
	ds_write2_b64 v14, v[1:2], v[3:4] offset0:64 offset1:65
	s_waitcnt vmcnt(4)
	ds_write2_b64 v14, v[5:6], v[7:8] offset0:96 offset1:97
	s_waitcnt vmcnt(3)
	ds_write2_b64 v14, v[15:16], v[17:18] offset1:1
	s_waitcnt vmcnt(2)
	ds_write2_b64 v14, v[19:20], v[21:22] offset0:32 offset1:33
	s_waitcnt vmcnt(1)
	ds_write2_b64 v14, v[23:24], v[25:26] offset0:128 offset1:129
	;; [unrolled: 2-line block ×3, first 2 shown]
	s_waitcnt lgkmcnt(0)
	; wave barrier
	s_and_saveexec_b64 s[2:3], s[0:1]
	s_cbranch_execz .LBB277_2
; %bb.1:
	v_or_b32_e32 v1, 0x200, v14
	v_add_u32_e32 v42, v14, v14
	v_add_u32_e32 v15, v1, v14
	ds_read_b128 v[5:8], v42 offset:256
	ds_read_b128 v[16:19], v15 offset:16
	v_add_u32_e32 v43, v13, v14
	s_waitcnt lgkmcnt(0)
	v_mul_f64 v[3:4], v[7:8], v[16:17]
	v_mul_f64 v[1:2], v[7:8], -v[18:19]
	v_fma_f64 v[3:4], v[18:19], v[5:6], v[3:4]
	v_fma_f64 v[1:2], v[16:17], v[5:6], v[1:2]
	v_add_f64 v[3:4], -v[3:4], 0
	v_add_f64 v[1:2], -v[1:2], 1.0
	v_mul_f64 v[20:21], v[3:4], v[3:4]
	v_fma_f64 v[20:21], v[1:2], v[1:2], v[20:21]
	v_div_scale_f64 v[22:23], s[4:5], v[20:21], v[20:21], 1.0
	v_rcp_f64_e32 v[24:25], v[22:23]
	v_fma_f64 v[26:27], -v[22:23], v[24:25], 1.0
	v_fma_f64 v[24:25], v[24:25], v[26:27], v[24:25]
	v_fma_f64 v[26:27], -v[22:23], v[24:25], 1.0
	v_fma_f64 v[24:25], v[24:25], v[26:27], v[24:25]
	v_div_scale_f64 v[26:27], vcc, 1.0, v[20:21], 1.0
	v_mul_f64 v[28:29], v[26:27], v[24:25]
	v_fma_f64 v[22:23], -v[22:23], v[28:29], v[26:27]
	s_nop 1
	v_div_fmas_f64 v[22:23], v[22:23], v[24:25], v[28:29]
	v_div_fixup_f64 v[20:21], v[22:23], v[20:21], 1.0
	v_fma_f64 v[22:23], v[3:4], 0, v[1:2]
	v_fma_f64 v[1:2], v[1:2], 0, -v[3:4]
	v_mul_f64 v[36:37], v[22:23], v[20:21]
	v_mul_f64 v[38:39], v[1:2], v[20:21]
	ds_read_b128 v[1:4], v43 offset:256
	ds_read_b128 v[20:23], v43
	ds_read_b128 v[24:27], v43 offset:16
	s_waitcnt lgkmcnt(0)
	v_mul_f64 v[30:31], v[5:6], v[26:27]
	v_mul_f64 v[28:29], v[26:27], -v[7:8]
	v_fma_f64 v[30:31], v[7:8], v[24:25], v[30:31]
	v_fma_f64 v[28:29], v[5:6], v[24:25], v[28:29]
	v_add_f64 v[30:31], v[3:4], -v[30:31]
	v_add_f64 v[32:33], v[1:2], -v[28:29]
	v_mul_f64 v[28:29], v[38:39], -v[30:31]
	v_fma_f64 v[28:29], v[32:33], v[36:37], v[28:29]
	v_mul_f64 v[32:33], v[38:39], v[32:33]
	v_fma_f64 v[30:31], v[30:31], v[36:37], v[32:33]
	v_mul_f64 v[32:33], v[18:19], -v[3:4]
	ds_write_b128 v43, v[28:31] offset:256
	v_fma_f64 v[32:33], v[1:2], v[16:17], v[32:33]
	v_mul_f64 v[1:2], v[18:19], v[1:2]
	v_fma_f64 v[1:2], v[3:4], v[16:17], v[1:2]
	v_add_f64 v[3:4], v[24:25], -v[32:33]
	v_add_f64 v[24:25], v[26:27], -v[1:2]
	v_mul_f64 v[1:2], v[38:39], -v[24:25]
	v_fma_f64 v[1:2], v[3:4], v[36:37], v[1:2]
	v_mul_f64 v[3:4], v[3:4], v[38:39]
	v_fma_f64 v[3:4], v[24:25], v[36:37], v[3:4]
	ds_write_b128 v43, v[1:4] offset:16
	ds_read_b128 v[24:27], v42
	ds_read_b128 v[32:35], v42 offset:16
	s_waitcnt lgkmcnt(1)
	v_mul_f64 v[40:41], v[3:4], -v[26:27]
	v_mul_f64 v[3:4], v[3:4], v[24:25]
	v_fma_f64 v[40:41], v[24:25], v[1:2], v[40:41]
	v_fma_f64 v[3:4], v[26:27], v[1:2], v[3:4]
	v_add_f64 v[1:2], v[20:21], -v[40:41]
	v_add_f64 v[3:4], v[22:23], -v[3:4]
	ds_write_b128 v43, v[1:4]
	ds_read_b128 v[1:4], v15 offset:272
	s_waitcnt lgkmcnt(0)
	v_mul_f64 v[20:21], v[30:31], -v[3:4]
	v_fma_f64 v[40:41], v[1:2], v[28:29], v[20:21]
	v_mul_f64 v[20:21], v[30:31], v[1:2]
	v_fma_f64 v[28:29], v[3:4], v[28:29], v[20:21]
	ds_read_b128 v[20:23], v43 offset:272
	s_waitcnt lgkmcnt(0)
	v_add_f64 v[20:21], v[20:21], -v[40:41]
	v_add_f64 v[22:23], v[22:23], -v[28:29]
	ds_write_b128 v43, v[20:23] offset:272
	v_mul_f64 v[20:21], v[34:35], -v[7:8]
	v_fma_f64 v[22:23], v[5:6], v[32:33], v[20:21]
	v_mul_f64 v[5:6], v[5:6], v[34:35]
	v_fma_f64 v[5:6], v[7:8], v[32:33], v[5:6]
	v_mul_f64 v[7:8], v[38:39], v[5:6]
	v_mul_f64 v[5:6], v[5:6], -v[36:37]
	v_fma_f64 v[20:21], -v[36:37], v[22:23], v[7:8]
	v_fma_f64 v[22:23], -v[38:39], v[22:23], v[5:6]
	v_mul_f64 v[5:6], v[34:35], -v[38:39]
	ds_write_b128 v42, v[20:23] offset:256
	v_fma_f64 v[28:29], v[36:37], v[32:33], v[5:6]
	v_mul_f64 v[5:6], v[36:37], v[34:35]
	v_fma_f64 v[30:31], v[38:39], v[32:33], v[5:6]
	ds_read_b128 v[32:35], v15 offset:256
	s_waitcnt lgkmcnt(0)
	v_mul_f64 v[7:8], v[18:19], v[32:33]
	v_mul_f64 v[5:6], v[18:19], -v[34:35]
	ds_write_b128 v42, v[28:31] offset:16
	v_fma_f64 v[7:8], v[34:35], v[16:17], v[7:8]
	v_fma_f64 v[5:6], v[32:33], v[16:17], v[5:6]
	v_mul_f64 v[16:17], v[38:39], v[7:8]
	v_mul_f64 v[7:8], v[7:8], -v[36:37]
	v_fma_f64 v[16:17], -v[36:37], v[5:6], v[16:17]
	v_fma_f64 v[18:19], -v[38:39], v[5:6], v[7:8]
	v_mul_f64 v[5:6], v[34:35], -v[38:39]
	v_mul_f64 v[7:8], v[36:37], v[34:35]
	ds_write_b128 v15, v[16:19] offset:16
	v_fma_f64 v[5:6], v[36:37], v[32:33], v[5:6]
	v_fma_f64 v[7:8], v[38:39], v[32:33], v[7:8]
	v_mul_f64 v[32:33], v[18:19], -v[26:27]
	v_mul_f64 v[18:19], v[18:19], v[24:25]
	ds_write_b128 v15, v[5:8] offset:256
	v_fma_f64 v[32:33], v[24:25], v[16:17], v[32:33]
	v_fma_f64 v[34:35], v[26:27], v[16:17], v[18:19]
	ds_read_b128 v[16:19], v15
	s_waitcnt lgkmcnt(0)
	v_add_f64 v[16:17], v[16:17], -v[32:33]
	v_add_f64 v[18:19], v[18:19], -v[34:35]
	ds_write_b128 v15, v[16:19]
	v_mul_f64 v[16:17], v[30:31], v[26:27]
	v_mul_f64 v[18:19], v[30:31], -v[24:25]
	v_fma_f64 v[16:17], -v[24:25], v[28:29], v[16:17]
	v_fma_f64 v[18:19], -v[26:27], v[28:29], v[18:19]
	ds_write_b128 v42, v[16:19]
	v_mul_f64 v[16:17], v[3:4], -v[22:23]
	v_fma_f64 v[24:25], v[20:21], v[1:2], v[16:17]
	v_mul_f64 v[16:17], v[3:4], v[20:21]
	v_fma_f64 v[20:21], v[22:23], v[1:2], v[16:17]
	ds_read_b128 v[16:19], v42 offset:272
	s_waitcnt lgkmcnt(0)
	v_add_f64 v[16:17], v[16:17], -v[24:25]
	v_add_f64 v[18:19], v[18:19], -v[20:21]
	ds_write_b128 v42, v[16:19] offset:272
	v_mul_f64 v[16:17], v[3:4], v[7:8]
	v_fma_f64 v[16:17], -v[1:2], v[5:6], v[16:17]
	v_mul_f64 v[1:2], v[7:8], -v[1:2]
	v_fma_f64 v[18:19], -v[3:4], v[5:6], v[1:2]
	ds_write_b128 v15, v[16:19] offset:272
.LBB277_2:
	s_or_b64 exec, exec, s[2:3]
	v_cmp_gt_u32_e64 s[2:3], 4, v0
	v_lshlrev_b32_e32 v15, 6, v0
	s_waitcnt lgkmcnt(0)
	; wave barrier
	s_and_saveexec_b64 s[4:5], s[2:3]
	s_cbranch_execz .LBB277_4
; %bb.3:
	ds_read_b128 v[5:8], v15 offset:272
	ds_read_b128 v[16:19], v15 offset:544
	s_waitcnt lgkmcnt(0)
	v_mul_f64 v[3:4], v[7:8], v[16:17]
	v_mul_f64 v[1:2], v[7:8], -v[18:19]
	v_fma_f64 v[3:4], v[18:19], v[5:6], v[3:4]
	v_fma_f64 v[1:2], v[16:17], v[5:6], v[1:2]
	v_add_f64 v[3:4], -v[3:4], 0
	v_add_f64 v[1:2], -v[1:2], 1.0
	v_mul_f64 v[20:21], v[3:4], v[3:4]
	v_fma_f64 v[20:21], v[1:2], v[1:2], v[20:21]
	v_div_scale_f64 v[22:23], s[6:7], v[20:21], v[20:21], 1.0
	v_rcp_f64_e32 v[24:25], v[22:23]
	v_fma_f64 v[26:27], -v[22:23], v[24:25], 1.0
	v_fma_f64 v[24:25], v[24:25], v[26:27], v[24:25]
	v_fma_f64 v[26:27], -v[22:23], v[24:25], 1.0
	v_fma_f64 v[24:25], v[24:25], v[26:27], v[24:25]
	v_div_scale_f64 v[26:27], vcc, 1.0, v[20:21], 1.0
	v_mul_f64 v[28:29], v[26:27], v[24:25]
	v_fma_f64 v[22:23], -v[22:23], v[28:29], v[26:27]
	s_nop 1
	v_div_fmas_f64 v[22:23], v[22:23], v[24:25], v[28:29]
	v_div_fixup_f64 v[20:21], v[22:23], v[20:21], 1.0
	v_fma_f64 v[22:23], v[3:4], 0, v[1:2]
	v_fma_f64 v[1:2], v[1:2], 0, -v[3:4]
	v_mul_f64 v[36:37], v[22:23], v[20:21]
	v_mul_f64 v[38:39], v[1:2], v[20:21]
	ds_read_b128 v[1:4], v15 offset:1296
	ds_read_b128 v[20:23], v15 offset:1056
	s_waitcnt lgkmcnt(0)
	v_mul_f64 v[26:27], v[5:6], v[22:23]
	v_mul_f64 v[24:25], v[22:23], -v[7:8]
	v_fma_f64 v[26:27], v[7:8], v[20:21], v[26:27]
	v_fma_f64 v[24:25], v[5:6], v[20:21], v[24:25]
	v_add_f64 v[26:27], v[3:4], -v[26:27]
	v_add_f64 v[28:29], v[1:2], -v[24:25]
	v_mul_f64 v[24:25], v[38:39], -v[26:27]
	v_fma_f64 v[24:25], v[28:29], v[36:37], v[24:25]
	v_mul_f64 v[28:29], v[38:39], v[28:29]
	v_fma_f64 v[26:27], v[26:27], v[36:37], v[28:29]
	v_mul_f64 v[28:29], v[18:19], -v[3:4]
	ds_write_b128 v15, v[24:27] offset:1296
	v_fma_f64 v[28:29], v[1:2], v[16:17], v[28:29]
	v_mul_f64 v[1:2], v[18:19], v[1:2]
	v_fma_f64 v[1:2], v[3:4], v[16:17], v[1:2]
	v_add_f64 v[3:4], v[20:21], -v[28:29]
	v_add_f64 v[20:21], v[22:23], -v[1:2]
	v_mul_f64 v[1:2], v[38:39], -v[20:21]
	v_fma_f64 v[1:2], v[3:4], v[36:37], v[1:2]
	v_mul_f64 v[3:4], v[3:4], v[38:39]
	v_fma_f64 v[3:4], v[20:21], v[36:37], v[3:4]
	ds_write_b128 v15, v[1:4] offset:1056
	ds_read_b128 v[20:23], v15
	ds_read_b128 v[28:31], v15 offset:32
	s_waitcnt lgkmcnt(1)
	v_mul_f64 v[32:33], v[3:4], -v[22:23]
	v_mul_f64 v[3:4], v[3:4], v[20:21]
	v_fma_f64 v[32:33], v[20:21], v[1:2], v[32:33]
	v_fma_f64 v[34:35], v[22:23], v[1:2], v[3:4]
	ds_read_b128 v[1:4], v15 offset:1024
	s_waitcnt lgkmcnt(0)
	v_add_f64 v[1:2], v[1:2], -v[32:33]
	v_add_f64 v[3:4], v[3:4], -v[34:35]
	ds_write_b128 v15, v[1:4] offset:1024
	ds_read_b128 v[1:4], v15 offset:816
	s_waitcnt lgkmcnt(0)
	v_mul_f64 v[32:33], v[26:27], -v[3:4]
	v_mul_f64 v[26:27], v[26:27], v[1:2]
	v_fma_f64 v[32:33], v[1:2], v[24:25], v[32:33]
	v_fma_f64 v[34:35], v[3:4], v[24:25], v[26:27]
	ds_read_b128 v[24:27], v15 offset:1328
	s_waitcnt lgkmcnt(0)
	v_add_f64 v[24:25], v[24:25], -v[32:33]
	v_add_f64 v[26:27], v[26:27], -v[34:35]
	ds_write_b128 v15, v[24:27] offset:1328
	v_mul_f64 v[24:25], v[30:31], -v[7:8]
	v_fma_f64 v[26:27], v[5:6], v[28:29], v[24:25]
	v_mul_f64 v[5:6], v[5:6], v[30:31]
	v_fma_f64 v[5:6], v[7:8], v[28:29], v[5:6]
	v_mul_f64 v[7:8], v[38:39], v[5:6]
	v_mul_f64 v[5:6], v[5:6], -v[36:37]
	v_fma_f64 v[24:25], -v[36:37], v[26:27], v[7:8]
	v_fma_f64 v[26:27], -v[38:39], v[26:27], v[5:6]
	v_mul_f64 v[5:6], v[30:31], -v[38:39]
	ds_write_b128 v15, v[24:27] offset:272
	v_fma_f64 v[32:33], v[36:37], v[28:29], v[5:6]
	v_mul_f64 v[5:6], v[36:37], v[30:31]
	v_fma_f64 v[34:35], v[38:39], v[28:29], v[5:6]
	ds_read_b128 v[28:31], v15 offset:784
	s_waitcnt lgkmcnt(0)
	v_mul_f64 v[7:8], v[18:19], v[28:29]
	v_mul_f64 v[5:6], v[18:19], -v[30:31]
	ds_write_b128 v15, v[32:35] offset:32
	v_fma_f64 v[7:8], v[30:31], v[16:17], v[7:8]
	v_fma_f64 v[5:6], v[28:29], v[16:17], v[5:6]
	v_mul_f64 v[16:17], v[38:39], v[7:8]
	v_mul_f64 v[7:8], v[7:8], -v[36:37]
	v_fma_f64 v[16:17], -v[36:37], v[5:6], v[16:17]
	v_fma_f64 v[18:19], -v[38:39], v[5:6], v[7:8]
	v_mul_f64 v[5:6], v[30:31], -v[38:39]
	v_mul_f64 v[7:8], v[36:37], v[30:31]
	ds_write_b128 v15, v[16:19] offset:544
	v_fma_f64 v[5:6], v[36:37], v[28:29], v[5:6]
	v_fma_f64 v[7:8], v[38:39], v[28:29], v[7:8]
	v_mul_f64 v[28:29], v[18:19], -v[22:23]
	v_mul_f64 v[18:19], v[18:19], v[20:21]
	ds_write_b128 v15, v[5:8] offset:784
	v_fma_f64 v[28:29], v[20:21], v[16:17], v[28:29]
	v_fma_f64 v[30:31], v[22:23], v[16:17], v[18:19]
	ds_read_b128 v[16:19], v15 offset:512
	s_waitcnt lgkmcnt(0)
	v_add_f64 v[16:17], v[16:17], -v[28:29]
	v_add_f64 v[18:19], v[18:19], -v[30:31]
	ds_write_b128 v15, v[16:19] offset:512
	v_mul_f64 v[16:17], v[34:35], v[22:23]
	v_mul_f64 v[18:19], v[34:35], -v[20:21]
	v_fma_f64 v[16:17], -v[20:21], v[32:33], v[16:17]
	v_fma_f64 v[18:19], -v[22:23], v[32:33], v[18:19]
	ds_write_b128 v15, v[16:19]
	v_mul_f64 v[16:17], v[3:4], -v[26:27]
	v_fma_f64 v[20:21], v[24:25], v[1:2], v[16:17]
	v_mul_f64 v[16:17], v[3:4], v[24:25]
	v_fma_f64 v[22:23], v[26:27], v[1:2], v[16:17]
	ds_read_b128 v[16:19], v15 offset:304
	s_waitcnt lgkmcnt(0)
	v_add_f64 v[16:17], v[16:17], -v[20:21]
	v_add_f64 v[18:19], v[18:19], -v[22:23]
	ds_write_b128 v15, v[16:19] offset:304
	v_mul_f64 v[16:17], v[3:4], v[7:8]
	v_fma_f64 v[16:17], -v[1:2], v[5:6], v[16:17]
	v_mul_f64 v[1:2], v[7:8], -v[1:2]
	v_fma_f64 v[18:19], -v[3:4], v[5:6], v[1:2]
	ds_write_b128 v15, v[16:19] offset:816
.LBB277_4:
	s_or_b64 exec, exec, s[4:5]
	v_cmp_gt_u32_e64 s[4:5], 2, v0
	v_lshlrev_b32_e32 v16, 7, v0
	s_waitcnt lgkmcnt(0)
	; wave barrier
	s_and_saveexec_b64 s[6:7], s[4:5]
	s_cbranch_execz .LBB277_6
; %bb.5:
	ds_read_b128 v[5:8], v16 offset:304
	ds_read_b128 v[17:20], v16 offset:576
	s_waitcnt lgkmcnt(0)
	v_mul_f64 v[3:4], v[7:8], v[17:18]
	v_mul_f64 v[1:2], v[7:8], -v[19:20]
	v_fma_f64 v[3:4], v[19:20], v[5:6], v[3:4]
	v_fma_f64 v[1:2], v[17:18], v[5:6], v[1:2]
	v_add_f64 v[3:4], -v[3:4], 0
	v_add_f64 v[1:2], -v[1:2], 1.0
	v_mul_f64 v[21:22], v[3:4], v[3:4]
	v_fma_f64 v[21:22], v[1:2], v[1:2], v[21:22]
	v_div_scale_f64 v[23:24], s[8:9], v[21:22], v[21:22], 1.0
	v_rcp_f64_e32 v[25:26], v[23:24]
	v_fma_f64 v[27:28], -v[23:24], v[25:26], 1.0
	v_fma_f64 v[25:26], v[25:26], v[27:28], v[25:26]
	v_fma_f64 v[27:28], -v[23:24], v[25:26], 1.0
	v_fma_f64 v[25:26], v[25:26], v[27:28], v[25:26]
	v_div_scale_f64 v[27:28], vcc, 1.0, v[21:22], 1.0
	v_mul_f64 v[29:30], v[27:28], v[25:26]
	v_fma_f64 v[23:24], -v[23:24], v[29:30], v[27:28]
	s_nop 1
	v_div_fmas_f64 v[23:24], v[23:24], v[25:26], v[29:30]
	v_div_fixup_f64 v[21:22], v[23:24], v[21:22], 1.0
	v_fma_f64 v[23:24], v[3:4], 0, v[1:2]
	v_fma_f64 v[1:2], v[1:2], 0, -v[3:4]
	v_mul_f64 v[37:38], v[23:24], v[21:22]
	v_mul_f64 v[39:40], v[1:2], v[21:22]
	ds_read_b128 v[1:4], v16 offset:1328
	ds_read_b128 v[21:24], v16 offset:1088
	s_waitcnt lgkmcnt(0)
	v_mul_f64 v[27:28], v[5:6], v[23:24]
	v_mul_f64 v[25:26], v[23:24], -v[7:8]
	v_fma_f64 v[27:28], v[7:8], v[21:22], v[27:28]
	v_fma_f64 v[25:26], v[5:6], v[21:22], v[25:26]
	v_add_f64 v[27:28], v[3:4], -v[27:28]
	v_add_f64 v[29:30], v[1:2], -v[25:26]
	v_mul_f64 v[25:26], v[39:40], -v[27:28]
	v_fma_f64 v[25:26], v[29:30], v[37:38], v[25:26]
	v_mul_f64 v[29:30], v[39:40], v[29:30]
	v_fma_f64 v[27:28], v[27:28], v[37:38], v[29:30]
	v_mul_f64 v[29:30], v[19:20], -v[3:4]
	ds_write_b128 v16, v[25:28] offset:1328
	v_fma_f64 v[29:30], v[1:2], v[17:18], v[29:30]
	v_mul_f64 v[1:2], v[19:20], v[1:2]
	v_fma_f64 v[1:2], v[3:4], v[17:18], v[1:2]
	v_add_f64 v[3:4], v[21:22], -v[29:30]
	v_add_f64 v[21:22], v[23:24], -v[1:2]
	v_mul_f64 v[1:2], v[39:40], -v[21:22]
	v_fma_f64 v[1:2], v[3:4], v[37:38], v[1:2]
	v_mul_f64 v[3:4], v[3:4], v[39:40]
	v_fma_f64 v[3:4], v[21:22], v[37:38], v[3:4]
	ds_read_b128 v[21:24], v16
	ds_write_b128 v16, v[1:4] offset:1088
	s_waitcnt lgkmcnt(1)
	v_mul_f64 v[29:30], v[3:4], -v[23:24]
	v_mul_f64 v[3:4], v[3:4], v[21:22]
	v_fma_f64 v[29:30], v[21:22], v[1:2], v[29:30]
	v_fma_f64 v[31:32], v[23:24], v[1:2], v[3:4]
	ds_read_b128 v[1:4], v16 offset:1024
	s_waitcnt lgkmcnt(0)
	v_add_f64 v[1:2], v[1:2], -v[29:30]
	v_add_f64 v[3:4], v[3:4], -v[31:32]
	ds_write_b128 v16, v[1:4] offset:1024
	ds_read_b128 v[1:4], v16 offset:880
	s_waitcnt lgkmcnt(0)
	v_mul_f64 v[29:30], v[27:28], -v[3:4]
	v_mul_f64 v[27:28], v[27:28], v[1:2]
	v_fma_f64 v[29:30], v[1:2], v[25:26], v[29:30]
	v_fma_f64 v[31:32], v[3:4], v[25:26], v[27:28]
	ds_read_b128 v[25:28], v16 offset:1392
	s_waitcnt lgkmcnt(0)
	v_add_f64 v[25:26], v[25:26], -v[29:30]
	v_add_f64 v[27:28], v[27:28], -v[31:32]
	ds_write_b128 v16, v[25:28] offset:1392
	ds_read_b128 v[25:28], v16 offset:64
	s_waitcnt lgkmcnt(0)
	v_mul_f64 v[29:30], v[27:28], -v[7:8]
	v_fma_f64 v[31:32], v[5:6], v[25:26], v[29:30]
	v_mul_f64 v[5:6], v[5:6], v[27:28]
	v_fma_f64 v[5:6], v[7:8], v[25:26], v[5:6]
	v_mul_f64 v[7:8], v[39:40], v[5:6]
	v_mul_f64 v[5:6], v[5:6], -v[37:38]
	v_fma_f64 v[29:30], -v[37:38], v[31:32], v[7:8]
	v_fma_f64 v[31:32], -v[39:40], v[31:32], v[5:6]
	v_mul_f64 v[5:6], v[27:28], -v[39:40]
	ds_write_b128 v16, v[29:32] offset:304
	v_fma_f64 v[33:34], v[37:38], v[25:26], v[5:6]
	v_mul_f64 v[5:6], v[37:38], v[27:28]
	v_fma_f64 v[35:36], v[39:40], v[25:26], v[5:6]
	ds_read_b128 v[25:28], v16 offset:816
	s_waitcnt lgkmcnt(0)
	v_mul_f64 v[7:8], v[19:20], v[25:26]
	v_mul_f64 v[5:6], v[19:20], -v[27:28]
	ds_write_b128 v16, v[33:36] offset:64
	v_fma_f64 v[7:8], v[27:28], v[17:18], v[7:8]
	v_fma_f64 v[5:6], v[25:26], v[17:18], v[5:6]
	v_mul_f64 v[17:18], v[39:40], v[7:8]
	v_mul_f64 v[7:8], v[7:8], -v[37:38]
	v_fma_f64 v[17:18], -v[37:38], v[5:6], v[17:18]
	v_fma_f64 v[19:20], -v[39:40], v[5:6], v[7:8]
	v_mul_f64 v[5:6], v[27:28], -v[39:40]
	v_mul_f64 v[7:8], v[37:38], v[27:28]
	ds_write_b128 v16, v[17:20] offset:576
	v_fma_f64 v[5:6], v[37:38], v[25:26], v[5:6]
	v_fma_f64 v[7:8], v[39:40], v[25:26], v[7:8]
	v_mul_f64 v[25:26], v[19:20], -v[23:24]
	v_mul_f64 v[19:20], v[19:20], v[21:22]
	ds_write_b128 v16, v[5:8] offset:816
	v_fma_f64 v[25:26], v[21:22], v[17:18], v[25:26]
	v_fma_f64 v[27:28], v[23:24], v[17:18], v[19:20]
	ds_read_b128 v[17:20], v16 offset:512
	s_waitcnt lgkmcnt(0)
	v_add_f64 v[17:18], v[17:18], -v[25:26]
	v_add_f64 v[19:20], v[19:20], -v[27:28]
	ds_write_b128 v16, v[17:20] offset:512
	v_mul_f64 v[17:18], v[35:36], v[23:24]
	v_mul_f64 v[19:20], v[35:36], -v[21:22]
	v_fma_f64 v[17:18], -v[21:22], v[33:34], v[17:18]
	v_fma_f64 v[19:20], -v[23:24], v[33:34], v[19:20]
	ds_write_b128 v16, v[17:20]
	v_mul_f64 v[17:18], v[3:4], -v[31:32]
	v_fma_f64 v[21:22], v[29:30], v[1:2], v[17:18]
	v_mul_f64 v[17:18], v[3:4], v[29:30]
	v_fma_f64 v[23:24], v[31:32], v[1:2], v[17:18]
	ds_read_b128 v[17:20], v16 offset:368
	s_waitcnt lgkmcnt(0)
	v_add_f64 v[17:18], v[17:18], -v[21:22]
	v_add_f64 v[19:20], v[19:20], -v[23:24]
	ds_write_b128 v16, v[17:20] offset:368
	v_mul_f64 v[17:18], v[3:4], v[7:8]
	v_fma_f64 v[17:18], -v[1:2], v[5:6], v[17:18]
	v_mul_f64 v[1:2], v[7:8], -v[1:2]
	v_fma_f64 v[19:20], -v[3:4], v[5:6], v[1:2]
	ds_write_b128 v16, v[17:20] offset:880
.LBB277_6:
	s_or_b64 exec, exec, s[6:7]
	v_cmp_eq_u32_e32 vcc, 0, v0
	s_waitcnt lgkmcnt(0)
	; wave barrier
	s_and_saveexec_b64 s[6:7], vcc
	s_cbranch_execz .LBB277_8
; %bb.7:
	v_mov_b32_e32 v17, 0
	ds_read_b128 v[5:8], v17 offset:368
	ds_read_b128 v[18:21], v17 offset:640
	s_waitcnt lgkmcnt(0)
	v_mul_f64 v[3:4], v[7:8], v[18:19]
	v_mul_f64 v[1:2], v[7:8], -v[20:21]
	v_fma_f64 v[3:4], v[20:21], v[5:6], v[3:4]
	v_fma_f64 v[1:2], v[18:19], v[5:6], v[1:2]
	v_add_f64 v[3:4], -v[3:4], 0
	v_add_f64 v[1:2], -v[1:2], 1.0
	v_mul_f64 v[22:23], v[3:4], v[3:4]
	v_fma_f64 v[22:23], v[1:2], v[1:2], v[22:23]
	v_div_scale_f64 v[24:25], s[8:9], v[22:23], v[22:23], 1.0
	v_rcp_f64_e32 v[26:27], v[24:25]
	v_fma_f64 v[28:29], -v[24:25], v[26:27], 1.0
	v_fma_f64 v[26:27], v[26:27], v[28:29], v[26:27]
	v_fma_f64 v[28:29], -v[24:25], v[26:27], 1.0
	v_fma_f64 v[26:27], v[26:27], v[28:29], v[26:27]
	v_div_scale_f64 v[28:29], vcc, 1.0, v[22:23], 1.0
	v_mul_f64 v[30:31], v[28:29], v[26:27]
	v_fma_f64 v[24:25], -v[24:25], v[30:31], v[28:29]
	s_nop 1
	v_div_fmas_f64 v[24:25], v[24:25], v[26:27], v[30:31]
	v_div_fixup_f64 v[22:23], v[24:25], v[22:23], 1.0
	v_fma_f64 v[24:25], v[3:4], 0, v[1:2]
	v_fma_f64 v[1:2], v[1:2], 0, -v[3:4]
	v_mul_f64 v[38:39], v[24:25], v[22:23]
	v_mul_f64 v[40:41], v[1:2], v[22:23]
	ds_read_b128 v[1:4], v17 offset:1392
	ds_read_b128 v[22:25], v17 offset:1152
	s_waitcnt lgkmcnt(0)
	v_mul_f64 v[28:29], v[5:6], v[24:25]
	v_mul_f64 v[26:27], v[24:25], -v[7:8]
	v_fma_f64 v[28:29], v[7:8], v[22:23], v[28:29]
	v_fma_f64 v[26:27], v[5:6], v[22:23], v[26:27]
	v_add_f64 v[28:29], v[3:4], -v[28:29]
	v_add_f64 v[30:31], v[1:2], -v[26:27]
	v_mul_f64 v[26:27], v[40:41], -v[28:29]
	v_fma_f64 v[26:27], v[30:31], v[38:39], v[26:27]
	v_mul_f64 v[30:31], v[40:41], v[30:31]
	v_fma_f64 v[28:29], v[28:29], v[38:39], v[30:31]
	v_mul_f64 v[30:31], v[20:21], -v[3:4]
	ds_write_b128 v17, v[26:29] offset:1392
	v_fma_f64 v[30:31], v[1:2], v[18:19], v[30:31]
	v_mul_f64 v[1:2], v[20:21], v[1:2]
	v_fma_f64 v[1:2], v[3:4], v[18:19], v[1:2]
	v_add_f64 v[3:4], v[22:23], -v[30:31]
	v_add_f64 v[22:23], v[24:25], -v[1:2]
	v_mul_f64 v[1:2], v[40:41], -v[22:23]
	v_fma_f64 v[1:2], v[3:4], v[38:39], v[1:2]
	v_mul_f64 v[3:4], v[3:4], v[40:41]
	v_fma_f64 v[3:4], v[22:23], v[38:39], v[3:4]
	ds_read_b128 v[22:25], v17
	ds_write_b128 v17, v[1:4] offset:1152
	s_waitcnt lgkmcnt(1)
	v_mul_f64 v[30:31], v[3:4], -v[24:25]
	v_mul_f64 v[3:4], v[3:4], v[22:23]
	v_fma_f64 v[30:31], v[22:23], v[1:2], v[30:31]
	v_fma_f64 v[32:33], v[24:25], v[1:2], v[3:4]
	ds_read_b128 v[1:4], v17 offset:1024
	s_waitcnt lgkmcnt(0)
	v_add_f64 v[1:2], v[1:2], -v[30:31]
	v_add_f64 v[3:4], v[3:4], -v[32:33]
	ds_write_b128 v17, v[1:4] offset:1024
	ds_read_b128 v[1:4], v17 offset:1008
	s_waitcnt lgkmcnt(0)
	v_mul_f64 v[30:31], v[28:29], -v[3:4]
	v_mul_f64 v[28:29], v[28:29], v[1:2]
	v_fma_f64 v[30:31], v[1:2], v[26:27], v[30:31]
	v_fma_f64 v[32:33], v[3:4], v[26:27], v[28:29]
	ds_read_b128 v[26:29], v17 offset:1520
	s_waitcnt lgkmcnt(0)
	v_add_f64 v[26:27], v[26:27], -v[30:31]
	v_add_f64 v[28:29], v[28:29], -v[32:33]
	ds_write_b128 v17, v[26:29] offset:1520
	ds_read_b128 v[26:29], v17 offset:128
	s_waitcnt lgkmcnt(0)
	v_mul_f64 v[30:31], v[28:29], -v[7:8]
	v_fma_f64 v[32:33], v[5:6], v[26:27], v[30:31]
	v_mul_f64 v[5:6], v[5:6], v[28:29]
	v_fma_f64 v[5:6], v[7:8], v[26:27], v[5:6]
	v_mul_f64 v[7:8], v[40:41], v[5:6]
	v_mul_f64 v[5:6], v[5:6], -v[38:39]
	v_fma_f64 v[30:31], -v[38:39], v[32:33], v[7:8]
	v_fma_f64 v[32:33], -v[40:41], v[32:33], v[5:6]
	v_mul_f64 v[5:6], v[28:29], -v[40:41]
	ds_write_b128 v17, v[30:33] offset:368
	v_fma_f64 v[34:35], v[38:39], v[26:27], v[5:6]
	v_mul_f64 v[5:6], v[38:39], v[28:29]
	v_fma_f64 v[36:37], v[40:41], v[26:27], v[5:6]
	ds_read_b128 v[26:29], v17 offset:880
	s_waitcnt lgkmcnt(0)
	v_mul_f64 v[7:8], v[20:21], v[26:27]
	v_mul_f64 v[5:6], v[20:21], -v[28:29]
	ds_write_b128 v17, v[34:37] offset:128
	v_fma_f64 v[7:8], v[28:29], v[18:19], v[7:8]
	v_fma_f64 v[5:6], v[26:27], v[18:19], v[5:6]
	v_mul_f64 v[18:19], v[40:41], v[7:8]
	v_mul_f64 v[7:8], v[7:8], -v[38:39]
	v_fma_f64 v[18:19], -v[38:39], v[5:6], v[18:19]
	v_fma_f64 v[20:21], -v[40:41], v[5:6], v[7:8]
	v_mul_f64 v[5:6], v[28:29], -v[40:41]
	v_mul_f64 v[7:8], v[38:39], v[28:29]
	ds_write_b128 v17, v[18:21] offset:640
	v_fma_f64 v[5:6], v[38:39], v[26:27], v[5:6]
	v_fma_f64 v[7:8], v[40:41], v[26:27], v[7:8]
	v_mul_f64 v[26:27], v[20:21], -v[24:25]
	v_mul_f64 v[20:21], v[20:21], v[22:23]
	ds_write_b128 v17, v[5:8] offset:880
	v_fma_f64 v[26:27], v[22:23], v[18:19], v[26:27]
	v_fma_f64 v[28:29], v[24:25], v[18:19], v[20:21]
	ds_read_b128 v[18:21], v17 offset:512
	s_waitcnt lgkmcnt(0)
	v_add_f64 v[18:19], v[18:19], -v[26:27]
	v_add_f64 v[20:21], v[20:21], -v[28:29]
	ds_write_b128 v17, v[18:21] offset:512
	v_mul_f64 v[18:19], v[36:37], v[24:25]
	v_mul_f64 v[20:21], v[36:37], -v[22:23]
	v_fma_f64 v[18:19], -v[22:23], v[34:35], v[18:19]
	v_fma_f64 v[20:21], -v[24:25], v[34:35], v[20:21]
	ds_write_b128 v17, v[18:21]
	v_mul_f64 v[18:19], v[3:4], -v[32:33]
	v_fma_f64 v[22:23], v[30:31], v[1:2], v[18:19]
	v_mul_f64 v[18:19], v[3:4], v[30:31]
	v_fma_f64 v[24:25], v[32:33], v[1:2], v[18:19]
	ds_read_b128 v[18:21], v17 offset:496
	s_waitcnt lgkmcnt(0)
	v_add_f64 v[18:19], v[18:19], -v[22:23]
	v_add_f64 v[20:21], v[20:21], -v[24:25]
	ds_write_b128 v17, v[18:21] offset:496
	v_mul_f64 v[18:19], v[3:4], v[7:8]
	v_fma_f64 v[18:19], -v[1:2], v[5:6], v[18:19]
	v_mul_f64 v[1:2], v[7:8], -v[1:2]
	v_fma_f64 v[20:21], -v[3:4], v[5:6], v[1:2]
	ds_write_b128 v17, v[18:21] offset:1008
.LBB277_8:
	s_or_b64 exec, exec, s[6:7]
	s_waitcnt lgkmcnt(0)
	; wave barrier
	s_and_saveexec_b64 s[6:7], s[4:5]
	s_cbranch_execz .LBB277_10
; %bb.9:
	v_lshlrev_b32_e32 v17, 3, v0
	v_max_u32_e32 v1, 1, v17
	v_lshlrev_b32_e32 v37, 4, v1
	ds_read_b128 v[1:4], v37 offset:1264
	ds_read_b128 v[5:8], v16 offset:816
	v_min_u32_e32 v17, 7, v17
	v_lshlrev_b32_e32 v38, 4, v17
	ds_read_b128 v[17:20], v38 offset:1152
	ds_read_b128 v[21:24], v16 offset:1088
	;; [unrolled: 1-line block ×4, first 2 shown]
	s_waitcnt lgkmcnt(4)
	v_mul_f64 v[33:34], v[3:4], -v[7:8]
	v_mul_f64 v[3:4], v[3:4], v[5:6]
	s_waitcnt lgkmcnt(1)
	v_mul_f64 v[35:36], v[19:20], -v[27:28]
	v_mul_f64 v[19:20], v[19:20], v[25:26]
	v_fma_f64 v[5:6], v[5:6], v[1:2], v[33:34]
	v_fma_f64 v[7:8], v[7:8], v[1:2], v[3:4]
	ds_read_b128 v[1:4], v16 offset:1328
	v_fma_f64 v[25:26], v[25:26], v[17:18], v[35:36]
	v_fma_f64 v[17:18], v[27:28], v[17:18], v[19:20]
	s_waitcnt lgkmcnt(0)
	v_add_f64 v[1:2], v[1:2], -v[5:6]
	v_add_f64 v[3:4], v[3:4], -v[7:8]
	;; [unrolled: 1-line block ×4, first 2 shown]
	ds_write_b128 v16, v[1:4] offset:1328
	ds_read_b128 v[1:4], v37 offset:1264
	ds_read_b128 v[5:8], v16 offset:64
	s_waitcnt lgkmcnt(1)
	v_mul_f64 v[17:18], v[3:4], -v[31:32]
	v_mul_f64 v[3:4], v[3:4], v[29:30]
	v_fma_f64 v[17:18], v[29:30], v[1:2], v[17:18]
	v_fma_f64 v[3:4], v[31:32], v[1:2], v[3:4]
	v_add_f64 v[1:2], v[21:22], -v[17:18]
	v_add_f64 v[3:4], v[23:24], -v[3:4]
	ds_write_b128 v16, v[1:4] offset:1088
	ds_read_b128 v[17:20], v38 offset:1152
	s_waitcnt lgkmcnt(0)
	v_mul_f64 v[21:22], v[19:20], -v[7:8]
	v_mul_f64 v[19:20], v[19:20], v[5:6]
	v_fma_f64 v[5:6], v[5:6], v[17:18], v[21:22]
	v_fma_f64 v[7:8], v[7:8], v[17:18], v[19:20]
	v_add_f64 v[1:2], v[1:2], -v[5:6]
	v_add_f64 v[3:4], v[3:4], -v[7:8]
	ds_write_b128 v16, v[1:4] offset:1088
.LBB277_10:
	s_or_b64 exec, exec, s[6:7]
	s_waitcnt lgkmcnt(0)
	; wave barrier
	s_and_saveexec_b64 s[4:5], s[2:3]
	s_cbranch_execz .LBB277_12
; %bb.11:
	v_lshlrev_b32_e32 v16, 2, v0
	v_max_u32_e32 v1, 1, v16
	v_lshlrev_b32_e32 v36, 4, v1
	ds_read_b128 v[1:4], v36 offset:1264
	ds_read_b128 v[5:8], v15 offset:784
	v_min_u32_e32 v16, 11, v16
	v_lshlrev_b32_e32 v37, 4, v16
	ds_read_b128 v[16:19], v37 offset:1088
	ds_read_b128 v[20:23], v15 offset:1056
	;; [unrolled: 1-line block ×4, first 2 shown]
	s_waitcnt lgkmcnt(4)
	v_mul_f64 v[32:33], v[3:4], -v[7:8]
	v_mul_f64 v[3:4], v[3:4], v[5:6]
	s_waitcnt lgkmcnt(1)
	v_mul_f64 v[34:35], v[18:19], -v[26:27]
	v_mul_f64 v[18:19], v[18:19], v[24:25]
	v_fma_f64 v[5:6], v[5:6], v[1:2], v[32:33]
	v_fma_f64 v[7:8], v[7:8], v[1:2], v[3:4]
	ds_read_b128 v[1:4], v15 offset:1296
	v_fma_f64 v[24:25], v[24:25], v[16:17], v[34:35]
	v_fma_f64 v[16:17], v[26:27], v[16:17], v[18:19]
	s_waitcnt lgkmcnt(0)
	v_add_f64 v[1:2], v[1:2], -v[5:6]
	v_add_f64 v[3:4], v[3:4], -v[7:8]
	;; [unrolled: 1-line block ×4, first 2 shown]
	ds_write_b128 v15, v[1:4] offset:1296
	ds_read_b128 v[1:4], v36 offset:1264
	ds_read_b128 v[5:8], v15 offset:32
	s_waitcnt lgkmcnt(1)
	v_mul_f64 v[16:17], v[3:4], -v[30:31]
	v_mul_f64 v[3:4], v[3:4], v[28:29]
	v_fma_f64 v[16:17], v[28:29], v[1:2], v[16:17]
	v_fma_f64 v[3:4], v[30:31], v[1:2], v[3:4]
	v_add_f64 v[1:2], v[20:21], -v[16:17]
	v_add_f64 v[3:4], v[22:23], -v[3:4]
	ds_write_b128 v15, v[1:4] offset:1056
	ds_read_b128 v[16:19], v37 offset:1088
	s_waitcnt lgkmcnt(0)
	v_mul_f64 v[20:21], v[18:19], -v[7:8]
	v_mul_f64 v[18:19], v[18:19], v[5:6]
	v_fma_f64 v[5:6], v[5:6], v[16:17], v[20:21]
	v_fma_f64 v[7:8], v[7:8], v[16:17], v[18:19]
	v_add_f64 v[1:2], v[1:2], -v[5:6]
	v_add_f64 v[3:4], v[3:4], -v[7:8]
	ds_write_b128 v15, v[1:4] offset:1056
.LBB277_12:
	s_or_b64 exec, exec, s[4:5]
	v_or_b32_e32 v1, 0x500, v14
	s_waitcnt lgkmcnt(0)
	; wave barrier
	s_and_saveexec_b64 s[2:3], s[0:1]
	s_cbranch_execz .LBB277_14
; %bb.13:
	v_lshlrev_b32_e32 v6, 1, v0
	v_max_u32_e32 v2, 1, v6
	v_lshlrev_b32_e32 v8, 4, v2
	v_lshlrev_b32_e32 v0, 5, v0
	ds_read_b128 v[2:5], v8 offset:1264
	ds_read_b128 v[14:17], v0 offset:768
	v_min_u32_e32 v6, 13, v6
	v_lshlrev_b32_e32 v38, 4, v6
	ds_read_b128 v[18:21], v38 offset:1056
	ds_read_b128 v[22:25], v0 offset:528
	s_waitcnt lgkmcnt(2)
	v_mul_f64 v[30:31], v[4:5], -v[16:17]
	v_mul_f64 v[32:33], v[4:5], v[14:15]
	ds_read_b128 v[4:7], v0 offset:256
	ds_read_b128 v[26:29], v0 offset:16
	s_waitcnt lgkmcnt(1)
	v_mul_f64 v[34:35], v[20:21], -v[6:7]
	v_mul_f64 v[20:21], v[20:21], v[4:5]
	v_fma_f64 v[36:37], v[14:15], v[2:3], v[30:31]
	v_fma_f64 v[2:3], v[16:17], v[2:3], v[32:33]
	ds_read_b128 v[14:17], v0 offset:1280
	ds_read_b128 v[30:33], v0 offset:1040
	v_fma_f64 v[4:5], v[4:5], v[18:19], v[34:35]
	v_fma_f64 v[6:7], v[6:7], v[18:19], v[20:21]
	s_waitcnt lgkmcnt(1)
	v_add_f64 v[14:15], v[14:15], -v[36:37]
	v_add_f64 v[16:17], v[16:17], -v[2:3]
	;; [unrolled: 1-line block ×4, first 2 shown]
	ds_write_b128 v0, v[2:5] offset:1280
	ds_read_b128 v[2:5], v8 offset:1264
	s_waitcnt lgkmcnt(0)
	v_mul_f64 v[6:7], v[4:5], -v[24:25]
	v_mul_f64 v[4:5], v[4:5], v[22:23]
	v_fma_f64 v[6:7], v[22:23], v[2:3], v[6:7]
	v_fma_f64 v[4:5], v[24:25], v[2:3], v[4:5]
	v_add_f64 v[2:3], v[30:31], -v[6:7]
	v_add_f64 v[4:5], v[32:33], -v[4:5]
	ds_write_b128 v0, v[2:5] offset:1040
	ds_read_b128 v[14:17], v38 offset:1056
	s_waitcnt lgkmcnt(0)
	v_mul_f64 v[6:7], v[16:17], -v[28:29]
	v_mul_f64 v[16:17], v[16:17], v[26:27]
	v_fma_f64 v[6:7], v[26:27], v[14:15], v[6:7]
	v_fma_f64 v[14:15], v[28:29], v[14:15], v[16:17]
	v_add_f64 v[2:3], v[2:3], -v[6:7]
	v_add_f64 v[4:5], v[4:5], -v[14:15]
	ds_write_b128 v0, v[2:5] offset:1040
.LBB277_14:
	s_or_b64 exec, exec, s[2:3]
	s_waitcnt lgkmcnt(0)
	; wave barrier
	ds_read2_b64 v[2:5], v13 offset1:1
	ds_read2_b64 v[13:16], v1 offset1:1
	s_waitcnt lgkmcnt(1)
	global_store_dwordx4 v[9:10], v[2:5], off
	s_waitcnt lgkmcnt(0)
	global_store_dwordx4 v[11:12], v[13:16], off
	s_endpgm
	.section	.rodata,"a",@progbits
	.p2align	6, 0x0
	.amdhsa_kernel _ZN9rocsparseL34gtsv_solve_spike_grid_level_kernelILj16E21rocsparse_complex_numIdEEEviiiPT0_PKS3_S6_
		.amdhsa_group_segment_fixed_size 1536
		.amdhsa_private_segment_fixed_size 0
		.amdhsa_kernarg_size 40
		.amdhsa_user_sgpr_count 6
		.amdhsa_user_sgpr_private_segment_buffer 1
		.amdhsa_user_sgpr_dispatch_ptr 0
		.amdhsa_user_sgpr_queue_ptr 0
		.amdhsa_user_sgpr_kernarg_segment_ptr 1
		.amdhsa_user_sgpr_dispatch_id 0
		.amdhsa_user_sgpr_flat_scratch_init 0
		.amdhsa_user_sgpr_private_segment_size 0
		.amdhsa_uses_dynamic_stack 0
		.amdhsa_system_sgpr_private_segment_wavefront_offset 0
		.amdhsa_system_sgpr_workgroup_id_x 1
		.amdhsa_system_sgpr_workgroup_id_y 1
		.amdhsa_system_sgpr_workgroup_id_z 0
		.amdhsa_system_sgpr_workgroup_info 0
		.amdhsa_system_vgpr_workitem_id 0
		.amdhsa_next_free_vgpr 44
		.amdhsa_next_free_sgpr 10
		.amdhsa_reserve_vcc 1
		.amdhsa_reserve_flat_scratch 0
		.amdhsa_float_round_mode_32 0
		.amdhsa_float_round_mode_16_64 0
		.amdhsa_float_denorm_mode_32 3
		.amdhsa_float_denorm_mode_16_64 3
		.amdhsa_dx10_clamp 1
		.amdhsa_ieee_mode 1
		.amdhsa_fp16_overflow 0
		.amdhsa_exception_fp_ieee_invalid_op 0
		.amdhsa_exception_fp_denorm_src 0
		.amdhsa_exception_fp_ieee_div_zero 0
		.amdhsa_exception_fp_ieee_overflow 0
		.amdhsa_exception_fp_ieee_underflow 0
		.amdhsa_exception_fp_ieee_inexact 0
		.amdhsa_exception_int_div_zero 0
	.end_amdhsa_kernel
	.section	.text._ZN9rocsparseL34gtsv_solve_spike_grid_level_kernelILj16E21rocsparse_complex_numIdEEEviiiPT0_PKS3_S6_,"axG",@progbits,_ZN9rocsparseL34gtsv_solve_spike_grid_level_kernelILj16E21rocsparse_complex_numIdEEEviiiPT0_PKS3_S6_,comdat
.Lfunc_end277:
	.size	_ZN9rocsparseL34gtsv_solve_spike_grid_level_kernelILj16E21rocsparse_complex_numIdEEEviiiPT0_PKS3_S6_, .Lfunc_end277-_ZN9rocsparseL34gtsv_solve_spike_grid_level_kernelILj16E21rocsparse_complex_numIdEEEviiiPT0_PKS3_S6_
                                        ; -- End function
	.set _ZN9rocsparseL34gtsv_solve_spike_grid_level_kernelILj16E21rocsparse_complex_numIdEEEviiiPT0_PKS3_S6_.num_vgpr, 44
	.set _ZN9rocsparseL34gtsv_solve_spike_grid_level_kernelILj16E21rocsparse_complex_numIdEEEviiiPT0_PKS3_S6_.num_agpr, 0
	.set _ZN9rocsparseL34gtsv_solve_spike_grid_level_kernelILj16E21rocsparse_complex_numIdEEEviiiPT0_PKS3_S6_.numbered_sgpr, 10
	.set _ZN9rocsparseL34gtsv_solve_spike_grid_level_kernelILj16E21rocsparse_complex_numIdEEEviiiPT0_PKS3_S6_.num_named_barrier, 0
	.set _ZN9rocsparseL34gtsv_solve_spike_grid_level_kernelILj16E21rocsparse_complex_numIdEEEviiiPT0_PKS3_S6_.private_seg_size, 0
	.set _ZN9rocsparseL34gtsv_solve_spike_grid_level_kernelILj16E21rocsparse_complex_numIdEEEviiiPT0_PKS3_S6_.uses_vcc, 1
	.set _ZN9rocsparseL34gtsv_solve_spike_grid_level_kernelILj16E21rocsparse_complex_numIdEEEviiiPT0_PKS3_S6_.uses_flat_scratch, 0
	.set _ZN9rocsparseL34gtsv_solve_spike_grid_level_kernelILj16E21rocsparse_complex_numIdEEEviiiPT0_PKS3_S6_.has_dyn_sized_stack, 0
	.set _ZN9rocsparseL34gtsv_solve_spike_grid_level_kernelILj16E21rocsparse_complex_numIdEEEviiiPT0_PKS3_S6_.has_recursion, 0
	.set _ZN9rocsparseL34gtsv_solve_spike_grid_level_kernelILj16E21rocsparse_complex_numIdEEEviiiPT0_PKS3_S6_.has_indirect_call, 0
	.section	.AMDGPU.csdata,"",@progbits
; Kernel info:
; codeLenInByte = 5528
; TotalNumSgprs: 14
; NumVgprs: 44
; ScratchSize: 0
; MemoryBound: 0
; FloatMode: 240
; IeeeMode: 1
; LDSByteSize: 1536 bytes/workgroup (compile time only)
; SGPRBlocks: 1
; VGPRBlocks: 10
; NumSGPRsForWavesPerEU: 14
; NumVGPRsForWavesPerEU: 44
; Occupancy: 5
; WaveLimiterHint : 0
; COMPUTE_PGM_RSRC2:SCRATCH_EN: 0
; COMPUTE_PGM_RSRC2:USER_SGPR: 6
; COMPUTE_PGM_RSRC2:TRAP_HANDLER: 0
; COMPUTE_PGM_RSRC2:TGID_X_EN: 1
; COMPUTE_PGM_RSRC2:TGID_Y_EN: 1
; COMPUTE_PGM_RSRC2:TGID_Z_EN: 0
; COMPUTE_PGM_RSRC2:TIDIG_COMP_CNT: 0
	.section	.text._ZN9rocsparseL34gtsv_solve_spike_grid_level_kernelILj32E21rocsparse_complex_numIdEEEviiiPT0_PKS3_S6_,"axG",@progbits,_ZN9rocsparseL34gtsv_solve_spike_grid_level_kernelILj32E21rocsparse_complex_numIdEEEviiiPT0_PKS3_S6_,comdat
	.globl	_ZN9rocsparseL34gtsv_solve_spike_grid_level_kernelILj32E21rocsparse_complex_numIdEEEviiiPT0_PKS3_S6_ ; -- Begin function _ZN9rocsparseL34gtsv_solve_spike_grid_level_kernelILj32E21rocsparse_complex_numIdEEEviiiPT0_PKS3_S6_
	.p2align	8
	.type	_ZN9rocsparseL34gtsv_solve_spike_grid_level_kernelILj32E21rocsparse_complex_numIdEEEviiiPT0_PKS3_S6_,@function
_ZN9rocsparseL34gtsv_solve_spike_grid_level_kernelILj32E21rocsparse_complex_numIdEEEviiiPT0_PKS3_S6_: ; @_ZN9rocsparseL34gtsv_solve_spike_grid_level_kernelILj32E21rocsparse_complex_numIdEEEviiiPT0_PKS3_S6_
; %bb.0:
	s_load_dwordx4 s[0:3], s[4:5], 0x10
	s_load_dwordx2 s[8:9], s[4:5], 0x20
	v_lshl_or_b32 v3, s7, 6, v0
	v_mov_b32_e32 v4, 0
	v_lshlrev_b64 v[1:2], 4, v[3:4]
	v_or_b32_e32 v3, 32, v3
	s_waitcnt lgkmcnt(0)
	v_mov_b32_e32 v5, s1
	v_add_co_u32_e32 v1, vcc, s0, v1
	v_lshlrev_b64 v[3:4], 4, v[3:4]
	v_addc_co_u32_e32 v2, vcc, v5, v2, vcc
	v_lshlrev_b32_e32 v7, 4, v0
	v_add_co_u32_e32 v3, vcc, s0, v3
	global_load_dwordx4 v[8:11], v7, s[2:3]
	global_load_dwordx4 v[12:15], v7, s[2:3] offset:512
	global_load_dwordx4 v[16:19], v7, s[8:9]
	global_load_dwordx4 v[20:23], v7, s[8:9] offset:512
	v_addc_co_u32_e32 v4, vcc, v5, v4, vcc
	global_load_dwordx4 v[24:27], v[1:2], off
	global_load_dwordx4 v[28:31], v[3:4], off
	v_or_b32_e32 v6, 0x800, v7
	v_or_b32_e32 v5, 0xa00, v7
	s_mov_b32 s2, 2
	s_waitcnt vmcnt(5)
	ds_write2_b64 v7, v[8:9], v[10:11] offset0:128 offset1:129
	s_waitcnt vmcnt(4)
	ds_write2_b64 v7, v[12:13], v[14:15] offset0:192 offset1:193
	s_waitcnt vmcnt(3)
	ds_write2_b64 v7, v[16:17], v[18:19] offset1:1
	s_waitcnt vmcnt(2)
	ds_write2_b64 v7, v[20:21], v[22:23] offset0:64 offset1:65
	s_waitcnt vmcnt(1)
	ds_write2_b64 v6, v[24:25], v[26:27] offset1:1
	s_waitcnt vmcnt(0)
	ds_write2_b64 v5, v[28:29], v[30:31] offset1:1
	s_waitcnt lgkmcnt(0)
	; wave barrier
	s_branch .LBB278_2
.LBB278_1:                              ;   in Loop: Header=BB278_2 Depth=1
	s_or_b64 exec, exec, s[0:1]
	s_lshl_b32 s0, s2, 1
	s_cmp_lt_u32 s2, 17
	s_mov_b32 s2, s0
	s_waitcnt lgkmcnt(0)
	; wave barrier
	s_cbranch_scc0 .LBB278_4
.LBB278_2:                              ; =>This Inner Loop Header: Depth=1
	s_ff1_i32_b32 s0, s2
	s_lshr_b32 s0, 32, s0
	v_cmp_gt_u32_e32 vcc, s0, v0
	s_and_saveexec_b64 s[0:1], vcc
	s_cbranch_execz .LBB278_1
; %bb.3:                                ;   in Loop: Header=BB278_2 Depth=1
	v_mul_lo_u32 v8, s2, v0
	s_lshr_b32 s3, s2, 1
	v_add_u32_e32 v34, s3, v8
	v_lshlrev_b32_e32 v36, 4, v34
	v_lshlrev_b32_e32 v35, 4, v8
	ds_read_b128 v[8:11], v36 offset:496
	ds_read_b128 v[12:15], v36 offset:1024
	s_waitcnt lgkmcnt(0)
	v_mul_f64 v[18:19], v[10:11], v[12:13]
	v_mul_f64 v[16:17], v[10:11], -v[14:15]
	v_fma_f64 v[18:19], v[14:15], v[8:9], v[18:19]
	v_fma_f64 v[16:17], v[12:13], v[8:9], v[16:17]
	v_add_f64 v[18:19], -v[18:19], 0
	v_add_f64 v[16:17], -v[16:17], 1.0
	v_mul_f64 v[20:21], v[18:19], v[18:19]
	v_fma_f64 v[20:21], v[16:17], v[16:17], v[20:21]
	v_div_scale_f64 v[22:23], s[4:5], v[20:21], v[20:21], 1.0
	v_rcp_f64_e32 v[24:25], v[22:23]
	v_fma_f64 v[26:27], -v[22:23], v[24:25], 1.0
	v_fma_f64 v[24:25], v[24:25], v[26:27], v[24:25]
	v_fma_f64 v[26:27], -v[22:23], v[24:25], 1.0
	v_fma_f64 v[24:25], v[24:25], v[26:27], v[24:25]
	v_div_scale_f64 v[26:27], vcc, 1.0, v[20:21], 1.0
	v_mul_f64 v[28:29], v[26:27], v[24:25]
	v_fma_f64 v[22:23], -v[22:23], v[28:29], v[26:27]
	s_nop 1
	v_div_fmas_f64 v[22:23], v[22:23], v[24:25], v[28:29]
	v_div_fixup_f64 v[20:21], v[22:23], v[20:21], 1.0
	v_fma_f64 v[22:23], v[18:19], 0, v[16:17]
	v_fma_f64 v[16:17], v[16:17], 0, -v[18:19]
	v_mul_f64 v[28:29], v[22:23], v[20:21]
	v_mul_f64 v[30:31], v[16:17], v[20:21]
	ds_read_b128 v[16:19], v36 offset:2544
	ds_read_b128 v[20:23], v36 offset:2048
	s_waitcnt lgkmcnt(0)
	v_mul_f64 v[26:27], v[8:9], v[22:23]
	v_mul_f64 v[24:25], v[22:23], -v[10:11]
	v_fma_f64 v[26:27], v[10:11], v[20:21], v[26:27]
	v_fma_f64 v[24:25], v[8:9], v[20:21], v[24:25]
	v_add_f64 v[26:27], v[18:19], -v[26:27]
	v_add_f64 v[32:33], v[16:17], -v[24:25]
	v_mul_f64 v[24:25], v[30:31], -v[26:27]
	v_fma_f64 v[24:25], v[32:33], v[28:29], v[24:25]
	v_mul_f64 v[32:33], v[30:31], v[32:33]
	v_fma_f64 v[26:27], v[26:27], v[28:29], v[32:33]
	ds_write_b128 v36, v[24:27] offset:2544
	v_mul_f64 v[24:25], v[14:15], -v[18:19]
	v_add_lshl_u32 v26, v34, s3, 4
	v_fma_f64 v[24:25], v[16:17], v[12:13], v[24:25]
	v_mul_f64 v[16:17], v[14:15], v[16:17]
	v_fma_f64 v[16:17], v[18:19], v[12:13], v[16:17]
	v_add_f64 v[18:19], v[20:21], -v[24:25]
	v_add_f64 v[20:21], v[22:23], -v[16:17]
	v_mul_f64 v[16:17], v[30:31], -v[20:21]
	v_fma_f64 v[16:17], v[18:19], v[28:29], v[16:17]
	v_mul_f64 v[18:19], v[18:19], v[30:31]
	v_fma_f64 v[18:19], v[20:21], v[28:29], v[18:19]
	ds_read_b128 v[20:23], v35
	ds_write_b128 v36, v[16:19] offset:2048
	s_waitcnt lgkmcnt(1)
	v_mul_f64 v[24:25], v[18:19], -v[22:23]
	v_mul_f64 v[18:19], v[18:19], v[20:21]
	v_fma_f64 v[24:25], v[20:21], v[16:17], v[24:25]
	v_fma_f64 v[20:21], v[22:23], v[16:17], v[18:19]
	ds_read_b128 v[16:19], v35 offset:2048
	s_waitcnt lgkmcnt(0)
	v_add_f64 v[16:17], v[16:17], -v[24:25]
	v_add_f64 v[18:19], v[18:19], -v[20:21]
	ds_write_b128 v35, v[16:19] offset:2048
	ds_read_b128 v[16:19], v36 offset:2544
	ds_read_b128 v[20:23], v26 offset:1520
	s_waitcnt lgkmcnt(0)
	v_mul_f64 v[24:25], v[18:19], -v[22:23]
	v_mul_f64 v[18:19], v[18:19], v[20:21]
	v_fma_f64 v[24:25], v[20:21], v[16:17], v[24:25]
	v_fma_f64 v[20:21], v[22:23], v[16:17], v[18:19]
	ds_read_b128 v[16:19], v26 offset:2544
	s_waitcnt lgkmcnt(0)
	v_add_f64 v[16:17], v[16:17], -v[24:25]
	v_add_f64 v[18:19], v[18:19], -v[20:21]
	ds_write_b128 v26, v[16:19] offset:2544
	ds_read_b128 v[16:19], v36
	s_waitcnt lgkmcnt(0)
	v_mul_f64 v[20:21], v[18:19], -v[10:11]
	v_fma_f64 v[20:21], v[8:9], v[16:17], v[20:21]
	v_mul_f64 v[8:9], v[8:9], v[18:19]
	v_fma_f64 v[10:11], v[10:11], v[16:17], v[8:9]
	v_mul_f64 v[8:9], v[30:31], v[10:11]
	v_mul_f64 v[10:11], v[10:11], -v[28:29]
	v_fma_f64 v[8:9], -v[28:29], v[20:21], v[8:9]
	v_fma_f64 v[10:11], -v[30:31], v[20:21], v[10:11]
	ds_write_b128 v36, v[8:11] offset:496
	v_mul_f64 v[8:9], v[18:19], -v[30:31]
	v_mul_f64 v[10:11], v[28:29], v[18:19]
	v_fma_f64 v[8:9], v[28:29], v[16:17], v[8:9]
	v_fma_f64 v[10:11], v[30:31], v[16:17], v[10:11]
	ds_read_b128 v[16:19], v36 offset:1520
	s_waitcnt lgkmcnt(0)
	v_mul_f64 v[20:21], v[14:15], -v[18:19]
	v_mul_f64 v[14:15], v[14:15], v[16:17]
	ds_write_b128 v36, v[8:11]
	v_fma_f64 v[20:21], v[16:17], v[12:13], v[20:21]
	v_fma_f64 v[14:15], v[18:19], v[12:13], v[14:15]
	v_mul_f64 v[12:13], v[30:31], v[14:15]
	v_mul_f64 v[14:15], v[14:15], -v[28:29]
	v_fma_f64 v[12:13], -v[28:29], v[20:21], v[12:13]
	v_fma_f64 v[14:15], -v[30:31], v[20:21], v[14:15]
	v_mul_f64 v[20:21], v[18:19], -v[30:31]
	v_mul_f64 v[18:19], v[28:29], v[18:19]
	ds_write_b128 v36, v[12:15] offset:1024
	v_fma_f64 v[20:21], v[28:29], v[16:17], v[20:21]
	v_fma_f64 v[22:23], v[30:31], v[16:17], v[18:19]
	ds_read_b128 v[16:19], v35
	ds_write_b128 v36, v[20:23] offset:1520
	s_waitcnt lgkmcnt(1)
	v_mul_f64 v[20:21], v[14:15], -v[18:19]
	v_mul_f64 v[14:15], v[14:15], v[16:17]
	v_fma_f64 v[20:21], v[16:17], v[12:13], v[20:21]
	v_fma_f64 v[22:23], v[18:19], v[12:13], v[14:15]
	ds_read_b128 v[12:15], v35 offset:1024
	s_waitcnt lgkmcnt(0)
	v_add_f64 v[12:13], v[12:13], -v[20:21]
	v_add_f64 v[14:15], v[14:15], -v[22:23]
	ds_write_b128 v35, v[12:15] offset:1024
	v_mul_f64 v[12:13], v[10:11], v[18:19]
	v_mul_f64 v[10:11], v[10:11], -v[16:17]
	v_fma_f64 v[12:13], -v[16:17], v[8:9], v[12:13]
	v_fma_f64 v[14:15], -v[18:19], v[8:9], v[10:11]
	ds_write_b128 v35, v[12:15]
	ds_read_b128 v[8:11], v26 offset:1520
	ds_read_b128 v[12:15], v36 offset:496
	s_waitcnt lgkmcnt(0)
	v_mul_f64 v[16:17], v[10:11], -v[14:15]
	v_fma_f64 v[16:17], v[12:13], v[8:9], v[16:17]
	v_mul_f64 v[12:13], v[10:11], v[12:13]
	v_fma_f64 v[18:19], v[14:15], v[8:9], v[12:13]
	ds_read_b128 v[12:15], v26 offset:496
	s_waitcnt lgkmcnt(0)
	v_add_f64 v[12:13], v[12:13], -v[16:17]
	v_add_f64 v[14:15], v[14:15], -v[18:19]
	ds_write_b128 v26, v[12:15] offset:496
	ds_read_b128 v[12:15], v36 offset:1520
	s_waitcnt lgkmcnt(0)
	v_mul_f64 v[16:17], v[10:11], v[14:15]
	v_fma_f64 v[16:17], -v[8:9], v[12:13], v[16:17]
	v_mul_f64 v[8:9], v[14:15], -v[8:9]
	v_fma_f64 v[18:19], -v[10:11], v[12:13], v[8:9]
	ds_write_b128 v26, v[16:19] offset:1520
	s_branch .LBB278_1
.LBB278_4:
	v_cmp_gt_u32_e32 vcc, 2, v0
	s_and_saveexec_b64 s[0:1], vcc
	s_cbranch_execz .LBB278_6
; %bb.5:
	v_max_u32_e32 v8, 1, v7
	v_lshlrev_b32_e32 v22, 4, v8
	v_min_u32_e32 v19, 15, v7
	v_lshlrev_b32_e32 v21, 8, v0
	ds_read_b128 v[7:10], v22 offset:2544
	ds_read_b128 v[11:14], v21 offset:1648
	v_lshlrev_b32_e32 v23, 4, v19
	s_waitcnt lgkmcnt(0)
	v_mul_f64 v[15:16], v[9:10], -v[13:14]
	v_mul_f64 v[9:10], v[9:10], v[11:12]
	v_fma_f64 v[15:16], v[11:12], v[7:8], v[15:16]
	v_fma_f64 v[11:12], v[13:14], v[7:8], v[9:10]
	ds_read_b128 v[7:10], v21 offset:2672
	s_waitcnt lgkmcnt(0)
	v_add_f64 v[15:16], v[7:8], -v[15:16]
	v_add_f64 v[17:18], v[9:10], -v[11:12]
	ds_read_b128 v[7:10], v23 offset:2304
	ds_read_b128 v[11:14], v21 offset:624
	s_waitcnt lgkmcnt(0)
	v_mul_f64 v[19:20], v[9:10], -v[13:14]
	v_mul_f64 v[9:10], v[9:10], v[11:12]
	v_fma_f64 v[19:20], v[11:12], v[7:8], v[19:20]
	v_fma_f64 v[9:10], v[13:14], v[7:8], v[9:10]
	v_add_f64 v[7:8], v[15:16], -v[19:20]
	v_add_f64 v[9:10], v[17:18], -v[9:10]
	ds_write_b128 v21, v[7:10] offset:2672
	ds_read_b128 v[7:10], v22 offset:2544
	ds_read_b128 v[11:14], v21 offset:1152
	s_waitcnt lgkmcnt(0)
	v_mul_f64 v[15:16], v[9:10], -v[13:14]
	v_mul_f64 v[9:10], v[9:10], v[11:12]
	v_fma_f64 v[15:16], v[11:12], v[7:8], v[15:16]
	v_fma_f64 v[11:12], v[13:14], v[7:8], v[9:10]
	ds_read_b128 v[7:10], v21 offset:2176
	s_waitcnt lgkmcnt(0)
	v_add_f64 v[7:8], v[7:8], -v[15:16]
	v_add_f64 v[9:10], v[9:10], -v[11:12]
	ds_write_b128 v21, v[7:10] offset:2176
	ds_read_b128 v[11:14], v23 offset:2304
	ds_read_b128 v[15:18], v21 offset:128
	s_waitcnt lgkmcnt(0)
	v_mul_f64 v[19:20], v[13:14], -v[17:18]
	v_mul_f64 v[13:14], v[13:14], v[15:16]
	v_fma_f64 v[19:20], v[15:16], v[11:12], v[19:20]
	v_fma_f64 v[11:12], v[17:18], v[11:12], v[13:14]
	v_add_f64 v[7:8], v[7:8], -v[19:20]
	v_add_f64 v[9:10], v[9:10], -v[11:12]
	ds_write_b128 v21, v[7:10] offset:2176
.LBB278_6:
	s_or_b64 exec, exec, s[0:1]
	v_cmp_gt_u32_e32 vcc, 4, v0
	s_waitcnt lgkmcnt(0)
	; wave barrier
	s_and_saveexec_b64 s[0:1], vcc
	s_cbranch_execz .LBB278_8
; %bb.7:
	v_lshlrev_b32_e32 v7, 3, v0
	v_max_u32_e32 v8, 1, v7
	v_lshlrev_b32_e32 v22, 4, v8
	v_min_u32_e32 v19, 23, v7
	v_lshlrev_b32_e32 v21, 7, v0
	ds_read_b128 v[7:10], v22 offset:2544
	ds_read_b128 v[11:14], v21 offset:1584
	v_lshlrev_b32_e32 v23, 4, v19
	s_waitcnt lgkmcnt(0)
	v_mul_f64 v[15:16], v[9:10], -v[13:14]
	v_mul_f64 v[9:10], v[9:10], v[11:12]
	v_fma_f64 v[15:16], v[11:12], v[7:8], v[15:16]
	v_fma_f64 v[11:12], v[13:14], v[7:8], v[9:10]
	ds_read_b128 v[7:10], v21 offset:2608
	s_waitcnt lgkmcnt(0)
	v_add_f64 v[15:16], v[7:8], -v[15:16]
	v_add_f64 v[17:18], v[9:10], -v[11:12]
	ds_read_b128 v[7:10], v23 offset:2176
	ds_read_b128 v[11:14], v21 offset:560
	s_waitcnt lgkmcnt(0)
	v_mul_f64 v[19:20], v[9:10], -v[13:14]
	v_mul_f64 v[9:10], v[9:10], v[11:12]
	v_fma_f64 v[19:20], v[11:12], v[7:8], v[19:20]
	v_fma_f64 v[9:10], v[13:14], v[7:8], v[9:10]
	v_add_f64 v[7:8], v[15:16], -v[19:20]
	v_add_f64 v[9:10], v[17:18], -v[9:10]
	ds_write_b128 v21, v[7:10] offset:2608
	ds_read_b128 v[7:10], v22 offset:2544
	ds_read_b128 v[11:14], v21 offset:1088
	s_waitcnt lgkmcnt(0)
	v_mul_f64 v[15:16], v[9:10], -v[13:14]
	v_mul_f64 v[9:10], v[9:10], v[11:12]
	v_fma_f64 v[15:16], v[11:12], v[7:8], v[15:16]
	v_fma_f64 v[11:12], v[13:14], v[7:8], v[9:10]
	ds_read_b128 v[7:10], v21 offset:2112
	s_waitcnt lgkmcnt(0)
	v_add_f64 v[7:8], v[7:8], -v[15:16]
	v_add_f64 v[9:10], v[9:10], -v[11:12]
	ds_write_b128 v21, v[7:10] offset:2112
	ds_read_b128 v[11:14], v23 offset:2176
	ds_read_b128 v[15:18], v21 offset:64
	s_waitcnt lgkmcnt(0)
	v_mul_f64 v[19:20], v[13:14], -v[17:18]
	v_mul_f64 v[13:14], v[13:14], v[15:16]
	v_fma_f64 v[19:20], v[15:16], v[11:12], v[19:20]
	v_fma_f64 v[11:12], v[17:18], v[11:12], v[13:14]
	v_add_f64 v[7:8], v[7:8], -v[19:20]
	v_add_f64 v[9:10], v[9:10], -v[11:12]
	ds_write_b128 v21, v[7:10] offset:2112
.LBB278_8:
	s_or_b64 exec, exec, s[0:1]
	v_cmp_gt_u32_e32 vcc, 8, v0
	s_waitcnt lgkmcnt(0)
	; wave barrier
	s_and_saveexec_b64 s[0:1], vcc
	s_cbranch_execz .LBB278_10
; %bb.9:
	v_lshlrev_b32_e32 v7, 2, v0
	v_max_u32_e32 v8, 1, v7
	v_lshlrev_b32_e32 v22, 4, v8
	v_min_u32_e32 v19, 27, v7
	v_lshlrev_b32_e32 v21, 6, v0
	ds_read_b128 v[7:10], v22 offset:2544
	ds_read_b128 v[11:14], v21 offset:1552
	v_lshlrev_b32_e32 v23, 4, v19
	s_waitcnt lgkmcnt(0)
	v_mul_f64 v[15:16], v[9:10], -v[13:14]
	v_mul_f64 v[9:10], v[9:10], v[11:12]
	v_fma_f64 v[15:16], v[11:12], v[7:8], v[15:16]
	v_fma_f64 v[11:12], v[13:14], v[7:8], v[9:10]
	ds_read_b128 v[7:10], v21 offset:2576
	s_waitcnt lgkmcnt(0)
	v_add_f64 v[15:16], v[7:8], -v[15:16]
	v_add_f64 v[17:18], v[9:10], -v[11:12]
	ds_read_b128 v[7:10], v23 offset:2112
	ds_read_b128 v[11:14], v21 offset:528
	s_waitcnt lgkmcnt(0)
	v_mul_f64 v[19:20], v[9:10], -v[13:14]
	v_mul_f64 v[9:10], v[9:10], v[11:12]
	v_fma_f64 v[19:20], v[11:12], v[7:8], v[19:20]
	v_fma_f64 v[9:10], v[13:14], v[7:8], v[9:10]
	v_add_f64 v[7:8], v[15:16], -v[19:20]
	v_add_f64 v[9:10], v[17:18], -v[9:10]
	ds_write_b128 v21, v[7:10] offset:2576
	ds_read_b128 v[7:10], v22 offset:2544
	ds_read_b128 v[11:14], v21 offset:1056
	s_waitcnt lgkmcnt(0)
	v_mul_f64 v[15:16], v[9:10], -v[13:14]
	v_mul_f64 v[9:10], v[9:10], v[11:12]
	v_fma_f64 v[15:16], v[11:12], v[7:8], v[15:16]
	v_fma_f64 v[11:12], v[13:14], v[7:8], v[9:10]
	ds_read_b128 v[7:10], v21 offset:2080
	s_waitcnt lgkmcnt(0)
	v_add_f64 v[7:8], v[7:8], -v[15:16]
	v_add_f64 v[9:10], v[9:10], -v[11:12]
	ds_write_b128 v21, v[7:10] offset:2080
	ds_read_b128 v[11:14], v23 offset:2112
	ds_read_b128 v[15:18], v21 offset:32
	s_waitcnt lgkmcnt(0)
	v_mul_f64 v[19:20], v[13:14], -v[17:18]
	v_mul_f64 v[13:14], v[13:14], v[15:16]
	v_fma_f64 v[19:20], v[15:16], v[11:12], v[19:20]
	v_fma_f64 v[11:12], v[17:18], v[11:12], v[13:14]
	v_add_f64 v[7:8], v[7:8], -v[19:20]
	v_add_f64 v[9:10], v[9:10], -v[11:12]
	ds_write_b128 v21, v[7:10] offset:2080
.LBB278_10:
	;; [unrolled: 57-line block ×3, first 2 shown]
	s_or_b64 exec, exec, s[0:1]
	s_waitcnt lgkmcnt(0)
	; wave barrier
	ds_read2_b64 v[6:9], v6 offset1:1
	ds_read2_b64 v[10:13], v5 offset1:1
	s_waitcnt lgkmcnt(1)
	global_store_dwordx4 v[1:2], v[6:9], off
	s_waitcnt lgkmcnt(0)
	global_store_dwordx4 v[3:4], v[10:13], off
	s_endpgm
	.section	.rodata,"a",@progbits
	.p2align	6, 0x0
	.amdhsa_kernel _ZN9rocsparseL34gtsv_solve_spike_grid_level_kernelILj32E21rocsparse_complex_numIdEEEviiiPT0_PKS3_S6_
		.amdhsa_group_segment_fixed_size 3072
		.amdhsa_private_segment_fixed_size 0
		.amdhsa_kernarg_size 40
		.amdhsa_user_sgpr_count 6
		.amdhsa_user_sgpr_private_segment_buffer 1
		.amdhsa_user_sgpr_dispatch_ptr 0
		.amdhsa_user_sgpr_queue_ptr 0
		.amdhsa_user_sgpr_kernarg_segment_ptr 1
		.amdhsa_user_sgpr_dispatch_id 0
		.amdhsa_user_sgpr_flat_scratch_init 0
		.amdhsa_user_sgpr_private_segment_size 0
		.amdhsa_uses_dynamic_stack 0
		.amdhsa_system_sgpr_private_segment_wavefront_offset 0
		.amdhsa_system_sgpr_workgroup_id_x 1
		.amdhsa_system_sgpr_workgroup_id_y 1
		.amdhsa_system_sgpr_workgroup_id_z 0
		.amdhsa_system_sgpr_workgroup_info 0
		.amdhsa_system_vgpr_workitem_id 0
		.amdhsa_next_free_vgpr 37
		.amdhsa_next_free_sgpr 93
		.amdhsa_reserve_vcc 1
		.amdhsa_reserve_flat_scratch 0
		.amdhsa_float_round_mode_32 0
		.amdhsa_float_round_mode_16_64 0
		.amdhsa_float_denorm_mode_32 3
		.amdhsa_float_denorm_mode_16_64 3
		.amdhsa_dx10_clamp 1
		.amdhsa_ieee_mode 1
		.amdhsa_fp16_overflow 0
		.amdhsa_exception_fp_ieee_invalid_op 0
		.amdhsa_exception_fp_denorm_src 0
		.amdhsa_exception_fp_ieee_div_zero 0
		.amdhsa_exception_fp_ieee_overflow 0
		.amdhsa_exception_fp_ieee_underflow 0
		.amdhsa_exception_fp_ieee_inexact 0
		.amdhsa_exception_int_div_zero 0
	.end_amdhsa_kernel
	.section	.text._ZN9rocsparseL34gtsv_solve_spike_grid_level_kernelILj32E21rocsparse_complex_numIdEEEviiiPT0_PKS3_S6_,"axG",@progbits,_ZN9rocsparseL34gtsv_solve_spike_grid_level_kernelILj32E21rocsparse_complex_numIdEEEviiiPT0_PKS3_S6_,comdat
.Lfunc_end278:
	.size	_ZN9rocsparseL34gtsv_solve_spike_grid_level_kernelILj32E21rocsparse_complex_numIdEEEviiiPT0_PKS3_S6_, .Lfunc_end278-_ZN9rocsparseL34gtsv_solve_spike_grid_level_kernelILj32E21rocsparse_complex_numIdEEEviiiPT0_PKS3_S6_
                                        ; -- End function
	.set _ZN9rocsparseL34gtsv_solve_spike_grid_level_kernelILj32E21rocsparse_complex_numIdEEEviiiPT0_PKS3_S6_.num_vgpr, 37
	.set _ZN9rocsparseL34gtsv_solve_spike_grid_level_kernelILj32E21rocsparse_complex_numIdEEEviiiPT0_PKS3_S6_.num_agpr, 0
	.set _ZN9rocsparseL34gtsv_solve_spike_grid_level_kernelILj32E21rocsparse_complex_numIdEEEviiiPT0_PKS3_S6_.numbered_sgpr, 10
	.set _ZN9rocsparseL34gtsv_solve_spike_grid_level_kernelILj32E21rocsparse_complex_numIdEEEviiiPT0_PKS3_S6_.num_named_barrier, 0
	.set _ZN9rocsparseL34gtsv_solve_spike_grid_level_kernelILj32E21rocsparse_complex_numIdEEEviiiPT0_PKS3_S6_.private_seg_size, 0
	.set _ZN9rocsparseL34gtsv_solve_spike_grid_level_kernelILj32E21rocsparse_complex_numIdEEEviiiPT0_PKS3_S6_.uses_vcc, 1
	.set _ZN9rocsparseL34gtsv_solve_spike_grid_level_kernelILj32E21rocsparse_complex_numIdEEEviiiPT0_PKS3_S6_.uses_flat_scratch, 0
	.set _ZN9rocsparseL34gtsv_solve_spike_grid_level_kernelILj32E21rocsparse_complex_numIdEEEviiiPT0_PKS3_S6_.has_dyn_sized_stack, 0
	.set _ZN9rocsparseL34gtsv_solve_spike_grid_level_kernelILj32E21rocsparse_complex_numIdEEEviiiPT0_PKS3_S6_.has_recursion, 0
	.set _ZN9rocsparseL34gtsv_solve_spike_grid_level_kernelILj32E21rocsparse_complex_numIdEEEviiiPT0_PKS3_S6_.has_indirect_call, 0
	.section	.AMDGPU.csdata,"",@progbits
; Kernel info:
; codeLenInByte = 2876
; TotalNumSgprs: 14
; NumVgprs: 37
; ScratchSize: 0
; MemoryBound: 0
; FloatMode: 240
; IeeeMode: 1
; LDSByteSize: 3072 bytes/workgroup (compile time only)
; SGPRBlocks: 12
; VGPRBlocks: 9
; NumSGPRsForWavesPerEU: 97
; NumVGPRsForWavesPerEU: 37
; Occupancy: 6
; WaveLimiterHint : 0
; COMPUTE_PGM_RSRC2:SCRATCH_EN: 0
; COMPUTE_PGM_RSRC2:USER_SGPR: 6
; COMPUTE_PGM_RSRC2:TRAP_HANDLER: 0
; COMPUTE_PGM_RSRC2:TGID_X_EN: 1
; COMPUTE_PGM_RSRC2:TGID_Y_EN: 1
; COMPUTE_PGM_RSRC2:TGID_Z_EN: 0
; COMPUTE_PGM_RSRC2:TIDIG_COMP_CNT: 0
	.section	.text._ZN9rocsparseL34gtsv_solve_spike_grid_level_kernelILj64E21rocsparse_complex_numIdEEEviiiPT0_PKS3_S6_,"axG",@progbits,_ZN9rocsparseL34gtsv_solve_spike_grid_level_kernelILj64E21rocsparse_complex_numIdEEEviiiPT0_PKS3_S6_,comdat
	.globl	_ZN9rocsparseL34gtsv_solve_spike_grid_level_kernelILj64E21rocsparse_complex_numIdEEEviiiPT0_PKS3_S6_ ; -- Begin function _ZN9rocsparseL34gtsv_solve_spike_grid_level_kernelILj64E21rocsparse_complex_numIdEEEviiiPT0_PKS3_S6_
	.p2align	8
	.type	_ZN9rocsparseL34gtsv_solve_spike_grid_level_kernelILj64E21rocsparse_complex_numIdEEEviiiPT0_PKS3_S6_,@function
_ZN9rocsparseL34gtsv_solve_spike_grid_level_kernelILj64E21rocsparse_complex_numIdEEEviiiPT0_PKS3_S6_: ; @_ZN9rocsparseL34gtsv_solve_spike_grid_level_kernelILj64E21rocsparse_complex_numIdEEEviiiPT0_PKS3_S6_
; %bb.0:
	s_load_dwordx4 s[0:3], s[4:5], 0x10
	s_load_dwordx2 s[8:9], s[4:5], 0x20
	v_lshl_or_b32 v3, s7, 7, v0
	v_mov_b32_e32 v4, 0
	v_lshlrev_b64 v[1:2], 4, v[3:4]
	v_or_b32_e32 v3, 64, v3
	s_waitcnt lgkmcnt(0)
	v_mov_b32_e32 v5, s1
	v_add_co_u32_e32 v1, vcc, s0, v1
	v_lshlrev_b64 v[3:4], 4, v[3:4]
	v_addc_co_u32_e32 v2, vcc, v5, v2, vcc
	v_lshlrev_b32_e32 v8, 4, v0
	v_add_co_u32_e32 v3, vcc, s0, v3
	global_load_dwordx4 v[9:12], v8, s[2:3]
	global_load_dwordx4 v[13:16], v8, s[2:3] offset:1024
	global_load_dwordx4 v[17:20], v8, s[8:9]
	global_load_dwordx4 v[21:24], v8, s[8:9] offset:1024
	v_addc_co_u32_e32 v4, vcc, v5, v4, vcc
	global_load_dwordx4 v[25:28], v[1:2], off
	global_load_dwordx4 v[29:32], v[3:4], off
	v_or_b32_e32 v7, 0x800, v8
	v_or_b32_e32 v6, 0x1000, v8
	;; [unrolled: 1-line block ×3, first 2 shown]
	s_mov_b32 s2, 2
	v_or_b32_e32 v33, 0xc00, v8
	s_waitcnt vmcnt(5)
	ds_write2_b64 v7, v[9:10], v[11:12] offset1:1
	s_waitcnt vmcnt(4)
	ds_write2_b64 v33, v[13:14], v[15:16] offset1:1
	;; [unrolled: 2-line block ×3, first 2 shown]
	s_waitcnt vmcnt(2)
	ds_write2_b64 v8, v[21:22], v[23:24] offset0:128 offset1:129
	s_waitcnt vmcnt(1)
	ds_write2_b64 v6, v[25:26], v[27:28] offset1:1
	s_waitcnt vmcnt(0)
	ds_write2_b64 v5, v[29:30], v[31:32] offset1:1
	s_waitcnt lgkmcnt(0)
	; wave barrier
	s_branch .LBB279_2
.LBB279_1:                              ;   in Loop: Header=BB279_2 Depth=1
	s_or_b64 exec, exec, s[0:1]
	s_lshl_b32 s0, s2, 1
	s_cmp_lt_u32 s2, 33
	s_mov_b32 s2, s0
	s_waitcnt lgkmcnt(0)
	; wave barrier
	s_cbranch_scc0 .LBB279_4
.LBB279_2:                              ; =>This Inner Loop Header: Depth=1
	s_ff1_i32_b32 s0, s2
	s_lshr_b32 s0, 64, s0
	v_cmp_gt_u32_e32 vcc, s0, v0
	s_and_saveexec_b64 s[0:1], vcc
	s_cbranch_execz .LBB279_1
; %bb.3:                                ;   in Loop: Header=BB279_2 Depth=1
	v_mul_lo_u32 v7, s2, v0
	s_lshr_b32 s3, s2, 1
	v_add_u32_e32 v33, s3, v7
	v_lshlrev_b32_e32 v61, 4, v33
	ds_read_b128 v[9:12], v61 offset:2048
	ds_read_b128 v[13:16], v61 offset:1008
	ds_read_b128 v[17:20], v61
	ds_read_b128 v[21:24], v61 offset:3056
	v_add_lshl_u32 v62, v33, s3, 4
	v_lshlrev_b32_e32 v7, 4, v7
	s_waitcnt lgkmcnt(2)
	v_mul_f64 v[25:26], v[15:16], v[9:10]
	v_mul_f64 v[27:28], v[15:16], -v[11:12]
	s_waitcnt lgkmcnt(1)
	v_mul_f64 v[53:54], v[19:20], -v[15:16]
	v_mul_f64 v[55:56], v[13:14], v[19:20]
	s_waitcnt lgkmcnt(0)
	v_mul_f64 v[57:58], v[11:12], -v[23:24]
	v_fma_f64 v[25:26], v[11:12], v[13:14], v[25:26]
	v_fma_f64 v[27:28], v[9:10], v[13:14], v[27:28]
	v_add_f64 v[37:38], -v[25:26], 0
	v_add_f64 v[39:40], -v[27:28], 1.0
	v_mul_f64 v[25:26], v[37:38], v[37:38]
	v_fma_f64 v[59:60], v[39:40], 0, -v[37:38]
	v_fma_f64 v[37:38], v[37:38], 0, v[39:40]
	v_fma_f64 v[41:42], v[39:40], v[39:40], v[25:26]
	;; [unrolled: 1-line block ×3, first 2 shown]
	v_div_scale_f64 v[25:26], s[4:5], v[41:42], v[41:42], 1.0
	v_rcp_f64_e32 v[27:28], v[25:26]
	v_fma_f64 v[29:30], -v[25:26], v[27:28], 1.0
	v_fma_f64 v[27:28], v[27:28], v[29:30], v[27:28]
	v_div_scale_f64 v[29:30], vcc, 1.0, v[41:42], 1.0
	v_fma_f64 v[31:32], -v[25:26], v[27:28], 1.0
	v_fma_f64 v[27:28], v[27:28], v[31:32], v[27:28]
	v_mul_f64 v[31:32], v[29:30], v[27:28]
	v_fma_f64 v[25:26], -v[25:26], v[31:32], v[29:30]
	v_div_fmas_f64 v[43:44], v[25:26], v[27:28], v[31:32]
	ds_read_b128 v[25:28], v61 offset:4096
	ds_read_b128 v[29:32], v61 offset:5104
	;; [unrolled: 1-line block ×3, first 2 shown]
	s_waitcnt lgkmcnt(2)
	v_mul_f64 v[45:46], v[13:14], v[27:28]
	v_mul_f64 v[47:48], v[27:28], -v[15:16]
	s_waitcnt lgkmcnt(1)
	v_mul_f64 v[49:50], v[11:12], -v[31:32]
	v_mul_f64 v[51:52], v[11:12], v[29:30]
	v_mul_f64 v[11:12], v[11:12], v[21:22]
	v_fma_f64 v[45:46], v[15:16], v[25:26], v[45:46]
	v_fma_f64 v[15:16], v[15:16], v[17:18], v[55:56]
	;; [unrolled: 1-line block ×3, first 2 shown]
	v_div_fixup_f64 v[41:42], v[43:44], v[41:42], 1.0
	v_fma_f64 v[43:44], v[13:14], v[25:26], v[47:48]
	v_fma_f64 v[47:48], v[31:32], v[9:10], v[51:52]
	;; [unrolled: 1-line block ×3, first 2 shown]
	v_add_f64 v[13:14], v[31:32], -v[45:46]
	v_add_f64 v[45:46], v[25:26], -v[49:50]
	v_mul_f64 v[31:32], v[59:60], v[41:42]
	v_add_f64 v[29:30], v[29:30], -v[43:44]
	v_mul_f64 v[41:42], v[37:38], v[41:42]
	v_add_f64 v[43:44], v[27:28], -v[47:48]
	v_fma_f64 v[25:26], v[21:22], v[9:10], v[57:58]
	v_mul_f64 v[49:50], v[31:32], v[15:16]
	v_mul_f64 v[27:28], v[31:32], v[29:30]
	v_mul_f64 v[51:52], v[15:16], -v[41:42]
	v_mul_f64 v[15:16], v[31:32], v[11:12]
	v_mul_f64 v[53:54], v[11:12], -v[41:42]
	v_mul_f64 v[55:56], v[23:24], -v[31:32]
	v_mul_f64 v[23:24], v[41:42], v[23:24]
	v_mul_f64 v[9:10], v[31:32], -v[13:14]
	;; [unrolled: 3-line block ×3, first 2 shown]
	v_mul_f64 v[47:48], v[45:46], v[31:32]
	v_fma_f64 v[11:12], v[13:14], v[41:42], v[27:28]
	v_fma_f64 v[13:14], -v[41:42], v[25:26], v[15:16]
	v_fma_f64 v[15:16], -v[31:32], v[25:26], v[53:54]
	v_fma_f64 v[19:20], v[41:42], v[21:22], v[55:56]
	v_fma_f64 v[21:22], v[31:32], v[21:22], v[23:24]
	v_fma_f64 v[23:24], -v[41:42], v[39:40], v[49:50]
	v_fma_f64 v[25:26], -v[31:32], v[39:40], v[51:52]
	v_fma_f64 v[9:10], v[29:30], v[41:42], v[9:10]
	v_fma_f64 v[27:28], v[41:42], v[17:18], v[57:58]
	;; [unrolled: 1-line block ×5, first 2 shown]
	ds_write_b128 v61, v[13:16] offset:2048
	ds_write_b128 v61, v[19:22] offset:3056
	ds_read_b128 v[17:20], v7
	ds_read_b128 v[41:44], v7 offset:2048
	ds_write_b128 v61, v[23:26] offset:1008
	ds_write_b128 v61, v[27:30]
	ds_read_b128 v[21:24], v7
	ds_write_b128 v61, v[9:12] offset:5104
	ds_write_b128 v61, v[37:40] offset:4096
	s_waitcnt lgkmcnt(6)
	v_mul_f64 v[25:26], v[39:40], -v[19:20]
	v_mul_f64 v[31:32], v[39:40], v[17:18]
	ds_read_b128 v[9:12], v7 offset:4096
	s_waitcnt lgkmcnt(3)
	v_mul_f64 v[45:46], v[15:16], -v[23:24]
	v_mul_f64 v[15:16], v[15:16], v[21:22]
	v_mul_f64 v[39:40], v[29:30], v[23:24]
	v_mul_f64 v[29:30], v[29:30], -v[21:22]
	v_fma_f64 v[17:18], v[17:18], v[37:38], v[25:26]
	v_fma_f64 v[19:20], v[19:20], v[37:38], v[31:32]
	v_fma_f64 v[25:26], v[21:22], v[13:14], v[45:46]
	v_fma_f64 v[31:32], v[23:24], v[13:14], v[15:16]
	v_fma_f64 v[13:14], -v[21:22], v[27:28], v[39:40]
	v_fma_f64 v[15:16], -v[23:24], v[27:28], v[29:30]
	s_waitcnt lgkmcnt(0)
	v_add_f64 v[9:10], v[9:10], -v[17:18]
	v_add_f64 v[11:12], v[11:12], -v[19:20]
	ds_write_b128 v7, v[13:16]
	ds_write_b128 v7, v[9:12] offset:4096
	v_add_f64 v[17:18], v[41:42], -v[25:26]
	v_add_f64 v[19:20], v[43:44], -v[31:32]
	ds_read_b128 v[9:12], v61 offset:5104
	ds_read_b128 v[13:16], v61 offset:1008
	s_waitcnt lgkmcnt(1)
	v_mul_f64 v[37:38], v[11:12], -v[35:36]
	v_mul_f64 v[11:12], v[11:12], v[33:34]
	ds_write_b128 v7, v[17:20] offset:2048
	ds_read_b128 v[17:20], v62 offset:3056
	ds_read_b128 v[21:24], v62 offset:1008
	;; [unrolled: 1-line block ×4, first 2 shown]
	s_waitcnt lgkmcnt(3)
	v_mul_f64 v[39:40], v[19:20], -v[15:16]
	v_mul_f64 v[41:42], v[19:20], v[13:14]
	v_fma_f64 v[33:34], v[33:34], v[9:10], v[37:38]
	v_fma_f64 v[11:12], v[35:36], v[9:10], v[11:12]
	s_waitcnt lgkmcnt(1)
	v_mul_f64 v[43:44], v[19:20], v[27:28]
	v_mul_f64 v[27:28], v[27:28], -v[17:18]
	v_fma_f64 v[35:36], v[13:14], v[17:18], v[39:40]
	v_fma_f64 v[37:38], v[15:16], v[17:18], v[41:42]
	s_waitcnt lgkmcnt(0)
	v_add_f64 v[13:14], v[29:30], -v[33:34]
	v_add_f64 v[15:16], v[31:32], -v[11:12]
	v_fma_f64 v[9:10], -v[17:18], v[25:26], v[43:44]
	v_fma_f64 v[11:12], -v[19:20], v[25:26], v[27:28]
	v_add_f64 v[21:22], v[21:22], -v[35:36]
	v_add_f64 v[23:24], v[23:24], -v[37:38]
	ds_write_b128 v62, v[13:16] offset:5104
	ds_write_b128 v62, v[21:24] offset:1008
	;; [unrolled: 1-line block ×3, first 2 shown]
	s_branch .LBB279_1
.LBB279_4:
	v_cmp_gt_u32_e32 vcc, 2, v0
	v_lshlrev_b32_e32 v7, 5, v0
	s_and_saveexec_b64 s[0:1], vcc
	s_cbranch_execz .LBB279_6
; %bb.5:
	v_max_u32_e32 v9, 1, v7
	v_lshlrev_b32_e32 v40, 4, v9
	v_lshlrev_b32_e32 v39, 9, v0
	ds_read_b128 v[9:12], v40 offset:5104
	ds_read_b128 v[13:16], v39 offset:3312
	v_min_u32_e32 v17, 31, v7
	v_lshlrev_b32_e32 v41, 4, v17
	ds_read_b128 v[17:20], v41 offset:4608
	ds_read_b128 v[21:24], v39 offset:2304
	;; [unrolled: 1-line block ×4, first 2 shown]
	s_waitcnt lgkmcnt(4)
	v_mul_f64 v[33:34], v[11:12], -v[15:16]
	v_mul_f64 v[11:12], v[11:12], v[13:14]
	s_waitcnt lgkmcnt(1)
	v_mul_f64 v[35:36], v[19:20], -v[27:28]
	v_mul_f64 v[19:20], v[19:20], v[25:26]
	v_fma_f64 v[33:34], v[13:14], v[9:10], v[33:34]
	v_fma_f64 v[37:38], v[15:16], v[9:10], v[11:12]
	ds_read_b128 v[9:12], v39 offset:5360
	ds_read_b128 v[13:16], v39 offset:4352
	v_fma_f64 v[25:26], v[25:26], v[17:18], v[35:36]
	v_fma_f64 v[17:18], v[27:28], v[17:18], v[19:20]
	s_waitcnt lgkmcnt(1)
	v_add_f64 v[9:10], v[9:10], -v[33:34]
	v_add_f64 v[11:12], v[11:12], -v[37:38]
	v_add_f64 v[9:10], v[9:10], -v[25:26]
	v_add_f64 v[11:12], v[11:12], -v[17:18]
	ds_write_b128 v39, v[9:12] offset:5360
	ds_read_b128 v[9:12], v40 offset:5104
	s_waitcnt lgkmcnt(0)
	v_mul_f64 v[17:18], v[11:12], -v[23:24]
	v_mul_f64 v[11:12], v[11:12], v[21:22]
	v_fma_f64 v[17:18], v[21:22], v[9:10], v[17:18]
	v_fma_f64 v[11:12], v[23:24], v[9:10], v[11:12]
	v_add_f64 v[9:10], v[13:14], -v[17:18]
	v_add_f64 v[11:12], v[15:16], -v[11:12]
	ds_write_b128 v39, v[9:12] offset:4352
	ds_read_b128 v[13:16], v41 offset:4608
	s_waitcnt lgkmcnt(0)
	v_mul_f64 v[17:18], v[15:16], -v[31:32]
	v_mul_f64 v[15:16], v[15:16], v[29:30]
	v_fma_f64 v[17:18], v[29:30], v[13:14], v[17:18]
	v_fma_f64 v[13:14], v[31:32], v[13:14], v[15:16]
	v_add_f64 v[9:10], v[9:10], -v[17:18]
	v_add_f64 v[11:12], v[11:12], -v[13:14]
	ds_write_b128 v39, v[9:12] offset:4352
.LBB279_6:
	s_or_b64 exec, exec, s[0:1]
	v_cmp_gt_u32_e32 vcc, 4, v0
	s_waitcnt lgkmcnt(0)
	; wave barrier
	s_and_saveexec_b64 s[0:1], vcc
	s_cbranch_execz .LBB279_8
; %bb.7:
	v_max_u32_e32 v9, 1, v8
	v_lshlrev_b32_e32 v40, 4, v9
	v_lshlrev_b32_e32 v39, 8, v0
	ds_read_b128 v[9:12], v40 offset:5104
	ds_read_b128 v[13:16], v39 offset:3184
	v_min_u32_e32 v8, 47, v8
	v_lshlrev_b32_e32 v41, 4, v8
	ds_read_b128 v[17:20], v41 offset:4352
	ds_read_b128 v[21:24], v39 offset:2176
	ds_read_b128 v[25:28], v39 offset:1136
	ds_read_b128 v[29:32], v39 offset:128
	s_waitcnt lgkmcnt(4)
	v_mul_f64 v[33:34], v[11:12], -v[15:16]
	v_mul_f64 v[11:12], v[11:12], v[13:14]
	s_waitcnt lgkmcnt(1)
	v_mul_f64 v[35:36], v[19:20], -v[27:28]
	v_mul_f64 v[19:20], v[19:20], v[25:26]
	v_fma_f64 v[33:34], v[13:14], v[9:10], v[33:34]
	v_fma_f64 v[37:38], v[15:16], v[9:10], v[11:12]
	ds_read_b128 v[8:11], v39 offset:5232
	ds_read_b128 v[12:15], v39 offset:4224
	v_fma_f64 v[25:26], v[25:26], v[17:18], v[35:36]
	v_fma_f64 v[16:17], v[27:28], v[17:18], v[19:20]
	s_waitcnt lgkmcnt(1)
	v_add_f64 v[8:9], v[8:9], -v[33:34]
	v_add_f64 v[10:11], v[10:11], -v[37:38]
	;; [unrolled: 1-line block ×4, first 2 shown]
	ds_write_b128 v39, v[8:11] offset:5232
	ds_read_b128 v[8:11], v40 offset:5104
	s_waitcnt lgkmcnt(0)
	v_mul_f64 v[16:17], v[10:11], -v[23:24]
	v_mul_f64 v[10:11], v[10:11], v[21:22]
	v_fma_f64 v[16:17], v[21:22], v[8:9], v[16:17]
	v_fma_f64 v[10:11], v[23:24], v[8:9], v[10:11]
	v_add_f64 v[8:9], v[12:13], -v[16:17]
	v_add_f64 v[10:11], v[14:15], -v[10:11]
	ds_write_b128 v39, v[8:11] offset:4224
	ds_read_b128 v[12:15], v41 offset:4352
	s_waitcnt lgkmcnt(0)
	v_mul_f64 v[16:17], v[14:15], -v[31:32]
	v_mul_f64 v[14:15], v[14:15], v[29:30]
	v_fma_f64 v[16:17], v[29:30], v[12:13], v[16:17]
	v_fma_f64 v[12:13], v[31:32], v[12:13], v[14:15]
	v_add_f64 v[8:9], v[8:9], -v[16:17]
	v_add_f64 v[10:11], v[10:11], -v[12:13]
	ds_write_b128 v39, v[8:11] offset:4224
.LBB279_8:
	s_or_b64 exec, exec, s[0:1]
	v_cmp_gt_u32_e32 vcc, 8, v0
	s_waitcnt lgkmcnt(0)
	; wave barrier
	s_and_saveexec_b64 s[0:1], vcc
	s_cbranch_execz .LBB279_10
; %bb.9:
	v_lshlrev_b32_e32 v16, 3, v0
	v_max_u32_e32 v8, 1, v16
	v_lshlrev_b32_e32 v39, 4, v8
	v_lshlrev_b32_e32 v38, 7, v0
	ds_read_b128 v[8:11], v39 offset:5104
	ds_read_b128 v[12:15], v38 offset:3120
	v_min_u32_e32 v16, 55, v16
	v_lshlrev_b32_e32 v40, 4, v16
	ds_read_b128 v[16:19], v40 offset:4224
	ds_read_b128 v[20:23], v38 offset:2112
	;; [unrolled: 1-line block ×4, first 2 shown]
	s_waitcnt lgkmcnt(4)
	v_mul_f64 v[32:33], v[10:11], -v[14:15]
	v_mul_f64 v[10:11], v[10:11], v[12:13]
	s_waitcnt lgkmcnt(1)
	v_mul_f64 v[34:35], v[18:19], -v[26:27]
	v_mul_f64 v[18:19], v[18:19], v[24:25]
	v_fma_f64 v[32:33], v[12:13], v[8:9], v[32:33]
	v_fma_f64 v[36:37], v[14:15], v[8:9], v[10:11]
	ds_read_b128 v[8:11], v38 offset:5168
	ds_read_b128 v[12:15], v38 offset:4160
	v_fma_f64 v[24:25], v[24:25], v[16:17], v[34:35]
	v_fma_f64 v[16:17], v[26:27], v[16:17], v[18:19]
	s_waitcnt lgkmcnt(1)
	v_add_f64 v[8:9], v[8:9], -v[32:33]
	v_add_f64 v[10:11], v[10:11], -v[36:37]
	;; [unrolled: 1-line block ×4, first 2 shown]
	ds_write_b128 v38, v[8:11] offset:5168
	ds_read_b128 v[8:11], v39 offset:5104
	s_waitcnt lgkmcnt(0)
	v_mul_f64 v[16:17], v[10:11], -v[22:23]
	v_mul_f64 v[10:11], v[10:11], v[20:21]
	v_fma_f64 v[16:17], v[20:21], v[8:9], v[16:17]
	v_fma_f64 v[10:11], v[22:23], v[8:9], v[10:11]
	v_add_f64 v[8:9], v[12:13], -v[16:17]
	v_add_f64 v[10:11], v[14:15], -v[10:11]
	ds_write_b128 v38, v[8:11] offset:4160
	ds_read_b128 v[12:15], v40 offset:4224
	s_waitcnt lgkmcnt(0)
	v_mul_f64 v[16:17], v[14:15], -v[30:31]
	v_mul_f64 v[14:15], v[14:15], v[28:29]
	v_fma_f64 v[16:17], v[28:29], v[12:13], v[16:17]
	v_fma_f64 v[12:13], v[30:31], v[12:13], v[14:15]
	v_add_f64 v[8:9], v[8:9], -v[16:17]
	v_add_f64 v[10:11], v[10:11], -v[12:13]
	ds_write_b128 v38, v[8:11] offset:4160
.LBB279_10:
	s_or_b64 exec, exec, s[0:1]
	v_cmp_gt_u32_e32 vcc, 16, v0
	s_waitcnt lgkmcnt(0)
	; wave barrier
	s_and_saveexec_b64 s[0:1], vcc
	s_cbranch_execz .LBB279_12
; %bb.11:
	v_lshlrev_b32_e32 v16, 2, v0
	v_max_u32_e32 v8, 1, v16
	v_lshlrev_b32_e32 v39, 4, v8
	v_lshlrev_b32_e32 v38, 6, v0
	ds_read_b128 v[8:11], v39 offset:5104
	ds_read_b128 v[12:15], v38 offset:3088
	v_min_u32_e32 v16, 59, v16
	v_lshlrev_b32_e32 v40, 4, v16
	ds_read_b128 v[16:19], v40 offset:4160
	ds_read_b128 v[20:23], v38 offset:2080
	;; [unrolled: 1-line block ×4, first 2 shown]
	s_waitcnt lgkmcnt(4)
	v_mul_f64 v[32:33], v[10:11], -v[14:15]
	v_mul_f64 v[10:11], v[10:11], v[12:13]
	s_waitcnt lgkmcnt(1)
	v_mul_f64 v[34:35], v[18:19], -v[26:27]
	v_mul_f64 v[18:19], v[18:19], v[24:25]
	v_fma_f64 v[32:33], v[12:13], v[8:9], v[32:33]
	v_fma_f64 v[36:37], v[14:15], v[8:9], v[10:11]
	ds_read_b128 v[8:11], v38 offset:5136
	ds_read_b128 v[12:15], v38 offset:4128
	v_fma_f64 v[24:25], v[24:25], v[16:17], v[34:35]
	v_fma_f64 v[16:17], v[26:27], v[16:17], v[18:19]
	s_waitcnt lgkmcnt(1)
	v_add_f64 v[8:9], v[8:9], -v[32:33]
	v_add_f64 v[10:11], v[10:11], -v[36:37]
	;; [unrolled: 1-line block ×4, first 2 shown]
	ds_write_b128 v38, v[8:11] offset:5136
	ds_read_b128 v[8:11], v39 offset:5104
	s_waitcnt lgkmcnt(0)
	v_mul_f64 v[16:17], v[10:11], -v[22:23]
	v_mul_f64 v[10:11], v[10:11], v[20:21]
	v_fma_f64 v[16:17], v[20:21], v[8:9], v[16:17]
	v_fma_f64 v[10:11], v[22:23], v[8:9], v[10:11]
	v_add_f64 v[8:9], v[12:13], -v[16:17]
	v_add_f64 v[10:11], v[14:15], -v[10:11]
	ds_write_b128 v38, v[8:11] offset:4128
	ds_read_b128 v[12:15], v40 offset:4160
	s_waitcnt lgkmcnt(0)
	v_mul_f64 v[16:17], v[14:15], -v[30:31]
	v_mul_f64 v[14:15], v[14:15], v[28:29]
	v_fma_f64 v[16:17], v[28:29], v[12:13], v[16:17]
	v_fma_f64 v[12:13], v[30:31], v[12:13], v[14:15]
	v_add_f64 v[8:9], v[8:9], -v[16:17]
	v_add_f64 v[10:11], v[10:11], -v[12:13]
	ds_write_b128 v38, v[8:11] offset:4128
.LBB279_12:
	s_or_b64 exec, exec, s[0:1]
	v_cmp_gt_u32_e32 vcc, 32, v0
	s_waitcnt lgkmcnt(0)
	; wave barrier
	s_and_saveexec_b64 s[0:1], vcc
	s_cbranch_execz .LBB279_14
; %bb.13:
	v_lshlrev_b32_e32 v0, 1, v0
	v_max_u32_e32 v8, 1, v0
	v_lshlrev_b32_e32 v36, 4, v8
	ds_read_b128 v[8:11], v36 offset:5104
	ds_read_b128 v[12:15], v7 offset:3072
	v_min_u32_e32 v0, 61, v0
	v_lshlrev_b32_e32 v0, 4, v0
	ds_read_b128 v[16:19], v0 offset:4128
	ds_read_b128 v[20:23], v7 offset:4112
	;; [unrolled: 1-line block ×4, first 2 shown]
	s_waitcnt lgkmcnt(4)
	v_mul_f64 v[32:33], v[10:11], -v[14:15]
	v_mul_f64 v[10:11], v[10:11], v[12:13]
	s_waitcnt lgkmcnt(1)
	v_mul_f64 v[34:35], v[18:19], -v[26:27]
	v_mul_f64 v[18:19], v[18:19], v[24:25]
	v_fma_f64 v[12:13], v[12:13], v[8:9], v[32:33]
	v_fma_f64 v[14:15], v[14:15], v[8:9], v[10:11]
	ds_read_b128 v[8:11], v7 offset:5120
	v_fma_f64 v[24:25], v[24:25], v[16:17], v[34:35]
	v_fma_f64 v[16:17], v[26:27], v[16:17], v[18:19]
	s_waitcnt lgkmcnt(0)
	v_add_f64 v[8:9], v[8:9], -v[12:13]
	v_add_f64 v[10:11], v[10:11], -v[14:15]
	;; [unrolled: 1-line block ×4, first 2 shown]
	ds_write_b128 v7, v[8:11] offset:5120
	ds_read_b128 v[8:11], v36 offset:5104
	ds_read_b128 v[12:15], v7 offset:16
	s_waitcnt lgkmcnt(1)
	v_mul_f64 v[16:17], v[10:11], -v[30:31]
	v_mul_f64 v[10:11], v[10:11], v[28:29]
	v_fma_f64 v[16:17], v[28:29], v[8:9], v[16:17]
	v_fma_f64 v[10:11], v[30:31], v[8:9], v[10:11]
	v_add_f64 v[8:9], v[20:21], -v[16:17]
	v_add_f64 v[10:11], v[22:23], -v[10:11]
	ds_write_b128 v7, v[8:11] offset:4112
	ds_read_b128 v[16:19], v0 offset:4128
	s_waitcnt lgkmcnt(0)
	v_mul_f64 v[20:21], v[18:19], -v[14:15]
	v_mul_f64 v[18:19], v[18:19], v[12:13]
	v_fma_f64 v[12:13], v[12:13], v[16:17], v[20:21]
	v_fma_f64 v[14:15], v[14:15], v[16:17], v[18:19]
	v_add_f64 v[8:9], v[8:9], -v[12:13]
	v_add_f64 v[10:11], v[10:11], -v[14:15]
	ds_write_b128 v7, v[8:11] offset:4112
.LBB279_14:
	s_or_b64 exec, exec, s[0:1]
	s_waitcnt lgkmcnt(0)
	; wave barrier
	ds_read2_b64 v[6:9], v6 offset1:1
	ds_read2_b64 v[10:13], v5 offset1:1
	s_waitcnt lgkmcnt(1)
	global_store_dwordx4 v[1:2], v[6:9], off
	s_waitcnt lgkmcnt(0)
	global_store_dwordx4 v[3:4], v[10:13], off
	s_endpgm
	.section	.rodata,"a",@progbits
	.p2align	6, 0x0
	.amdhsa_kernel _ZN9rocsparseL34gtsv_solve_spike_grid_level_kernelILj64E21rocsparse_complex_numIdEEEviiiPT0_PKS3_S6_
		.amdhsa_group_segment_fixed_size 6144
		.amdhsa_private_segment_fixed_size 0
		.amdhsa_kernarg_size 40
		.amdhsa_user_sgpr_count 6
		.amdhsa_user_sgpr_private_segment_buffer 1
		.amdhsa_user_sgpr_dispatch_ptr 0
		.amdhsa_user_sgpr_queue_ptr 0
		.amdhsa_user_sgpr_kernarg_segment_ptr 1
		.amdhsa_user_sgpr_dispatch_id 0
		.amdhsa_user_sgpr_flat_scratch_init 0
		.amdhsa_user_sgpr_private_segment_size 0
		.amdhsa_uses_dynamic_stack 0
		.amdhsa_system_sgpr_private_segment_wavefront_offset 0
		.amdhsa_system_sgpr_workgroup_id_x 1
		.amdhsa_system_sgpr_workgroup_id_y 1
		.amdhsa_system_sgpr_workgroup_id_z 0
		.amdhsa_system_sgpr_workgroup_info 0
		.amdhsa_system_vgpr_workitem_id 0
		.amdhsa_next_free_vgpr 65
		.amdhsa_next_free_sgpr 98
		.amdhsa_reserve_vcc 1
		.amdhsa_reserve_flat_scratch 0
		.amdhsa_float_round_mode_32 0
		.amdhsa_float_round_mode_16_64 0
		.amdhsa_float_denorm_mode_32 3
		.amdhsa_float_denorm_mode_16_64 3
		.amdhsa_dx10_clamp 1
		.amdhsa_ieee_mode 1
		.amdhsa_fp16_overflow 0
		.amdhsa_exception_fp_ieee_invalid_op 0
		.amdhsa_exception_fp_denorm_src 0
		.amdhsa_exception_fp_ieee_div_zero 0
		.amdhsa_exception_fp_ieee_overflow 0
		.amdhsa_exception_fp_ieee_underflow 0
		.amdhsa_exception_fp_ieee_inexact 0
		.amdhsa_exception_int_div_zero 0
	.end_amdhsa_kernel
	.section	.text._ZN9rocsparseL34gtsv_solve_spike_grid_level_kernelILj64E21rocsparse_complex_numIdEEEviiiPT0_PKS3_S6_,"axG",@progbits,_ZN9rocsparseL34gtsv_solve_spike_grid_level_kernelILj64E21rocsparse_complex_numIdEEEviiiPT0_PKS3_S6_,comdat
.Lfunc_end279:
	.size	_ZN9rocsparseL34gtsv_solve_spike_grid_level_kernelILj64E21rocsparse_complex_numIdEEEviiiPT0_PKS3_S6_, .Lfunc_end279-_ZN9rocsparseL34gtsv_solve_spike_grid_level_kernelILj64E21rocsparse_complex_numIdEEEviiiPT0_PKS3_S6_
                                        ; -- End function
	.set _ZN9rocsparseL34gtsv_solve_spike_grid_level_kernelILj64E21rocsparse_complex_numIdEEEviiiPT0_PKS3_S6_.num_vgpr, 63
	.set _ZN9rocsparseL34gtsv_solve_spike_grid_level_kernelILj64E21rocsparse_complex_numIdEEEviiiPT0_PKS3_S6_.num_agpr, 0
	.set _ZN9rocsparseL34gtsv_solve_spike_grid_level_kernelILj64E21rocsparse_complex_numIdEEEviiiPT0_PKS3_S6_.numbered_sgpr, 10
	.set _ZN9rocsparseL34gtsv_solve_spike_grid_level_kernelILj64E21rocsparse_complex_numIdEEEviiiPT0_PKS3_S6_.num_named_barrier, 0
	.set _ZN9rocsparseL34gtsv_solve_spike_grid_level_kernelILj64E21rocsparse_complex_numIdEEEviiiPT0_PKS3_S6_.private_seg_size, 0
	.set _ZN9rocsparseL34gtsv_solve_spike_grid_level_kernelILj64E21rocsparse_complex_numIdEEEviiiPT0_PKS3_S6_.uses_vcc, 1
	.set _ZN9rocsparseL34gtsv_solve_spike_grid_level_kernelILj64E21rocsparse_complex_numIdEEEviiiPT0_PKS3_S6_.uses_flat_scratch, 0
	.set _ZN9rocsparseL34gtsv_solve_spike_grid_level_kernelILj64E21rocsparse_complex_numIdEEEviiiPT0_PKS3_S6_.has_dyn_sized_stack, 0
	.set _ZN9rocsparseL34gtsv_solve_spike_grid_level_kernelILj64E21rocsparse_complex_numIdEEEviiiPT0_PKS3_S6_.has_recursion, 0
	.set _ZN9rocsparseL34gtsv_solve_spike_grid_level_kernelILj64E21rocsparse_complex_numIdEEEviiiPT0_PKS3_S6_.has_indirect_call, 0
	.section	.AMDGPU.csdata,"",@progbits
; Kernel info:
; codeLenInByte = 3224
; TotalNumSgprs: 14
; NumVgprs: 63
; ScratchSize: 0
; MemoryBound: 0
; FloatMode: 240
; IeeeMode: 1
; LDSByteSize: 6144 bytes/workgroup (compile time only)
; SGPRBlocks: 12
; VGPRBlocks: 16
; NumSGPRsForWavesPerEU: 102
; NumVGPRsForWavesPerEU: 65
; Occupancy: 3
; WaveLimiterHint : 0
; COMPUTE_PGM_RSRC2:SCRATCH_EN: 0
; COMPUTE_PGM_RSRC2:USER_SGPR: 6
; COMPUTE_PGM_RSRC2:TRAP_HANDLER: 0
; COMPUTE_PGM_RSRC2:TGID_X_EN: 1
; COMPUTE_PGM_RSRC2:TGID_Y_EN: 1
; COMPUTE_PGM_RSRC2:TGID_Z_EN: 0
; COMPUTE_PGM_RSRC2:TIDIG_COMP_CNT: 0
	.section	.text._ZN9rocsparseL34gtsv_solve_spike_grid_level_kernelILj128E21rocsparse_complex_numIdEEEviiiPT0_PKS3_S6_,"axG",@progbits,_ZN9rocsparseL34gtsv_solve_spike_grid_level_kernelILj128E21rocsparse_complex_numIdEEEviiiPT0_PKS3_S6_,comdat
	.globl	_ZN9rocsparseL34gtsv_solve_spike_grid_level_kernelILj128E21rocsparse_complex_numIdEEEviiiPT0_PKS3_S6_ ; -- Begin function _ZN9rocsparseL34gtsv_solve_spike_grid_level_kernelILj128E21rocsparse_complex_numIdEEEviiiPT0_PKS3_S6_
	.p2align	8
	.type	_ZN9rocsparseL34gtsv_solve_spike_grid_level_kernelILj128E21rocsparse_complex_numIdEEEviiiPT0_PKS3_S6_,@function
_ZN9rocsparseL34gtsv_solve_spike_grid_level_kernelILj128E21rocsparse_complex_numIdEEEviiiPT0_PKS3_S6_: ; @_ZN9rocsparseL34gtsv_solve_spike_grid_level_kernelILj128E21rocsparse_complex_numIdEEEviiiPT0_PKS3_S6_
; %bb.0:
	s_load_dwordx4 s[0:3], s[4:5], 0x10
	s_load_dwordx2 s[8:9], s[4:5], 0x20
	v_lshl_or_b32 v3, s7, 8, v0
	v_mov_b32_e32 v4, 0
	v_lshlrev_b64 v[1:2], 4, v[3:4]
	v_or_b32_e32 v3, 0x80, v3
	s_waitcnt lgkmcnt(0)
	v_mov_b32_e32 v5, s1
	v_add_co_u32_e32 v1, vcc, s0, v1
	v_lshlrev_b64 v[3:4], 4, v[3:4]
	v_addc_co_u32_e32 v2, vcc, v5, v2, vcc
	v_lshlrev_b32_e32 v7, 4, v0
	v_add_co_u32_e32 v3, vcc, s0, v3
	global_load_dwordx4 v[8:11], v7, s[2:3]
	global_load_dwordx4 v[12:15], v7, s[2:3] offset:2048
	global_load_dwordx4 v[16:19], v7, s[8:9]
	global_load_dwordx4 v[20:23], v7, s[8:9] offset:2048
	v_addc_co_u32_e32 v4, vcc, v5, v4, vcc
	global_load_dwordx4 v[24:27], v[1:2], off
	global_load_dwordx4 v[28:31], v[3:4], off
	v_or_b32_e32 v32, 0x1000, v7
	v_or_b32_e32 v6, 0x2000, v7
	v_or_b32_e32 v5, 0x2800, v7
	s_mov_b32 s2, 2
	v_or_b32_e32 v33, 0x1800, v7
	v_or_b32_e32 v34, 0x800, v7
	s_waitcnt vmcnt(5)
	ds_write2_b64 v32, v[8:9], v[10:11] offset1:1
	s_waitcnt vmcnt(4)
	ds_write2_b64 v33, v[12:13], v[14:15] offset1:1
	;; [unrolled: 2-line block ×6, first 2 shown]
	s_waitcnt lgkmcnt(0)
	s_barrier
	s_branch .LBB280_2
.LBB280_1:                              ;   in Loop: Header=BB280_2 Depth=1
	s_or_b64 exec, exec, s[0:1]
	s_lshl_b32 s0, s2, 1
	s_cmpk_lt_u32 s2, 0x41
	s_mov_b32 s2, s0
	s_waitcnt lgkmcnt(0)
	s_barrier
	s_cbranch_scc0 .LBB280_4
.LBB280_2:                              ; =>This Inner Loop Header: Depth=1
	s_ff1_i32_b32 s0, s2
	s_lshr_b32 s0, 0x80, s0
	v_cmp_gt_u32_e32 vcc, s0, v0
	s_and_saveexec_b64 s[0:1], vcc
	s_cbranch_execz .LBB280_1
; %bb.3:                                ;   in Loop: Header=BB280_2 Depth=1
	v_mul_lo_u32 v32, s2, v0
	s_lshr_b32 s3, s2, 1
	v_add_u32_e32 v33, s3, v32
	v_lshlrev_b32_e32 v60, 4, v33
	ds_read_b128 v[8:11], v60 offset:4096
	ds_read_b128 v[12:15], v60 offset:2032
	ds_read_b128 v[16:19], v60
	ds_read_b128 v[20:23], v60 offset:6128
	v_add_lshl_u32 v62, v33, s3, 4
	v_lshlrev_b32_e32 v61, 4, v32
	s_waitcnt lgkmcnt(2)
	v_mul_f64 v[24:25], v[14:15], v[8:9]
	v_mul_f64 v[26:27], v[14:15], -v[10:11]
	s_waitcnt lgkmcnt(1)
	v_mul_f64 v[52:53], v[18:19], -v[14:15]
	v_mul_f64 v[54:55], v[12:13], v[18:19]
	s_waitcnt lgkmcnt(0)
	v_mul_f64 v[56:57], v[10:11], -v[22:23]
	v_fma_f64 v[24:25], v[10:11], v[12:13], v[24:25]
	v_fma_f64 v[26:27], v[8:9], v[12:13], v[26:27]
	v_add_f64 v[36:37], -v[24:25], 0
	v_add_f64 v[38:39], -v[26:27], 1.0
	v_mul_f64 v[24:25], v[36:37], v[36:37]
	v_fma_f64 v[58:59], v[38:39], 0, -v[36:37]
	v_fma_f64 v[36:37], v[36:37], 0, v[38:39]
	v_fma_f64 v[40:41], v[38:39], v[38:39], v[24:25]
	;; [unrolled: 1-line block ×3, first 2 shown]
	v_div_scale_f64 v[24:25], s[4:5], v[40:41], v[40:41], 1.0
	v_rcp_f64_e32 v[26:27], v[24:25]
	v_fma_f64 v[28:29], -v[24:25], v[26:27], 1.0
	v_fma_f64 v[26:27], v[26:27], v[28:29], v[26:27]
	v_div_scale_f64 v[28:29], vcc, 1.0, v[40:41], 1.0
	v_fma_f64 v[30:31], -v[24:25], v[26:27], 1.0
	v_fma_f64 v[26:27], v[26:27], v[30:31], v[26:27]
	v_mul_f64 v[30:31], v[28:29], v[26:27]
	v_fma_f64 v[24:25], -v[24:25], v[30:31], v[28:29]
	v_div_fmas_f64 v[42:43], v[24:25], v[26:27], v[30:31]
	ds_read_b128 v[24:27], v60 offset:8192
	ds_read_b128 v[28:31], v60 offset:10224
	;; [unrolled: 1-line block ×3, first 2 shown]
	s_waitcnt lgkmcnt(2)
	v_mul_f64 v[44:45], v[12:13], v[26:27]
	v_mul_f64 v[46:47], v[26:27], -v[14:15]
	s_waitcnt lgkmcnt(1)
	v_mul_f64 v[48:49], v[10:11], -v[30:31]
	v_mul_f64 v[50:51], v[10:11], v[28:29]
	v_mul_f64 v[10:11], v[10:11], v[20:21]
	v_fma_f64 v[44:45], v[14:15], v[24:25], v[44:45]
	v_fma_f64 v[14:15], v[14:15], v[16:17], v[54:55]
	;; [unrolled: 1-line block ×3, first 2 shown]
	v_div_fixup_f64 v[40:41], v[42:43], v[40:41], 1.0
	v_fma_f64 v[42:43], v[12:13], v[24:25], v[46:47]
	v_fma_f64 v[46:47], v[30:31], v[8:9], v[50:51]
	;; [unrolled: 1-line block ×3, first 2 shown]
	v_add_f64 v[12:13], v[30:31], -v[44:45]
	v_add_f64 v[44:45], v[24:25], -v[48:49]
	v_mul_f64 v[30:31], v[58:59], v[40:41]
	v_add_f64 v[28:29], v[28:29], -v[42:43]
	v_mul_f64 v[40:41], v[36:37], v[40:41]
	v_add_f64 v[42:43], v[26:27], -v[46:47]
	v_fma_f64 v[24:25], v[20:21], v[8:9], v[56:57]
	v_mul_f64 v[48:49], v[30:31], v[14:15]
	v_mul_f64 v[26:27], v[30:31], v[28:29]
	v_mul_f64 v[50:51], v[14:15], -v[40:41]
	v_mul_f64 v[14:15], v[30:31], v[10:11]
	v_mul_f64 v[52:53], v[10:11], -v[40:41]
	v_mul_f64 v[54:55], v[22:23], -v[30:31]
	v_mul_f64 v[22:23], v[40:41], v[22:23]
	v_mul_f64 v[8:9], v[30:31], -v[12:13]
	;; [unrolled: 3-line block ×3, first 2 shown]
	v_mul_f64 v[46:47], v[44:45], v[30:31]
	v_fma_f64 v[10:11], v[12:13], v[40:41], v[26:27]
	v_fma_f64 v[12:13], -v[40:41], v[24:25], v[14:15]
	v_fma_f64 v[14:15], -v[30:31], v[24:25], v[52:53]
	v_fma_f64 v[18:19], v[40:41], v[20:21], v[54:55]
	v_fma_f64 v[20:21], v[30:31], v[20:21], v[22:23]
	v_fma_f64 v[22:23], -v[40:41], v[38:39], v[48:49]
	v_fma_f64 v[24:25], -v[30:31], v[38:39], v[50:51]
	v_fma_f64 v[8:9], v[28:29], v[40:41], v[8:9]
	v_fma_f64 v[26:27], v[40:41], v[16:17], v[56:57]
	;; [unrolled: 1-line block ×5, first 2 shown]
	ds_write_b128 v60, v[12:15] offset:4096
	ds_write_b128 v60, v[18:21] offset:6128
	ds_read_b128 v[16:19], v61
	ds_read_b128 v[40:43], v61 offset:4096
	ds_write_b128 v60, v[22:25] offset:2032
	ds_write_b128 v60, v[26:29]
	ds_read_b128 v[20:23], v61
	ds_write_b128 v60, v[8:11] offset:10224
	ds_write_b128 v60, v[36:39] offset:8192
	s_waitcnt lgkmcnt(6)
	v_mul_f64 v[24:25], v[38:39], -v[18:19]
	v_mul_f64 v[30:31], v[38:39], v[16:17]
	ds_read_b128 v[8:11], v61 offset:8192
	s_waitcnt lgkmcnt(3)
	v_mul_f64 v[44:45], v[14:15], -v[22:23]
	v_mul_f64 v[14:15], v[14:15], v[20:21]
	v_mul_f64 v[38:39], v[28:29], v[22:23]
	v_mul_f64 v[28:29], v[28:29], -v[20:21]
	v_fma_f64 v[16:17], v[16:17], v[36:37], v[24:25]
	v_fma_f64 v[18:19], v[18:19], v[36:37], v[30:31]
	;; [unrolled: 1-line block ×4, first 2 shown]
	v_fma_f64 v[12:13], -v[20:21], v[26:27], v[38:39]
	v_fma_f64 v[14:15], -v[22:23], v[26:27], v[28:29]
	s_waitcnt lgkmcnt(0)
	v_add_f64 v[8:9], v[8:9], -v[16:17]
	v_add_f64 v[10:11], v[10:11], -v[18:19]
	ds_write_b128 v61, v[12:15]
	ds_write_b128 v61, v[8:11] offset:8192
	v_add_f64 v[16:17], v[40:41], -v[24:25]
	v_add_f64 v[18:19], v[42:43], -v[30:31]
	ds_read_b128 v[8:11], v60 offset:10224
	ds_read_b128 v[12:15], v60 offset:2032
	s_waitcnt lgkmcnt(1)
	v_mul_f64 v[36:37], v[10:11], -v[34:35]
	v_mul_f64 v[10:11], v[10:11], v[32:33]
	ds_write_b128 v61, v[16:19] offset:4096
	ds_read_b128 v[16:19], v62 offset:6128
	ds_read_b128 v[20:23], v62 offset:2032
	;; [unrolled: 1-line block ×4, first 2 shown]
	s_waitcnt lgkmcnt(3)
	v_mul_f64 v[38:39], v[18:19], -v[14:15]
	v_mul_f64 v[40:41], v[18:19], v[12:13]
	v_fma_f64 v[32:33], v[32:33], v[8:9], v[36:37]
	v_fma_f64 v[10:11], v[34:35], v[8:9], v[10:11]
	s_waitcnt lgkmcnt(1)
	v_mul_f64 v[42:43], v[18:19], v[26:27]
	v_mul_f64 v[26:27], v[26:27], -v[16:17]
	v_fma_f64 v[34:35], v[12:13], v[16:17], v[38:39]
	v_fma_f64 v[36:37], v[14:15], v[16:17], v[40:41]
	s_waitcnt lgkmcnt(0)
	v_add_f64 v[12:13], v[28:29], -v[32:33]
	v_add_f64 v[14:15], v[30:31], -v[10:11]
	v_fma_f64 v[8:9], -v[16:17], v[24:25], v[42:43]
	v_fma_f64 v[10:11], -v[18:19], v[24:25], v[26:27]
	v_add_f64 v[20:21], v[20:21], -v[34:35]
	v_add_f64 v[22:23], v[22:23], -v[36:37]
	ds_write_b128 v62, v[12:15] offset:10224
	ds_write_b128 v62, v[20:23] offset:2032
	;; [unrolled: 1-line block ×3, first 2 shown]
	s_branch .LBB280_1
.LBB280_4:
	v_cmp_gt_u32_e32 vcc, 2, v0
	v_lshlrev_b32_e32 v8, 6, v0
	s_and_saveexec_b64 s[0:1], vcc
	s_cbranch_execz .LBB280_6
; %bb.5:
	v_max_u32_e32 v9, 1, v8
	v_lshlrev_b32_e32 v40, 4, v9
	v_lshlrev_b32_e32 v39, 10, v0
	ds_read_b128 v[9:12], v40 offset:10224
	ds_read_b128 v[13:16], v39 offset:6640
	v_min_u32_e32 v17, 63, v8
	v_lshlrev_b32_e32 v41, 4, v17
	ds_read_b128 v[17:20], v41 offset:9216
	ds_read_b128 v[21:24], v39 offset:4608
	;; [unrolled: 1-line block ×4, first 2 shown]
	s_waitcnt lgkmcnt(4)
	v_mul_f64 v[33:34], v[11:12], -v[15:16]
	v_mul_f64 v[11:12], v[11:12], v[13:14]
	s_waitcnt lgkmcnt(1)
	v_mul_f64 v[35:36], v[19:20], -v[27:28]
	v_mul_f64 v[19:20], v[19:20], v[25:26]
	v_fma_f64 v[33:34], v[13:14], v[9:10], v[33:34]
	v_fma_f64 v[37:38], v[15:16], v[9:10], v[11:12]
	ds_read_b128 v[9:12], v39 offset:10736
	ds_read_b128 v[13:16], v39 offset:8704
	v_fma_f64 v[25:26], v[25:26], v[17:18], v[35:36]
	v_fma_f64 v[17:18], v[27:28], v[17:18], v[19:20]
	s_waitcnt lgkmcnt(1)
	v_add_f64 v[9:10], v[9:10], -v[33:34]
	v_add_f64 v[11:12], v[11:12], -v[37:38]
	;; [unrolled: 1-line block ×4, first 2 shown]
	ds_write_b128 v39, v[9:12] offset:10736
	ds_read_b128 v[9:12], v40 offset:10224
	s_waitcnt lgkmcnt(0)
	v_mul_f64 v[17:18], v[11:12], -v[23:24]
	v_mul_f64 v[11:12], v[11:12], v[21:22]
	v_fma_f64 v[17:18], v[21:22], v[9:10], v[17:18]
	v_fma_f64 v[11:12], v[23:24], v[9:10], v[11:12]
	v_add_f64 v[9:10], v[13:14], -v[17:18]
	v_add_f64 v[11:12], v[15:16], -v[11:12]
	ds_write_b128 v39, v[9:12] offset:8704
	ds_read_b128 v[13:16], v41 offset:9216
	s_waitcnt lgkmcnt(0)
	v_mul_f64 v[17:18], v[15:16], -v[31:32]
	v_mul_f64 v[15:16], v[15:16], v[29:30]
	v_fma_f64 v[17:18], v[29:30], v[13:14], v[17:18]
	v_fma_f64 v[13:14], v[31:32], v[13:14], v[15:16]
	v_add_f64 v[9:10], v[9:10], -v[17:18]
	v_add_f64 v[11:12], v[11:12], -v[13:14]
	ds_write_b128 v39, v[9:12] offset:8704
.LBB280_6:
	s_or_b64 exec, exec, s[0:1]
	v_cmp_gt_u32_e32 vcc, 4, v0
	v_lshlrev_b32_e32 v9, 5, v0
	s_waitcnt lgkmcnt(0)
	s_barrier
	s_and_saveexec_b64 s[0:1], vcc
	s_cbranch_execz .LBB280_8
; %bb.7:
	v_max_u32_e32 v10, 1, v9
	v_lshlrev_b32_e32 v41, 4, v10
	v_lshlrev_b32_e32 v40, 9, v0
	ds_read_b128 v[10:13], v41 offset:10224
	ds_read_b128 v[14:17], v40 offset:6384
	v_min_u32_e32 v18, 0x5f, v9
	v_lshlrev_b32_e32 v42, 4, v18
	ds_read_b128 v[18:21], v42 offset:8704
	ds_read_b128 v[22:25], v40 offset:4352
	;; [unrolled: 1-line block ×4, first 2 shown]
	s_waitcnt lgkmcnt(4)
	v_mul_f64 v[34:35], v[12:13], -v[16:17]
	v_mul_f64 v[12:13], v[12:13], v[14:15]
	s_waitcnt lgkmcnt(1)
	v_mul_f64 v[36:37], v[20:21], -v[28:29]
	v_mul_f64 v[20:21], v[20:21], v[26:27]
	v_fma_f64 v[34:35], v[14:15], v[10:11], v[34:35]
	v_fma_f64 v[38:39], v[16:17], v[10:11], v[12:13]
	ds_read_b128 v[10:13], v40 offset:10480
	ds_read_b128 v[14:17], v40 offset:8448
	v_fma_f64 v[26:27], v[26:27], v[18:19], v[36:37]
	v_fma_f64 v[18:19], v[28:29], v[18:19], v[20:21]
	s_waitcnt lgkmcnt(1)
	v_add_f64 v[10:11], v[10:11], -v[34:35]
	v_add_f64 v[12:13], v[12:13], -v[38:39]
	;; [unrolled: 1-line block ×4, first 2 shown]
	ds_write_b128 v40, v[10:13] offset:10480
	ds_read_b128 v[10:13], v41 offset:10224
	s_waitcnt lgkmcnt(0)
	v_mul_f64 v[18:19], v[12:13], -v[24:25]
	v_mul_f64 v[12:13], v[12:13], v[22:23]
	v_fma_f64 v[18:19], v[22:23], v[10:11], v[18:19]
	v_fma_f64 v[12:13], v[24:25], v[10:11], v[12:13]
	v_add_f64 v[10:11], v[14:15], -v[18:19]
	v_add_f64 v[12:13], v[16:17], -v[12:13]
	ds_write_b128 v40, v[10:13] offset:8448
	ds_read_b128 v[14:17], v42 offset:8704
	s_waitcnt lgkmcnt(0)
	v_mul_f64 v[18:19], v[16:17], -v[32:33]
	v_mul_f64 v[16:17], v[16:17], v[30:31]
	v_fma_f64 v[18:19], v[30:31], v[14:15], v[18:19]
	v_fma_f64 v[14:15], v[32:33], v[14:15], v[16:17]
	v_add_f64 v[10:11], v[10:11], -v[18:19]
	v_add_f64 v[12:13], v[12:13], -v[14:15]
	ds_write_b128 v40, v[10:13] offset:8448
.LBB280_8:
	s_or_b64 exec, exec, s[0:1]
	v_cmp_gt_u32_e32 vcc, 8, v0
	s_waitcnt lgkmcnt(0)
	s_barrier
	s_and_saveexec_b64 s[0:1], vcc
	s_cbranch_execz .LBB280_10
; %bb.9:
	v_max_u32_e32 v10, 1, v7
	v_lshlrev_b32_e32 v41, 4, v10
	v_lshlrev_b32_e32 v40, 8, v0
	ds_read_b128 v[10:13], v41 offset:10224
	ds_read_b128 v[14:17], v40 offset:6256
	v_min_u32_e32 v7, 0x6f, v7
	v_lshlrev_b32_e32 v7, 4, v7
	ds_read_b128 v[18:21], v7 offset:8448
	ds_read_b128 v[22:25], v40 offset:4224
	;; [unrolled: 1-line block ×4, first 2 shown]
	s_waitcnt lgkmcnt(4)
	v_mul_f64 v[34:35], v[12:13], -v[16:17]
	v_mul_f64 v[12:13], v[12:13], v[14:15]
	s_waitcnt lgkmcnt(1)
	v_mul_f64 v[36:37], v[20:21], -v[28:29]
	v_mul_f64 v[20:21], v[20:21], v[26:27]
	v_fma_f64 v[34:35], v[14:15], v[10:11], v[34:35]
	v_fma_f64 v[38:39], v[16:17], v[10:11], v[12:13]
	ds_read_b128 v[10:13], v40 offset:10352
	ds_read_b128 v[14:17], v40 offset:8320
	v_fma_f64 v[26:27], v[26:27], v[18:19], v[36:37]
	v_fma_f64 v[18:19], v[28:29], v[18:19], v[20:21]
	s_waitcnt lgkmcnt(1)
	v_add_f64 v[10:11], v[10:11], -v[34:35]
	v_add_f64 v[12:13], v[12:13], -v[38:39]
	;; [unrolled: 1-line block ×4, first 2 shown]
	ds_write_b128 v40, v[10:13] offset:10352
	ds_read_b128 v[10:13], v41 offset:10224
	s_waitcnt lgkmcnt(0)
	v_mul_f64 v[18:19], v[12:13], -v[24:25]
	v_mul_f64 v[12:13], v[12:13], v[22:23]
	v_fma_f64 v[18:19], v[22:23], v[10:11], v[18:19]
	v_fma_f64 v[12:13], v[24:25], v[10:11], v[12:13]
	v_add_f64 v[10:11], v[14:15], -v[18:19]
	v_add_f64 v[12:13], v[16:17], -v[12:13]
	ds_write_b128 v40, v[10:13] offset:8320
	ds_read_b128 v[14:17], v7 offset:8448
	s_waitcnt lgkmcnt(0)
	v_mul_f64 v[18:19], v[16:17], -v[32:33]
	v_mul_f64 v[16:17], v[16:17], v[30:31]
	v_fma_f64 v[18:19], v[30:31], v[14:15], v[18:19]
	v_fma_f64 v[14:15], v[32:33], v[14:15], v[16:17]
	v_add_f64 v[10:11], v[10:11], -v[18:19]
	v_add_f64 v[12:13], v[12:13], -v[14:15]
	ds_write_b128 v40, v[10:13] offset:8320
.LBB280_10:
	s_or_b64 exec, exec, s[0:1]
	v_cmp_gt_u32_e32 vcc, 16, v0
	s_waitcnt lgkmcnt(0)
	s_barrier
	s_and_saveexec_b64 s[0:1], vcc
	s_cbranch_execz .LBB280_12
; %bb.11:
	v_lshlrev_b32_e32 v7, 3, v0
	v_max_u32_e32 v10, 1, v7
	v_lshlrev_b32_e32 v41, 4, v10
	v_lshlrev_b32_e32 v40, 7, v0
	ds_read_b128 v[10:13], v41 offset:10224
	ds_read_b128 v[14:17], v40 offset:6192
	v_min_u32_e32 v7, 0x77, v7
	v_lshlrev_b32_e32 v7, 4, v7
	ds_read_b128 v[18:21], v7 offset:8320
	ds_read_b128 v[22:25], v40 offset:4160
	;; [unrolled: 1-line block ×4, first 2 shown]
	s_waitcnt lgkmcnt(4)
	v_mul_f64 v[34:35], v[12:13], -v[16:17]
	v_mul_f64 v[12:13], v[12:13], v[14:15]
	s_waitcnt lgkmcnt(1)
	v_mul_f64 v[36:37], v[20:21], -v[28:29]
	v_mul_f64 v[20:21], v[20:21], v[26:27]
	v_fma_f64 v[34:35], v[14:15], v[10:11], v[34:35]
	v_fma_f64 v[38:39], v[16:17], v[10:11], v[12:13]
	ds_read_b128 v[10:13], v40 offset:10288
	ds_read_b128 v[14:17], v40 offset:8256
	v_fma_f64 v[26:27], v[26:27], v[18:19], v[36:37]
	v_fma_f64 v[18:19], v[28:29], v[18:19], v[20:21]
	s_waitcnt lgkmcnt(1)
	v_add_f64 v[10:11], v[10:11], -v[34:35]
	v_add_f64 v[12:13], v[12:13], -v[38:39]
	;; [unrolled: 1-line block ×4, first 2 shown]
	ds_write_b128 v40, v[10:13] offset:10288
	ds_read_b128 v[10:13], v41 offset:10224
	s_waitcnt lgkmcnt(0)
	v_mul_f64 v[18:19], v[12:13], -v[24:25]
	v_mul_f64 v[12:13], v[12:13], v[22:23]
	v_fma_f64 v[18:19], v[22:23], v[10:11], v[18:19]
	v_fma_f64 v[12:13], v[24:25], v[10:11], v[12:13]
	v_add_f64 v[10:11], v[14:15], -v[18:19]
	v_add_f64 v[12:13], v[16:17], -v[12:13]
	ds_write_b128 v40, v[10:13] offset:8256
	ds_read_b128 v[14:17], v7 offset:8320
	s_waitcnt lgkmcnt(0)
	v_mul_f64 v[18:19], v[16:17], -v[32:33]
	v_mul_f64 v[16:17], v[16:17], v[30:31]
	v_fma_f64 v[18:19], v[30:31], v[14:15], v[18:19]
	v_fma_f64 v[14:15], v[32:33], v[14:15], v[16:17]
	v_add_f64 v[10:11], v[10:11], -v[18:19]
	v_add_f64 v[12:13], v[12:13], -v[14:15]
	ds_write_b128 v40, v[10:13] offset:8256
.LBB280_12:
	s_or_b64 exec, exec, s[0:1]
	v_cmp_gt_u32_e32 vcc, 32, v0
	s_waitcnt lgkmcnt(0)
	s_barrier
	s_and_saveexec_b64 s[0:1], vcc
	s_cbranch_execz .LBB280_14
; %bb.13:
	v_lshlrev_b32_e32 v7, 2, v0
	v_max_u32_e32 v10, 1, v7
	v_lshlrev_b32_e32 v38, 4, v10
	ds_read_b128 v[10:13], v38 offset:10224
	ds_read_b128 v[14:17], v8 offset:6160
	v_min_u32_e32 v7, 0x7b, v7
	v_lshlrev_b32_e32 v7, 4, v7
	ds_read_b128 v[18:21], v7 offset:8256
	ds_read_b128 v[22:25], v8 offset:8224
	;; [unrolled: 1-line block ×4, first 2 shown]
	s_waitcnt lgkmcnt(4)
	v_mul_f64 v[34:35], v[12:13], -v[16:17]
	v_mul_f64 v[12:13], v[12:13], v[14:15]
	s_waitcnt lgkmcnt(1)
	v_mul_f64 v[36:37], v[20:21], -v[28:29]
	v_mul_f64 v[20:21], v[20:21], v[26:27]
	v_fma_f64 v[14:15], v[14:15], v[10:11], v[34:35]
	v_fma_f64 v[16:17], v[16:17], v[10:11], v[12:13]
	ds_read_b128 v[10:13], v8 offset:10256
	v_fma_f64 v[26:27], v[26:27], v[18:19], v[36:37]
	v_fma_f64 v[18:19], v[28:29], v[18:19], v[20:21]
	s_waitcnt lgkmcnt(0)
	v_add_f64 v[10:11], v[10:11], -v[14:15]
	v_add_f64 v[12:13], v[12:13], -v[16:17]
	;; [unrolled: 1-line block ×4, first 2 shown]
	ds_write_b128 v8, v[10:13] offset:10256
	ds_read_b128 v[10:13], v38 offset:10224
	ds_read_b128 v[14:17], v8 offset:32
	s_waitcnt lgkmcnt(1)
	v_mul_f64 v[18:19], v[12:13], -v[32:33]
	v_mul_f64 v[12:13], v[12:13], v[30:31]
	v_fma_f64 v[18:19], v[30:31], v[10:11], v[18:19]
	v_fma_f64 v[12:13], v[32:33], v[10:11], v[12:13]
	v_add_f64 v[10:11], v[22:23], -v[18:19]
	v_add_f64 v[12:13], v[24:25], -v[12:13]
	ds_write_b128 v8, v[10:13] offset:8224
	ds_read_b128 v[18:21], v7 offset:8256
	s_waitcnt lgkmcnt(0)
	v_mul_f64 v[22:23], v[20:21], -v[16:17]
	v_mul_f64 v[20:21], v[20:21], v[14:15]
	v_fma_f64 v[14:15], v[14:15], v[18:19], v[22:23]
	v_fma_f64 v[16:17], v[16:17], v[18:19], v[20:21]
	v_add_f64 v[10:11], v[10:11], -v[14:15]
	v_add_f64 v[12:13], v[12:13], -v[16:17]
	ds_write_b128 v8, v[10:13] offset:8224
.LBB280_14:
	s_or_b64 exec, exec, s[0:1]
	v_cmp_gt_u32_e32 vcc, 64, v0
	s_waitcnt lgkmcnt(0)
	s_barrier
	s_and_saveexec_b64 s[0:1], vcc
	s_cbranch_execz .LBB280_16
; %bb.15:
	v_lshlrev_b32_e32 v0, 1, v0
	v_max_u32_e32 v7, 1, v0
	v_lshlrev_b32_e32 v36, 4, v7
	ds_read_b128 v[10:13], v36 offset:10224
	ds_read_b128 v[14:17], v9 offset:6144
	v_min_u32_e32 v0, 0x7d, v0
	v_lshlrev_b32_e32 v0, 4, v0
	ds_read_b128 v[18:21], v0 offset:8224
	ds_read_b128 v[22:25], v9 offset:8208
	;; [unrolled: 1-line block ×4, first 2 shown]
	s_waitcnt lgkmcnt(4)
	v_mul_f64 v[7:8], v[12:13], -v[16:17]
	v_mul_f64 v[12:13], v[12:13], v[14:15]
	s_waitcnt lgkmcnt(1)
	v_mul_f64 v[34:35], v[20:21], -v[28:29]
	v_mul_f64 v[20:21], v[20:21], v[26:27]
	v_fma_f64 v[7:8], v[14:15], v[10:11], v[7:8]
	v_fma_f64 v[14:15], v[16:17], v[10:11], v[12:13]
	ds_read_b128 v[10:13], v9 offset:10240
	v_fma_f64 v[16:17], v[26:27], v[18:19], v[34:35]
	v_fma_f64 v[18:19], v[28:29], v[18:19], v[20:21]
	s_waitcnt lgkmcnt(0)
	v_add_f64 v[7:8], v[10:11], -v[7:8]
	v_add_f64 v[12:13], v[12:13], -v[14:15]
	;; [unrolled: 1-line block ×4, first 2 shown]
	ds_write_b128 v9, v[10:13] offset:10240
	ds_read_b128 v[10:13], v36 offset:10224
	ds_read_b128 v[14:17], v9 offset:16
	s_waitcnt lgkmcnt(1)
	v_mul_f64 v[7:8], v[12:13], -v[32:33]
	v_mul_f64 v[12:13], v[12:13], v[30:31]
	v_fma_f64 v[7:8], v[30:31], v[10:11], v[7:8]
	v_fma_f64 v[12:13], v[32:33], v[10:11], v[12:13]
	v_add_f64 v[10:11], v[22:23], -v[7:8]
	v_add_f64 v[12:13], v[24:25], -v[12:13]
	ds_write_b128 v9, v[10:13] offset:8208
	ds_read_b128 v[18:21], v0 offset:8224
	s_waitcnt lgkmcnt(0)
	v_mul_f64 v[7:8], v[20:21], -v[16:17]
	v_mul_f64 v[20:21], v[20:21], v[14:15]
	v_fma_f64 v[7:8], v[14:15], v[18:19], v[7:8]
	v_fma_f64 v[14:15], v[16:17], v[18:19], v[20:21]
	v_add_f64 v[10:11], v[10:11], -v[7:8]
	v_add_f64 v[12:13], v[12:13], -v[14:15]
	ds_write_b128 v9, v[10:13] offset:8208
.LBB280_16:
	s_or_b64 exec, exec, s[0:1]
	s_waitcnt lgkmcnt(0)
	s_barrier
	ds_read2_b64 v[6:9], v6 offset1:1
	ds_read2_b64 v[10:13], v5 offset1:1
	s_waitcnt lgkmcnt(1)
	global_store_dwordx4 v[1:2], v[6:9], off
	s_waitcnt lgkmcnt(0)
	global_store_dwordx4 v[3:4], v[10:13], off
	s_endpgm
	.section	.rodata,"a",@progbits
	.p2align	6, 0x0
	.amdhsa_kernel _ZN9rocsparseL34gtsv_solve_spike_grid_level_kernelILj128E21rocsparse_complex_numIdEEEviiiPT0_PKS3_S6_
		.amdhsa_group_segment_fixed_size 12288
		.amdhsa_private_segment_fixed_size 0
		.amdhsa_kernarg_size 40
		.amdhsa_user_sgpr_count 6
		.amdhsa_user_sgpr_private_segment_buffer 1
		.amdhsa_user_sgpr_dispatch_ptr 0
		.amdhsa_user_sgpr_queue_ptr 0
		.amdhsa_user_sgpr_kernarg_segment_ptr 1
		.amdhsa_user_sgpr_dispatch_id 0
		.amdhsa_user_sgpr_flat_scratch_init 0
		.amdhsa_user_sgpr_private_segment_size 0
		.amdhsa_uses_dynamic_stack 0
		.amdhsa_system_sgpr_private_segment_wavefront_offset 0
		.amdhsa_system_sgpr_workgroup_id_x 1
		.amdhsa_system_sgpr_workgroup_id_y 1
		.amdhsa_system_sgpr_workgroup_id_z 0
		.amdhsa_system_sgpr_workgroup_info 0
		.amdhsa_system_vgpr_workitem_id 0
		.amdhsa_next_free_vgpr 65
		.amdhsa_next_free_sgpr 98
		.amdhsa_reserve_vcc 1
		.amdhsa_reserve_flat_scratch 0
		.amdhsa_float_round_mode_32 0
		.amdhsa_float_round_mode_16_64 0
		.amdhsa_float_denorm_mode_32 3
		.amdhsa_float_denorm_mode_16_64 3
		.amdhsa_dx10_clamp 1
		.amdhsa_ieee_mode 1
		.amdhsa_fp16_overflow 0
		.amdhsa_exception_fp_ieee_invalid_op 0
		.amdhsa_exception_fp_denorm_src 0
		.amdhsa_exception_fp_ieee_div_zero 0
		.amdhsa_exception_fp_ieee_overflow 0
		.amdhsa_exception_fp_ieee_underflow 0
		.amdhsa_exception_fp_ieee_inexact 0
		.amdhsa_exception_int_div_zero 0
	.end_amdhsa_kernel
	.section	.text._ZN9rocsparseL34gtsv_solve_spike_grid_level_kernelILj128E21rocsparse_complex_numIdEEEviiiPT0_PKS3_S6_,"axG",@progbits,_ZN9rocsparseL34gtsv_solve_spike_grid_level_kernelILj128E21rocsparse_complex_numIdEEEviiiPT0_PKS3_S6_,comdat
.Lfunc_end280:
	.size	_ZN9rocsparseL34gtsv_solve_spike_grid_level_kernelILj128E21rocsparse_complex_numIdEEEviiiPT0_PKS3_S6_, .Lfunc_end280-_ZN9rocsparseL34gtsv_solve_spike_grid_level_kernelILj128E21rocsparse_complex_numIdEEEviiiPT0_PKS3_S6_
                                        ; -- End function
	.set _ZN9rocsparseL34gtsv_solve_spike_grid_level_kernelILj128E21rocsparse_complex_numIdEEEviiiPT0_PKS3_S6_.num_vgpr, 63
	.set _ZN9rocsparseL34gtsv_solve_spike_grid_level_kernelILj128E21rocsparse_complex_numIdEEEviiiPT0_PKS3_S6_.num_agpr, 0
	.set _ZN9rocsparseL34gtsv_solve_spike_grid_level_kernelILj128E21rocsparse_complex_numIdEEEviiiPT0_PKS3_S6_.numbered_sgpr, 10
	.set _ZN9rocsparseL34gtsv_solve_spike_grid_level_kernelILj128E21rocsparse_complex_numIdEEEviiiPT0_PKS3_S6_.num_named_barrier, 0
	.set _ZN9rocsparseL34gtsv_solve_spike_grid_level_kernelILj128E21rocsparse_complex_numIdEEEviiiPT0_PKS3_S6_.private_seg_size, 0
	.set _ZN9rocsparseL34gtsv_solve_spike_grid_level_kernelILj128E21rocsparse_complex_numIdEEEviiiPT0_PKS3_S6_.uses_vcc, 1
	.set _ZN9rocsparseL34gtsv_solve_spike_grid_level_kernelILj128E21rocsparse_complex_numIdEEEviiiPT0_PKS3_S6_.uses_flat_scratch, 0
	.set _ZN9rocsparseL34gtsv_solve_spike_grid_level_kernelILj128E21rocsparse_complex_numIdEEEviiiPT0_PKS3_S6_.has_dyn_sized_stack, 0
	.set _ZN9rocsparseL34gtsv_solve_spike_grid_level_kernelILj128E21rocsparse_complex_numIdEEEviiiPT0_PKS3_S6_.has_recursion, 0
	.set _ZN9rocsparseL34gtsv_solve_spike_grid_level_kernelILj128E21rocsparse_complex_numIdEEEviiiPT0_PKS3_S6_.has_indirect_call, 0
	.section	.AMDGPU.csdata,"",@progbits
; Kernel info:
; codeLenInByte = 3648
; TotalNumSgprs: 14
; NumVgprs: 63
; ScratchSize: 0
; MemoryBound: 0
; FloatMode: 240
; IeeeMode: 1
; LDSByteSize: 12288 bytes/workgroup (compile time only)
; SGPRBlocks: 12
; VGPRBlocks: 16
; NumSGPRsForWavesPerEU: 102
; NumVGPRsForWavesPerEU: 65
; Occupancy: 3
; WaveLimiterHint : 0
; COMPUTE_PGM_RSRC2:SCRATCH_EN: 0
; COMPUTE_PGM_RSRC2:USER_SGPR: 6
; COMPUTE_PGM_RSRC2:TRAP_HANDLER: 0
; COMPUTE_PGM_RSRC2:TGID_X_EN: 1
; COMPUTE_PGM_RSRC2:TGID_Y_EN: 1
; COMPUTE_PGM_RSRC2:TGID_Z_EN: 0
; COMPUTE_PGM_RSRC2:TIDIG_COMP_CNT: 0
	.section	.text._ZN9rocsparseL34gtsv_solve_spike_grid_level_kernelILj256E21rocsparse_complex_numIdEEEviiiPT0_PKS3_S6_,"axG",@progbits,_ZN9rocsparseL34gtsv_solve_spike_grid_level_kernelILj256E21rocsparse_complex_numIdEEEviiiPT0_PKS3_S6_,comdat
	.globl	_ZN9rocsparseL34gtsv_solve_spike_grid_level_kernelILj256E21rocsparse_complex_numIdEEEviiiPT0_PKS3_S6_ ; -- Begin function _ZN9rocsparseL34gtsv_solve_spike_grid_level_kernelILj256E21rocsparse_complex_numIdEEEviiiPT0_PKS3_S6_
	.p2align	8
	.type	_ZN9rocsparseL34gtsv_solve_spike_grid_level_kernelILj256E21rocsparse_complex_numIdEEEviiiPT0_PKS3_S6_,@function
_ZN9rocsparseL34gtsv_solve_spike_grid_level_kernelILj256E21rocsparse_complex_numIdEEEviiiPT0_PKS3_S6_: ; @_ZN9rocsparseL34gtsv_solve_spike_grid_level_kernelILj256E21rocsparse_complex_numIdEEEviiiPT0_PKS3_S6_
; %bb.0:
	s_load_dwordx4 s[0:3], s[4:5], 0x10
	s_load_dwordx2 s[8:9], s[4:5], 0x20
	v_lshlrev_b32_e32 v7, 4, v0
	s_movk_i32 s4, 0x1000
	v_mov_b32_e32 v4, 0
	s_waitcnt lgkmcnt(0)
	v_mov_b32_e32 v1, s3
	v_add_co_u32_e32 v2, vcc, s2, v7
	v_addc_co_u32_e32 v3, vcc, 0, v1, vcc
	v_add_co_u32_e32 v1, vcc, s4, v2
	v_addc_co_u32_e32 v2, vcc, 0, v3, vcc
	global_load_dwordx4 v[8:11], v[1:2], off
	v_mov_b32_e32 v1, s9
	v_add_co_u32_e32 v5, vcc, s8, v7
	v_lshl_or_b32 v3, s7, 9, v0
	v_addc_co_u32_e32 v6, vcc, 0, v1, vcc
	v_lshlrev_b64 v[1:2], 4, v[3:4]
	v_or_b32_e32 v3, 0x100, v3
	v_mov_b32_e32 v20, s1
	v_add_co_u32_e32 v1, vcc, s0, v1
	v_lshlrev_b64 v[3:4], 4, v[3:4]
	v_addc_co_u32_e32 v2, vcc, v20, v2, vcc
	v_add_co_u32_e32 v3, vcc, s0, v3
	global_load_dwordx4 v[12:15], v7, s[2:3]
	global_load_dwordx4 v[16:19], v7, s[8:9]
	v_addc_co_u32_e32 v4, vcc, v20, v4, vcc
	global_load_dwordx4 v[20:23], v[1:2], off
	global_load_dwordx4 v[24:27], v[3:4], off
	v_add_co_u32_e32 v5, vcc, s4, v5
	v_addc_co_u32_e32 v6, vcc, 0, v6, vcc
	global_load_dwordx4 v[28:31], v[5:6], off
	v_or_b32_e32 v32, 0x2000, v7
	v_or_b32_e32 v6, 0x4000, v7
	;; [unrolled: 1-line block ×3, first 2 shown]
	s_mov_b32 s2, 2
	v_or_b32_e32 v33, 0x3000, v7
	v_or_b32_e32 v34, 0x1000, v7
	s_waitcnt vmcnt(4)
	ds_write2_b64 v32, v[12:13], v[14:15] offset1:1
	s_waitcnt vmcnt(3)
	ds_write2_b64 v7, v[16:17], v[18:19] offset1:1
	;; [unrolled: 2-line block ×4, first 2 shown]
	ds_write2_b64 v33, v[8:9], v[10:11] offset1:1
	s_waitcnt vmcnt(0)
	ds_write2_b64 v34, v[28:29], v[30:31] offset1:1
	s_waitcnt lgkmcnt(0)
	s_barrier
	s_branch .LBB281_2
.LBB281_1:                              ;   in Loop: Header=BB281_2 Depth=1
	s_or_b64 exec, exec, s[0:1]
	s_lshl_b32 s0, s2, 1
	s_cmpk_lt_u32 s2, 0x81
	s_mov_b32 s2, s0
	s_waitcnt lgkmcnt(0)
	s_barrier
	s_cbranch_scc0 .LBB281_4
.LBB281_2:                              ; =>This Inner Loop Header: Depth=1
	s_ff1_i32_b32 s0, s2
	s_lshr_b32 s0, 0x100, s0
	v_cmp_gt_u32_e32 vcc, s0, v0
	s_and_saveexec_b64 s[0:1], vcc
	s_cbranch_execz .LBB281_1
; %bb.3:                                ;   in Loop: Header=BB281_2 Depth=1
	v_mul_lo_u32 v32, s2, v0
	s_lshr_b32 s3, s2, 1
	v_add_u32_e32 v33, s3, v32
	v_lshlrev_b32_e32 v60, 4, v33
	ds_read_b128 v[8:11], v60 offset:8192
	ds_read_b128 v[12:15], v60 offset:4080
	ds_read_b128 v[16:19], v60
	ds_read_b128 v[20:23], v60 offset:12272
	v_add_lshl_u32 v62, v33, s3, 4
	v_lshlrev_b32_e32 v61, 4, v32
	s_waitcnt lgkmcnt(2)
	v_mul_f64 v[24:25], v[14:15], v[8:9]
	v_mul_f64 v[26:27], v[14:15], -v[10:11]
	s_waitcnt lgkmcnt(1)
	v_mul_f64 v[52:53], v[18:19], -v[14:15]
	v_mul_f64 v[54:55], v[12:13], v[18:19]
	s_waitcnt lgkmcnt(0)
	v_mul_f64 v[56:57], v[10:11], -v[22:23]
	v_fma_f64 v[24:25], v[10:11], v[12:13], v[24:25]
	v_fma_f64 v[26:27], v[8:9], v[12:13], v[26:27]
	v_add_f64 v[36:37], -v[24:25], 0
	v_add_f64 v[38:39], -v[26:27], 1.0
	v_mul_f64 v[24:25], v[36:37], v[36:37]
	v_fma_f64 v[58:59], v[38:39], 0, -v[36:37]
	v_fma_f64 v[36:37], v[36:37], 0, v[38:39]
	v_fma_f64 v[40:41], v[38:39], v[38:39], v[24:25]
	;; [unrolled: 1-line block ×3, first 2 shown]
	v_div_scale_f64 v[24:25], s[4:5], v[40:41], v[40:41], 1.0
	v_rcp_f64_e32 v[26:27], v[24:25]
	v_fma_f64 v[28:29], -v[24:25], v[26:27], 1.0
	v_fma_f64 v[26:27], v[26:27], v[28:29], v[26:27]
	v_div_scale_f64 v[28:29], vcc, 1.0, v[40:41], 1.0
	v_fma_f64 v[30:31], -v[24:25], v[26:27], 1.0
	v_fma_f64 v[26:27], v[26:27], v[30:31], v[26:27]
	v_mul_f64 v[30:31], v[28:29], v[26:27]
	v_fma_f64 v[24:25], -v[24:25], v[30:31], v[28:29]
	v_div_fmas_f64 v[42:43], v[24:25], v[26:27], v[30:31]
	ds_read_b128 v[24:27], v60 offset:16384
	ds_read_b128 v[28:31], v60 offset:20464
	;; [unrolled: 1-line block ×3, first 2 shown]
	s_waitcnt lgkmcnt(2)
	v_mul_f64 v[44:45], v[12:13], v[26:27]
	v_mul_f64 v[46:47], v[26:27], -v[14:15]
	s_waitcnt lgkmcnt(1)
	v_mul_f64 v[48:49], v[10:11], -v[30:31]
	v_mul_f64 v[50:51], v[10:11], v[28:29]
	v_mul_f64 v[10:11], v[10:11], v[20:21]
	v_fma_f64 v[44:45], v[14:15], v[24:25], v[44:45]
	v_fma_f64 v[14:15], v[14:15], v[16:17], v[54:55]
	v_fma_f64 v[48:49], v[28:29], v[8:9], v[48:49]
	v_div_fixup_f64 v[40:41], v[42:43], v[40:41], 1.0
	v_fma_f64 v[42:43], v[12:13], v[24:25], v[46:47]
	v_fma_f64 v[46:47], v[30:31], v[8:9], v[50:51]
	;; [unrolled: 1-line block ×3, first 2 shown]
	v_add_f64 v[12:13], v[30:31], -v[44:45]
	v_add_f64 v[44:45], v[24:25], -v[48:49]
	v_mul_f64 v[30:31], v[58:59], v[40:41]
	v_add_f64 v[28:29], v[28:29], -v[42:43]
	v_mul_f64 v[40:41], v[36:37], v[40:41]
	v_add_f64 v[42:43], v[26:27], -v[46:47]
	v_fma_f64 v[24:25], v[20:21], v[8:9], v[56:57]
	v_mul_f64 v[48:49], v[30:31], v[14:15]
	v_mul_f64 v[26:27], v[30:31], v[28:29]
	v_mul_f64 v[50:51], v[14:15], -v[40:41]
	v_mul_f64 v[14:15], v[30:31], v[10:11]
	v_mul_f64 v[52:53], v[10:11], -v[40:41]
	v_mul_f64 v[54:55], v[22:23], -v[30:31]
	v_mul_f64 v[22:23], v[40:41], v[22:23]
	v_mul_f64 v[8:9], v[30:31], -v[12:13]
	;; [unrolled: 3-line block ×3, first 2 shown]
	v_mul_f64 v[46:47], v[44:45], v[30:31]
	v_fma_f64 v[10:11], v[12:13], v[40:41], v[26:27]
	v_fma_f64 v[12:13], -v[40:41], v[24:25], v[14:15]
	v_fma_f64 v[14:15], -v[30:31], v[24:25], v[52:53]
	v_fma_f64 v[18:19], v[40:41], v[20:21], v[54:55]
	v_fma_f64 v[20:21], v[30:31], v[20:21], v[22:23]
	v_fma_f64 v[22:23], -v[40:41], v[38:39], v[48:49]
	v_fma_f64 v[24:25], -v[30:31], v[38:39], v[50:51]
	v_fma_f64 v[8:9], v[28:29], v[40:41], v[8:9]
	v_fma_f64 v[26:27], v[40:41], v[16:17], v[56:57]
	;; [unrolled: 1-line block ×5, first 2 shown]
	ds_write_b128 v60, v[12:15] offset:8192
	ds_write_b128 v60, v[18:21] offset:12272
	ds_read_b128 v[16:19], v61
	ds_read_b128 v[40:43], v61 offset:8192
	ds_write_b128 v60, v[22:25] offset:4080
	ds_write_b128 v60, v[26:29]
	ds_read_b128 v[20:23], v61
	ds_write_b128 v60, v[8:11] offset:20464
	ds_write_b128 v60, v[36:39] offset:16384
	s_waitcnt lgkmcnt(6)
	v_mul_f64 v[24:25], v[38:39], -v[18:19]
	v_mul_f64 v[30:31], v[38:39], v[16:17]
	ds_read_b128 v[8:11], v61 offset:16384
	s_waitcnt lgkmcnt(3)
	v_mul_f64 v[44:45], v[14:15], -v[22:23]
	v_mul_f64 v[14:15], v[14:15], v[20:21]
	v_mul_f64 v[38:39], v[28:29], v[22:23]
	v_mul_f64 v[28:29], v[28:29], -v[20:21]
	v_fma_f64 v[16:17], v[16:17], v[36:37], v[24:25]
	v_fma_f64 v[18:19], v[18:19], v[36:37], v[30:31]
	v_fma_f64 v[24:25], v[20:21], v[12:13], v[44:45]
	v_fma_f64 v[30:31], v[22:23], v[12:13], v[14:15]
	v_fma_f64 v[12:13], -v[20:21], v[26:27], v[38:39]
	v_fma_f64 v[14:15], -v[22:23], v[26:27], v[28:29]
	s_waitcnt lgkmcnt(0)
	v_add_f64 v[8:9], v[8:9], -v[16:17]
	v_add_f64 v[10:11], v[10:11], -v[18:19]
	ds_write_b128 v61, v[12:15]
	ds_write_b128 v61, v[8:11] offset:16384
	v_add_f64 v[16:17], v[40:41], -v[24:25]
	v_add_f64 v[18:19], v[42:43], -v[30:31]
	ds_read_b128 v[8:11], v60 offset:20464
	ds_read_b128 v[12:15], v60 offset:4080
	s_waitcnt lgkmcnt(1)
	v_mul_f64 v[36:37], v[10:11], -v[34:35]
	v_mul_f64 v[10:11], v[10:11], v[32:33]
	ds_write_b128 v61, v[16:19] offset:8192
	ds_read_b128 v[16:19], v62 offset:12272
	ds_read_b128 v[20:23], v62 offset:4080
	;; [unrolled: 1-line block ×4, first 2 shown]
	s_waitcnt lgkmcnt(3)
	v_mul_f64 v[38:39], v[18:19], -v[14:15]
	v_mul_f64 v[40:41], v[18:19], v[12:13]
	v_fma_f64 v[32:33], v[32:33], v[8:9], v[36:37]
	v_fma_f64 v[10:11], v[34:35], v[8:9], v[10:11]
	s_waitcnt lgkmcnt(1)
	v_mul_f64 v[42:43], v[18:19], v[26:27]
	v_mul_f64 v[26:27], v[26:27], -v[16:17]
	v_fma_f64 v[34:35], v[12:13], v[16:17], v[38:39]
	v_fma_f64 v[36:37], v[14:15], v[16:17], v[40:41]
	s_waitcnt lgkmcnt(0)
	v_add_f64 v[12:13], v[28:29], -v[32:33]
	v_add_f64 v[14:15], v[30:31], -v[10:11]
	v_fma_f64 v[8:9], -v[16:17], v[24:25], v[42:43]
	v_fma_f64 v[10:11], -v[18:19], v[24:25], v[26:27]
	v_add_f64 v[20:21], v[20:21], -v[34:35]
	v_add_f64 v[22:23], v[22:23], -v[36:37]
	ds_write_b128 v62, v[12:15] offset:20464
	ds_write_b128 v62, v[20:23] offset:4080
	;; [unrolled: 1-line block ×3, first 2 shown]
	s_branch .LBB281_1
.LBB281_4:
	v_cmp_gt_u32_e32 vcc, 2, v0
	v_lshlrev_b32_e32 v8, 7, v0
	s_and_saveexec_b64 s[0:1], vcc
	s_cbranch_execz .LBB281_6
; %bb.5:
	v_max_u32_e32 v9, 1, v8
	v_lshlrev_b32_e32 v40, 4, v9
	v_lshlrev_b32_e32 v39, 11, v0
	ds_read_b128 v[9:12], v40 offset:20464
	ds_read_b128 v[13:16], v39 offset:13296
	v_min_u32_e32 v17, 0x7f, v8
	v_lshlrev_b32_e32 v41, 4, v17
	ds_read_b128 v[17:20], v41 offset:18432
	ds_read_b128 v[21:24], v39 offset:9216
	;; [unrolled: 1-line block ×4, first 2 shown]
	s_waitcnt lgkmcnt(4)
	v_mul_f64 v[33:34], v[11:12], -v[15:16]
	v_mul_f64 v[11:12], v[11:12], v[13:14]
	s_waitcnt lgkmcnt(1)
	v_mul_f64 v[35:36], v[19:20], -v[27:28]
	v_mul_f64 v[19:20], v[19:20], v[25:26]
	v_fma_f64 v[33:34], v[13:14], v[9:10], v[33:34]
	v_fma_f64 v[37:38], v[15:16], v[9:10], v[11:12]
	ds_read_b128 v[9:12], v39 offset:21488
	ds_read_b128 v[13:16], v39 offset:17408
	v_fma_f64 v[25:26], v[25:26], v[17:18], v[35:36]
	v_fma_f64 v[17:18], v[27:28], v[17:18], v[19:20]
	s_waitcnt lgkmcnt(1)
	v_add_f64 v[9:10], v[9:10], -v[33:34]
	v_add_f64 v[11:12], v[11:12], -v[37:38]
	;; [unrolled: 1-line block ×4, first 2 shown]
	ds_write_b128 v39, v[9:12] offset:21488
	ds_read_b128 v[9:12], v40 offset:20464
	s_waitcnt lgkmcnt(0)
	v_mul_f64 v[17:18], v[11:12], -v[23:24]
	v_mul_f64 v[11:12], v[11:12], v[21:22]
	v_fma_f64 v[17:18], v[21:22], v[9:10], v[17:18]
	v_fma_f64 v[11:12], v[23:24], v[9:10], v[11:12]
	v_add_f64 v[9:10], v[13:14], -v[17:18]
	v_add_f64 v[11:12], v[15:16], -v[11:12]
	ds_write_b128 v39, v[9:12] offset:17408
	ds_read_b128 v[13:16], v41 offset:18432
	s_waitcnt lgkmcnt(0)
	v_mul_f64 v[17:18], v[15:16], -v[31:32]
	v_mul_f64 v[15:16], v[15:16], v[29:30]
	v_fma_f64 v[17:18], v[29:30], v[13:14], v[17:18]
	v_fma_f64 v[13:14], v[31:32], v[13:14], v[15:16]
	v_add_f64 v[9:10], v[9:10], -v[17:18]
	v_add_f64 v[11:12], v[11:12], -v[13:14]
	ds_write_b128 v39, v[9:12] offset:17408
.LBB281_6:
	s_or_b64 exec, exec, s[0:1]
	v_cmp_gt_u32_e32 vcc, 4, v0
	v_lshlrev_b32_e32 v10, 6, v0
	s_waitcnt lgkmcnt(0)
	s_barrier
	s_and_saveexec_b64 s[0:1], vcc
	s_cbranch_execz .LBB281_8
; %bb.7:
	v_max_u32_e32 v9, 1, v10
	v_lshlrev_b32_e32 v9, 4, v9
	v_lshlrev_b32_e32 v41, 10, v0
	ds_read_b128 v[11:14], v9 offset:20464
	ds_read_b128 v[15:18], v41 offset:12784
	v_min_u32_e32 v19, 0xbf, v10
	v_lshlrev_b32_e32 v42, 4, v19
	ds_read_b128 v[19:22], v42 offset:17408
	ds_read_b128 v[23:26], v41 offset:8704
	;; [unrolled: 1-line block ×4, first 2 shown]
	s_waitcnt lgkmcnt(4)
	v_mul_f64 v[35:36], v[13:14], -v[17:18]
	v_mul_f64 v[13:14], v[13:14], v[15:16]
	s_waitcnt lgkmcnt(1)
	v_mul_f64 v[37:38], v[21:22], -v[29:30]
	v_mul_f64 v[21:22], v[21:22], v[27:28]
	v_fma_f64 v[35:36], v[15:16], v[11:12], v[35:36]
	v_fma_f64 v[39:40], v[17:18], v[11:12], v[13:14]
	ds_read_b128 v[11:14], v41 offset:20976
	ds_read_b128 v[15:18], v41 offset:16896
	v_fma_f64 v[27:28], v[27:28], v[19:20], v[37:38]
	v_fma_f64 v[19:20], v[29:30], v[19:20], v[21:22]
	s_waitcnt lgkmcnt(1)
	v_add_f64 v[11:12], v[11:12], -v[35:36]
	v_add_f64 v[13:14], v[13:14], -v[39:40]
	;; [unrolled: 1-line block ×4, first 2 shown]
	ds_write_b128 v41, v[11:14] offset:20976
	ds_read_b128 v[11:14], v9 offset:20464
	s_waitcnt lgkmcnt(0)
	v_mul_f64 v[19:20], v[13:14], -v[25:26]
	v_mul_f64 v[13:14], v[13:14], v[23:24]
	v_fma_f64 v[19:20], v[23:24], v[11:12], v[19:20]
	v_fma_f64 v[13:14], v[25:26], v[11:12], v[13:14]
	v_add_f64 v[11:12], v[15:16], -v[19:20]
	v_add_f64 v[13:14], v[17:18], -v[13:14]
	ds_write_b128 v41, v[11:14] offset:16896
	ds_read_b128 v[15:18], v42 offset:17408
	s_waitcnt lgkmcnt(0)
	v_mul_f64 v[19:20], v[17:18], -v[33:34]
	v_mul_f64 v[17:18], v[17:18], v[31:32]
	v_fma_f64 v[19:20], v[31:32], v[15:16], v[19:20]
	v_fma_f64 v[15:16], v[33:34], v[15:16], v[17:18]
	v_add_f64 v[11:12], v[11:12], -v[19:20]
	v_add_f64 v[13:14], v[13:14], -v[15:16]
	ds_write_b128 v41, v[11:14] offset:16896
.LBB281_8:
	s_or_b64 exec, exec, s[0:1]
	v_cmp_gt_u32_e32 vcc, 8, v0
	v_lshlrev_b32_e32 v9, 5, v0
	s_waitcnt lgkmcnt(0)
	s_barrier
	s_and_saveexec_b64 s[0:1], vcc
	s_cbranch_execz .LBB281_10
; %bb.9:
	v_max_u32_e32 v11, 1, v9
	v_lshlrev_b32_e32 v42, 4, v11
	v_lshlrev_b32_e32 v41, 9, v0
	ds_read_b128 v[11:14], v42 offset:20464
	ds_read_b128 v[15:18], v41 offset:12528
	v_min_u32_e32 v19, 0xdf, v9
	v_lshlrev_b32_e32 v43, 4, v19
	ds_read_b128 v[19:22], v43 offset:16896
	ds_read_b128 v[23:26], v41 offset:8448
	;; [unrolled: 1-line block ×4, first 2 shown]
	s_waitcnt lgkmcnt(4)
	v_mul_f64 v[35:36], v[13:14], -v[17:18]
	v_mul_f64 v[13:14], v[13:14], v[15:16]
	s_waitcnt lgkmcnt(1)
	v_mul_f64 v[37:38], v[21:22], -v[29:30]
	v_mul_f64 v[21:22], v[21:22], v[27:28]
	v_fma_f64 v[35:36], v[15:16], v[11:12], v[35:36]
	v_fma_f64 v[39:40], v[17:18], v[11:12], v[13:14]
	ds_read_b128 v[11:14], v41 offset:20720
	ds_read_b128 v[15:18], v41 offset:16640
	v_fma_f64 v[27:28], v[27:28], v[19:20], v[37:38]
	v_fma_f64 v[19:20], v[29:30], v[19:20], v[21:22]
	s_waitcnt lgkmcnt(1)
	v_add_f64 v[11:12], v[11:12], -v[35:36]
	v_add_f64 v[13:14], v[13:14], -v[39:40]
	v_add_f64 v[11:12], v[11:12], -v[27:28]
	v_add_f64 v[13:14], v[13:14], -v[19:20]
	ds_write_b128 v41, v[11:14] offset:20720
	ds_read_b128 v[11:14], v42 offset:20464
	s_waitcnt lgkmcnt(0)
	v_mul_f64 v[19:20], v[13:14], -v[25:26]
	v_mul_f64 v[13:14], v[13:14], v[23:24]
	v_fma_f64 v[19:20], v[23:24], v[11:12], v[19:20]
	v_fma_f64 v[13:14], v[25:26], v[11:12], v[13:14]
	v_add_f64 v[11:12], v[15:16], -v[19:20]
	v_add_f64 v[13:14], v[17:18], -v[13:14]
	ds_write_b128 v41, v[11:14] offset:16640
	ds_read_b128 v[15:18], v43 offset:16896
	s_waitcnt lgkmcnt(0)
	v_mul_f64 v[19:20], v[17:18], -v[33:34]
	v_mul_f64 v[17:18], v[17:18], v[31:32]
	v_fma_f64 v[19:20], v[31:32], v[15:16], v[19:20]
	v_fma_f64 v[15:16], v[33:34], v[15:16], v[17:18]
	v_add_f64 v[11:12], v[11:12], -v[19:20]
	v_add_f64 v[13:14], v[13:14], -v[15:16]
	ds_write_b128 v41, v[11:14] offset:16640
.LBB281_10:
	s_or_b64 exec, exec, s[0:1]
	v_cmp_gt_u32_e32 vcc, 16, v0
	s_waitcnt lgkmcnt(0)
	s_barrier
	s_and_saveexec_b64 s[0:1], vcc
	s_cbranch_execz .LBB281_12
; %bb.11:
	v_max_u32_e32 v11, 1, v7
	v_lshlrev_b32_e32 v42, 4, v11
	v_lshlrev_b32_e32 v41, 8, v0
	ds_read_b128 v[11:14], v42 offset:20464
	ds_read_b128 v[15:18], v41 offset:12400
	v_min_u32_e32 v7, 0xef, v7
	v_lshlrev_b32_e32 v7, 4, v7
	ds_read_b128 v[19:22], v7 offset:16640
	ds_read_b128 v[23:26], v41 offset:8320
	;; [unrolled: 1-line block ×4, first 2 shown]
	s_waitcnt lgkmcnt(4)
	v_mul_f64 v[35:36], v[13:14], -v[17:18]
	v_mul_f64 v[13:14], v[13:14], v[15:16]
	s_waitcnt lgkmcnt(1)
	v_mul_f64 v[37:38], v[21:22], -v[29:30]
	v_mul_f64 v[21:22], v[21:22], v[27:28]
	v_fma_f64 v[35:36], v[15:16], v[11:12], v[35:36]
	v_fma_f64 v[39:40], v[17:18], v[11:12], v[13:14]
	ds_read_b128 v[11:14], v41 offset:20592
	ds_read_b128 v[15:18], v41 offset:16512
	v_fma_f64 v[27:28], v[27:28], v[19:20], v[37:38]
	v_fma_f64 v[19:20], v[29:30], v[19:20], v[21:22]
	s_waitcnt lgkmcnt(1)
	v_add_f64 v[11:12], v[11:12], -v[35:36]
	v_add_f64 v[13:14], v[13:14], -v[39:40]
	;; [unrolled: 1-line block ×4, first 2 shown]
	ds_write_b128 v41, v[11:14] offset:20592
	ds_read_b128 v[11:14], v42 offset:20464
	s_waitcnt lgkmcnt(0)
	v_mul_f64 v[19:20], v[13:14], -v[25:26]
	v_mul_f64 v[13:14], v[13:14], v[23:24]
	v_fma_f64 v[19:20], v[23:24], v[11:12], v[19:20]
	v_fma_f64 v[13:14], v[25:26], v[11:12], v[13:14]
	v_add_f64 v[11:12], v[15:16], -v[19:20]
	v_add_f64 v[13:14], v[17:18], -v[13:14]
	ds_write_b128 v41, v[11:14] offset:16512
	ds_read_b128 v[15:18], v7 offset:16640
	s_waitcnt lgkmcnt(0)
	v_mul_f64 v[19:20], v[17:18], -v[33:34]
	v_mul_f64 v[17:18], v[17:18], v[31:32]
	v_fma_f64 v[19:20], v[31:32], v[15:16], v[19:20]
	v_fma_f64 v[15:16], v[33:34], v[15:16], v[17:18]
	v_add_f64 v[11:12], v[11:12], -v[19:20]
	v_add_f64 v[13:14], v[13:14], -v[15:16]
	ds_write_b128 v41, v[11:14] offset:16512
.LBB281_12:
	s_or_b64 exec, exec, s[0:1]
	v_cmp_gt_u32_e32 vcc, 32, v0
	s_waitcnt lgkmcnt(0)
	s_barrier
	s_and_saveexec_b64 s[0:1], vcc
	s_cbranch_execz .LBB281_14
; %bb.13:
	v_lshlrev_b32_e32 v7, 3, v0
	v_max_u32_e32 v11, 1, v7
	v_lshlrev_b32_e32 v39, 4, v11
	ds_read_b128 v[11:14], v39 offset:20464
	ds_read_b128 v[15:18], v8 offset:12336
	v_min_u32_e32 v7, 0xf7, v7
	v_lshlrev_b32_e32 v7, 4, v7
	ds_read_b128 v[19:22], v7 offset:16512
	ds_read_b128 v[23:26], v8 offset:16448
	;; [unrolled: 1-line block ×4, first 2 shown]
	s_waitcnt lgkmcnt(4)
	v_mul_f64 v[35:36], v[13:14], -v[17:18]
	v_mul_f64 v[13:14], v[13:14], v[15:16]
	s_waitcnt lgkmcnt(1)
	v_mul_f64 v[37:38], v[21:22], -v[29:30]
	v_mul_f64 v[21:22], v[21:22], v[27:28]
	v_fma_f64 v[15:16], v[15:16], v[11:12], v[35:36]
	v_fma_f64 v[17:18], v[17:18], v[11:12], v[13:14]
	ds_read_b128 v[11:14], v8 offset:20528
	v_fma_f64 v[27:28], v[27:28], v[19:20], v[37:38]
	v_fma_f64 v[19:20], v[29:30], v[19:20], v[21:22]
	s_waitcnt lgkmcnt(0)
	v_add_f64 v[11:12], v[11:12], -v[15:16]
	v_add_f64 v[13:14], v[13:14], -v[17:18]
	;; [unrolled: 1-line block ×4, first 2 shown]
	ds_write_b128 v8, v[11:14] offset:20528
	ds_read_b128 v[11:14], v39 offset:20464
	ds_read_b128 v[15:18], v8 offset:64
	s_waitcnt lgkmcnt(1)
	v_mul_f64 v[19:20], v[13:14], -v[33:34]
	v_mul_f64 v[13:14], v[13:14], v[31:32]
	v_fma_f64 v[19:20], v[31:32], v[11:12], v[19:20]
	v_fma_f64 v[13:14], v[33:34], v[11:12], v[13:14]
	v_add_f64 v[11:12], v[23:24], -v[19:20]
	v_add_f64 v[13:14], v[25:26], -v[13:14]
	ds_write_b128 v8, v[11:14] offset:16448
	ds_read_b128 v[19:22], v7 offset:16512
	s_waitcnt lgkmcnt(0)
	v_mul_f64 v[23:24], v[21:22], -v[17:18]
	v_mul_f64 v[21:22], v[21:22], v[15:16]
	v_fma_f64 v[15:16], v[15:16], v[19:20], v[23:24]
	v_fma_f64 v[17:18], v[17:18], v[19:20], v[21:22]
	v_add_f64 v[11:12], v[11:12], -v[15:16]
	v_add_f64 v[13:14], v[13:14], -v[17:18]
	ds_write_b128 v8, v[11:14] offset:16448
.LBB281_14:
	s_or_b64 exec, exec, s[0:1]
	v_cmp_gt_u32_e32 vcc, 64, v0
	s_waitcnt lgkmcnt(0)
	s_barrier
	s_and_saveexec_b64 s[0:1], vcc
	s_cbranch_execz .LBB281_16
; %bb.15:
	v_lshlrev_b32_e32 v7, 2, v0
	v_max_u32_e32 v8, 1, v7
	v_lshlrev_b32_e32 v37, 4, v8
	ds_read_b128 v[11:14], v37 offset:20464
	ds_read_b128 v[15:18], v10 offset:12304
	v_min_u32_e32 v7, 0xfb, v7
	v_lshlrev_b32_e32 v38, 4, v7
	ds_read_b128 v[19:22], v38 offset:16448
	ds_read_b128 v[23:26], v10 offset:16416
	;; [unrolled: 1-line block ×4, first 2 shown]
	s_waitcnt lgkmcnt(4)
	v_mul_f64 v[7:8], v[13:14], -v[17:18]
	v_mul_f64 v[13:14], v[13:14], v[15:16]
	s_waitcnt lgkmcnt(1)
	v_mul_f64 v[35:36], v[21:22], -v[29:30]
	v_mul_f64 v[21:22], v[21:22], v[27:28]
	v_fma_f64 v[7:8], v[15:16], v[11:12], v[7:8]
	v_fma_f64 v[15:16], v[17:18], v[11:12], v[13:14]
	ds_read_b128 v[11:14], v10 offset:20496
	v_fma_f64 v[17:18], v[27:28], v[19:20], v[35:36]
	v_fma_f64 v[19:20], v[29:30], v[19:20], v[21:22]
	s_waitcnt lgkmcnt(0)
	v_add_f64 v[7:8], v[11:12], -v[7:8]
	v_add_f64 v[13:14], v[13:14], -v[15:16]
	;; [unrolled: 1-line block ×4, first 2 shown]
	ds_write_b128 v10, v[11:14] offset:20496
	ds_read_b128 v[11:14], v37 offset:20464
	ds_read_b128 v[15:18], v10 offset:32
	s_waitcnt lgkmcnt(1)
	v_mul_f64 v[7:8], v[13:14], -v[33:34]
	v_mul_f64 v[13:14], v[13:14], v[31:32]
	v_fma_f64 v[7:8], v[31:32], v[11:12], v[7:8]
	v_fma_f64 v[13:14], v[33:34], v[11:12], v[13:14]
	v_add_f64 v[11:12], v[23:24], -v[7:8]
	v_add_f64 v[13:14], v[25:26], -v[13:14]
	ds_write_b128 v10, v[11:14] offset:16416
	ds_read_b128 v[19:22], v38 offset:16448
	s_waitcnt lgkmcnt(0)
	v_mul_f64 v[7:8], v[21:22], -v[17:18]
	v_mul_f64 v[21:22], v[21:22], v[15:16]
	v_fma_f64 v[7:8], v[15:16], v[19:20], v[7:8]
	v_fma_f64 v[15:16], v[17:18], v[19:20], v[21:22]
	v_add_f64 v[11:12], v[11:12], -v[7:8]
	v_add_f64 v[13:14], v[13:14], -v[15:16]
	ds_write_b128 v10, v[11:14] offset:16416
.LBB281_16:
	s_or_b64 exec, exec, s[0:1]
	s_movk_i32 s0, 0x80
	v_cmp_gt_u32_e32 vcc, s0, v0
	s_waitcnt lgkmcnt(0)
	s_barrier
	s_and_saveexec_b64 s[0:1], vcc
	s_cbranch_execz .LBB281_18
; %bb.17:
	v_lshlrev_b32_e32 v0, 1, v0
	v_max_u32_e32 v7, 1, v0
	v_lshlrev_b32_e32 v36, 4, v7
	ds_read_b128 v[10:13], v36 offset:20464
	ds_read_b128 v[14:17], v9 offset:12288
	v_min_u32_e32 v0, 0xfd, v0
	v_lshlrev_b32_e32 v0, 4, v0
	ds_read_b128 v[18:21], v0 offset:16416
	ds_read_b128 v[22:25], v9 offset:16400
	;; [unrolled: 1-line block ×4, first 2 shown]
	s_waitcnt lgkmcnt(4)
	v_mul_f64 v[7:8], v[12:13], -v[16:17]
	v_mul_f64 v[12:13], v[12:13], v[14:15]
	s_waitcnt lgkmcnt(1)
	v_mul_f64 v[34:35], v[20:21], -v[28:29]
	v_mul_f64 v[20:21], v[20:21], v[26:27]
	v_fma_f64 v[7:8], v[14:15], v[10:11], v[7:8]
	v_fma_f64 v[14:15], v[16:17], v[10:11], v[12:13]
	ds_read_b128 v[10:13], v9 offset:20480
	v_fma_f64 v[16:17], v[26:27], v[18:19], v[34:35]
	v_fma_f64 v[18:19], v[28:29], v[18:19], v[20:21]
	s_waitcnt lgkmcnt(0)
	v_add_f64 v[7:8], v[10:11], -v[7:8]
	v_add_f64 v[12:13], v[12:13], -v[14:15]
	;; [unrolled: 1-line block ×4, first 2 shown]
	ds_write_b128 v9, v[10:13] offset:20480
	ds_read_b128 v[10:13], v36 offset:20464
	ds_read_b128 v[14:17], v9 offset:16
	s_waitcnt lgkmcnt(1)
	v_mul_f64 v[7:8], v[12:13], -v[32:33]
	v_mul_f64 v[12:13], v[12:13], v[30:31]
	v_fma_f64 v[7:8], v[30:31], v[10:11], v[7:8]
	v_fma_f64 v[12:13], v[32:33], v[10:11], v[12:13]
	v_add_f64 v[10:11], v[22:23], -v[7:8]
	v_add_f64 v[12:13], v[24:25], -v[12:13]
	ds_write_b128 v9, v[10:13] offset:16400
	ds_read_b128 v[18:21], v0 offset:16416
	s_waitcnt lgkmcnt(0)
	v_mul_f64 v[7:8], v[20:21], -v[16:17]
	v_mul_f64 v[20:21], v[20:21], v[14:15]
	v_fma_f64 v[7:8], v[14:15], v[18:19], v[7:8]
	v_fma_f64 v[14:15], v[16:17], v[18:19], v[20:21]
	v_add_f64 v[10:11], v[10:11], -v[7:8]
	v_add_f64 v[12:13], v[12:13], -v[14:15]
	ds_write_b128 v9, v[10:13] offset:16400
.LBB281_18:
	s_or_b64 exec, exec, s[0:1]
	s_waitcnt lgkmcnt(0)
	s_barrier
	ds_read2_b64 v[6:9], v6 offset1:1
	ds_read2_b64 v[10:13], v5 offset1:1
	s_waitcnt lgkmcnt(1)
	global_store_dwordx4 v[1:2], v[6:9], off
	s_waitcnt lgkmcnt(0)
	global_store_dwordx4 v[3:4], v[10:13], off
	s_endpgm
	.section	.rodata,"a",@progbits
	.p2align	6, 0x0
	.amdhsa_kernel _ZN9rocsparseL34gtsv_solve_spike_grid_level_kernelILj256E21rocsparse_complex_numIdEEEviiiPT0_PKS3_S6_
		.amdhsa_group_segment_fixed_size 24576
		.amdhsa_private_segment_fixed_size 0
		.amdhsa_kernarg_size 40
		.amdhsa_user_sgpr_count 6
		.amdhsa_user_sgpr_private_segment_buffer 1
		.amdhsa_user_sgpr_dispatch_ptr 0
		.amdhsa_user_sgpr_queue_ptr 0
		.amdhsa_user_sgpr_kernarg_segment_ptr 1
		.amdhsa_user_sgpr_dispatch_id 0
		.amdhsa_user_sgpr_flat_scratch_init 0
		.amdhsa_user_sgpr_private_segment_size 0
		.amdhsa_uses_dynamic_stack 0
		.amdhsa_system_sgpr_private_segment_wavefront_offset 0
		.amdhsa_system_sgpr_workgroup_id_x 1
		.amdhsa_system_sgpr_workgroup_id_y 1
		.amdhsa_system_sgpr_workgroup_id_z 0
		.amdhsa_system_sgpr_workgroup_info 0
		.amdhsa_system_vgpr_workitem_id 0
		.amdhsa_next_free_vgpr 85
		.amdhsa_next_free_sgpr 98
		.amdhsa_reserve_vcc 1
		.amdhsa_reserve_flat_scratch 0
		.amdhsa_float_round_mode_32 0
		.amdhsa_float_round_mode_16_64 0
		.amdhsa_float_denorm_mode_32 3
		.amdhsa_float_denorm_mode_16_64 3
		.amdhsa_dx10_clamp 1
		.amdhsa_ieee_mode 1
		.amdhsa_fp16_overflow 0
		.amdhsa_exception_fp_ieee_invalid_op 0
		.amdhsa_exception_fp_denorm_src 0
		.amdhsa_exception_fp_ieee_div_zero 0
		.amdhsa_exception_fp_ieee_overflow 0
		.amdhsa_exception_fp_ieee_underflow 0
		.amdhsa_exception_fp_ieee_inexact 0
		.amdhsa_exception_int_div_zero 0
	.end_amdhsa_kernel
	.section	.text._ZN9rocsparseL34gtsv_solve_spike_grid_level_kernelILj256E21rocsparse_complex_numIdEEEviiiPT0_PKS3_S6_,"axG",@progbits,_ZN9rocsparseL34gtsv_solve_spike_grid_level_kernelILj256E21rocsparse_complex_numIdEEEviiiPT0_PKS3_S6_,comdat
.Lfunc_end281:
	.size	_ZN9rocsparseL34gtsv_solve_spike_grid_level_kernelILj256E21rocsparse_complex_numIdEEEviiiPT0_PKS3_S6_, .Lfunc_end281-_ZN9rocsparseL34gtsv_solve_spike_grid_level_kernelILj256E21rocsparse_complex_numIdEEEviiiPT0_PKS3_S6_
                                        ; -- End function
	.set _ZN9rocsparseL34gtsv_solve_spike_grid_level_kernelILj256E21rocsparse_complex_numIdEEEviiiPT0_PKS3_S6_.num_vgpr, 63
	.set _ZN9rocsparseL34gtsv_solve_spike_grid_level_kernelILj256E21rocsparse_complex_numIdEEEviiiPT0_PKS3_S6_.num_agpr, 0
	.set _ZN9rocsparseL34gtsv_solve_spike_grid_level_kernelILj256E21rocsparse_complex_numIdEEEviiiPT0_PKS3_S6_.numbered_sgpr, 10
	.set _ZN9rocsparseL34gtsv_solve_spike_grid_level_kernelILj256E21rocsparse_complex_numIdEEEviiiPT0_PKS3_S6_.num_named_barrier, 0
	.set _ZN9rocsparseL34gtsv_solve_spike_grid_level_kernelILj256E21rocsparse_complex_numIdEEEviiiPT0_PKS3_S6_.private_seg_size, 0
	.set _ZN9rocsparseL34gtsv_solve_spike_grid_level_kernelILj256E21rocsparse_complex_numIdEEEviiiPT0_PKS3_S6_.uses_vcc, 1
	.set _ZN9rocsparseL34gtsv_solve_spike_grid_level_kernelILj256E21rocsparse_complex_numIdEEEviiiPT0_PKS3_S6_.uses_flat_scratch, 0
	.set _ZN9rocsparseL34gtsv_solve_spike_grid_level_kernelILj256E21rocsparse_complex_numIdEEEviiiPT0_PKS3_S6_.has_dyn_sized_stack, 0
	.set _ZN9rocsparseL34gtsv_solve_spike_grid_level_kernelILj256E21rocsparse_complex_numIdEEEviiiPT0_PKS3_S6_.has_recursion, 0
	.set _ZN9rocsparseL34gtsv_solve_spike_grid_level_kernelILj256E21rocsparse_complex_numIdEEEviiiPT0_PKS3_S6_.has_indirect_call, 0
	.section	.AMDGPU.csdata,"",@progbits
; Kernel info:
; codeLenInByte = 4060
; TotalNumSgprs: 14
; NumVgprs: 63
; ScratchSize: 0
; MemoryBound: 0
; FloatMode: 240
; IeeeMode: 1
; LDSByteSize: 24576 bytes/workgroup (compile time only)
; SGPRBlocks: 12
; VGPRBlocks: 21
; NumSGPRsForWavesPerEU: 102
; NumVGPRsForWavesPerEU: 85
; Occupancy: 2
; WaveLimiterHint : 0
; COMPUTE_PGM_RSRC2:SCRATCH_EN: 0
; COMPUTE_PGM_RSRC2:USER_SGPR: 6
; COMPUTE_PGM_RSRC2:TRAP_HANDLER: 0
; COMPUTE_PGM_RSRC2:TGID_X_EN: 1
; COMPUTE_PGM_RSRC2:TGID_Y_EN: 1
; COMPUTE_PGM_RSRC2:TGID_Z_EN: 0
; COMPUTE_PGM_RSRC2:TIDIG_COMP_CNT: 0
	.section	.text._ZN9rocsparseL34gtsv_solve_spike_grid_level_kernelILj512E21rocsparse_complex_numIdEEEviiiPT0_PKS3_S6_,"axG",@progbits,_ZN9rocsparseL34gtsv_solve_spike_grid_level_kernelILj512E21rocsparse_complex_numIdEEEviiiPT0_PKS3_S6_,comdat
	.globl	_ZN9rocsparseL34gtsv_solve_spike_grid_level_kernelILj512E21rocsparse_complex_numIdEEEviiiPT0_PKS3_S6_ ; -- Begin function _ZN9rocsparseL34gtsv_solve_spike_grid_level_kernelILj512E21rocsparse_complex_numIdEEEviiiPT0_PKS3_S6_
	.p2align	8
	.type	_ZN9rocsparseL34gtsv_solve_spike_grid_level_kernelILj512E21rocsparse_complex_numIdEEEviiiPT0_PKS3_S6_,@function
_ZN9rocsparseL34gtsv_solve_spike_grid_level_kernelILj512E21rocsparse_complex_numIdEEEviiiPT0_PKS3_S6_: ; @_ZN9rocsparseL34gtsv_solve_spike_grid_level_kernelILj512E21rocsparse_complex_numIdEEEviiiPT0_PKS3_S6_
; %bb.0:
	s_load_dwordx4 s[0:3], s[4:5], 0x10
	s_load_dwordx2 s[8:9], s[4:5], 0x20
	v_lshlrev_b32_e32 v7, 4, v0
	s_movk_i32 s4, 0x2000
	v_mov_b32_e32 v4, 0
	s_waitcnt lgkmcnt(0)
	v_mov_b32_e32 v1, s3
	v_add_co_u32_e32 v2, vcc, s2, v7
	v_addc_co_u32_e32 v3, vcc, 0, v1, vcc
	v_add_co_u32_e32 v1, vcc, s4, v2
	v_addc_co_u32_e32 v2, vcc, 0, v3, vcc
	global_load_dwordx4 v[8:11], v[1:2], off
	v_mov_b32_e32 v1, s9
	v_add_co_u32_e32 v5, vcc, s8, v7
	v_lshl_or_b32 v3, s7, 10, v0
	v_addc_co_u32_e32 v6, vcc, 0, v1, vcc
	v_lshlrev_b64 v[1:2], 4, v[3:4]
	v_or_b32_e32 v3, 0x200, v3
	v_mov_b32_e32 v20, s1
	v_add_co_u32_e32 v1, vcc, s0, v1
	v_lshlrev_b64 v[3:4], 4, v[3:4]
	v_addc_co_u32_e32 v2, vcc, v20, v2, vcc
	v_add_co_u32_e32 v3, vcc, s0, v3
	global_load_dwordx4 v[12:15], v7, s[2:3]
	global_load_dwordx4 v[16:19], v7, s[8:9]
	v_addc_co_u32_e32 v4, vcc, v20, v4, vcc
	global_load_dwordx4 v[20:23], v[1:2], off
	global_load_dwordx4 v[24:27], v[3:4], off
	v_add_co_u32_e32 v5, vcc, s4, v5
	v_addc_co_u32_e32 v6, vcc, 0, v6, vcc
	global_load_dwordx4 v[28:31], v[5:6], off
	v_or_b32_e32 v32, 0x4000, v7
	v_or_b32_e32 v6, 0x8000, v7
	v_or_b32_e32 v5, 0xa000, v7
	s_mov_b32 s2, 2
	v_or_b32_e32 v33, 0x6000, v7
	v_or_b32_e32 v34, 0x2000, v7
	s_waitcnt vmcnt(4)
	ds_write2_b64 v32, v[12:13], v[14:15] offset1:1
	s_waitcnt vmcnt(3)
	ds_write2_b64 v7, v[16:17], v[18:19] offset1:1
	;; [unrolled: 2-line block ×4, first 2 shown]
	ds_write2_b64 v33, v[8:9], v[10:11] offset1:1
	s_waitcnt vmcnt(0)
	ds_write2_b64 v34, v[28:29], v[30:31] offset1:1
	s_waitcnt lgkmcnt(0)
	s_barrier
	s_branch .LBB282_2
.LBB282_1:                              ;   in Loop: Header=BB282_2 Depth=1
	s_or_b64 exec, exec, s[0:1]
	s_lshl_b32 s0, s2, 1
	s_cmpk_lt_u32 s2, 0x101
	s_mov_b32 s2, s0
	s_waitcnt lgkmcnt(0)
	s_barrier
	s_cbranch_scc0 .LBB282_4
.LBB282_2:                              ; =>This Inner Loop Header: Depth=1
	s_ff1_i32_b32 s0, s2
	s_lshr_b32 s0, 0x200, s0
	v_cmp_gt_u32_e32 vcc, s0, v0
	s_and_saveexec_b64 s[0:1], vcc
	s_cbranch_execz .LBB282_1
; %bb.3:                                ;   in Loop: Header=BB282_2 Depth=1
	v_mul_lo_u32 v43, s2, v0
	s_lshr_b32 s3, s2, 1
	v_add_u32_e32 v59, s3, v43
	v_lshlrev_b32_e32 v8, 4, v59
	ds_read_b128 v[9:12], v8 offset:8176
	ds_read_b128 v[13:16], v8 offset:16384
	v_lshlrev_b32_e32 v60, 4, v43
	s_waitcnt lgkmcnt(0)
	v_mul_f64 v[17:18], v[11:12], v[13:14]
	v_mul_f64 v[19:20], v[11:12], -v[15:16]
	v_fma_f64 v[17:18], v[15:16], v[9:10], v[17:18]
	v_fma_f64 v[19:20], v[13:14], v[9:10], v[19:20]
	v_add_f64 v[25:26], -v[17:18], 0
	v_add_f64 v[27:28], -v[19:20], 1.0
	v_mul_f64 v[17:18], v[25:26], v[25:26]
	v_fma_f64 v[41:42], v[27:28], 0, -v[25:26]
	v_fma_f64 v[25:26], v[25:26], 0, v[27:28]
	v_fma_f64 v[29:30], v[27:28], v[27:28], v[17:18]
	v_div_scale_f64 v[17:18], s[4:5], v[29:30], v[29:30], 1.0
	v_rcp_f64_e32 v[19:20], v[17:18]
	v_fma_f64 v[21:22], -v[17:18], v[19:20], 1.0
	v_fma_f64 v[19:20], v[19:20], v[21:22], v[19:20]
	v_div_scale_f64 v[21:22], vcc, 1.0, v[29:30], 1.0
	v_fma_f64 v[23:24], -v[17:18], v[19:20], 1.0
	v_fma_f64 v[19:20], v[19:20], v[23:24], v[19:20]
	v_mul_f64 v[23:24], v[21:22], v[19:20]
	v_fma_f64 v[17:18], -v[17:18], v[23:24], v[21:22]
	v_div_fmas_f64 v[31:32], v[17:18], v[19:20], v[23:24]
	ds_read_b128 v[17:20], v8 offset:32768
	ds_read_b128 v[21:24], v8 offset:40944
	s_waitcnt lgkmcnt(1)
	v_mul_f64 v[33:34], v[9:10], v[19:20]
	v_mul_f64 v[35:36], v[19:20], -v[11:12]
	s_waitcnt lgkmcnt(0)
	v_mul_f64 v[37:38], v[15:16], v[21:22]
	v_mul_f64 v[39:40], v[15:16], -v[23:24]
	v_fma_f64 v[33:34], v[11:12], v[17:18], v[33:34]
	v_div_fixup_f64 v[29:30], v[31:32], v[29:30], 1.0
	v_fma_f64 v[31:32], v[9:10], v[17:18], v[35:36]
	v_fma_f64 v[35:36], v[23:24], v[13:14], v[37:38]
	;; [unrolled: 1-line block ×3, first 2 shown]
	v_add_f64 v[23:24], v[23:24], -v[33:34]
	v_mul_f64 v[39:40], v[41:42], v[29:30]
	v_add_f64 v[21:22], v[21:22], -v[31:32]
	v_add_f64 v[27:28], v[19:20], -v[35:36]
	;; [unrolled: 1-line block ×3, first 2 shown]
	v_mul_f64 v[37:38], v[25:26], v[29:30]
	ds_read_b128 v[33:36], v60
	v_mul_f64 v[17:18], v[39:40], -v[23:24]
	v_mul_f64 v[19:20], v[39:40], v[21:22]
	v_mul_f64 v[25:26], v[39:40], -v[27:28]
	v_mul_f64 v[29:30], v[31:32], v[39:40]
	v_fma_f64 v[17:18], v[21:22], v[37:38], v[17:18]
	v_fma_f64 v[19:20], v[23:24], v[37:38], v[19:20]
	ds_read_b128 v[21:24], v8
	v_fma_f64 v[25:26], v[31:32], v[37:38], v[25:26]
	v_fma_f64 v[27:28], v[27:28], v[37:38], v[29:30]
	ds_read_b128 v[29:32], v8 offset:24560
	s_waitcnt lgkmcnt(1)
	v_mul_f64 v[41:42], v[9:10], v[23:24]
	v_mul_f64 v[45:46], v[23:24], -v[11:12]
	v_mul_f64 v[47:48], v[23:24], -v[39:40]
	s_waitcnt lgkmcnt(0)
	v_mul_f64 v[43:44], v[15:16], v[29:30]
	v_mul_f64 v[15:16], v[15:16], -v[31:32]
	v_mul_f64 v[23:24], v[37:38], v[23:24]
	v_mul_f64 v[49:50], v[31:32], -v[39:40]
	ds_write_b128 v8, v[17:20] offset:40944
	v_fma_f64 v[11:12], v[11:12], v[21:22], v[41:42]
	v_fma_f64 v[45:46], v[9:10], v[21:22], v[45:46]
	;; [unrolled: 1-line block ×4, first 2 shown]
	v_mul_f64 v[31:32], v[37:38], v[31:32]
	v_fma_f64 v[55:56], v[29:30], v[13:14], v[15:16]
	ds_write_b128 v8, v[25:28] offset:32768
	ds_read_b128 v[17:20], v60 offset:32768
	v_mul_f64 v[51:52], v[39:40], v[11:12]
	v_mul_f64 v[53:54], v[11:12], -v[37:38]
	v_fma_f64 v[11:12], v[39:40], v[21:22], v[23:24]
	v_mul_f64 v[57:58], v[39:40], v[43:44]
	v_mul_f64 v[43:44], v[43:44], -v[37:38]
	v_fma_f64 v[21:22], v[37:38], v[29:30], v[49:50]
	v_fma_f64 v[23:24], v[39:40], v[29:30], v[31:32]
	v_mul_f64 v[41:42], v[27:28], -v[35:36]
	v_fma_f64 v[13:14], -v[37:38], v[45:46], v[51:52]
	v_fma_f64 v[15:16], -v[39:40], v[45:46], v[53:54]
	v_add_lshl_u32 v45, v59, s3, 4
	v_fma_f64 v[29:30], -v[37:38], v[55:56], v[57:58]
	v_fma_f64 v[31:32], -v[39:40], v[55:56], v[43:44]
	ds_write_b128 v8, v[9:12]
	ds_write_b128 v8, v[13:16] offset:8176
	ds_read_b128 v[13:16], v60
	ds_read_b128 v[37:40], v45 offset:24560
	v_mul_f64 v[27:28], v[27:28], v[33:34]
	ds_write_b128 v8, v[21:24] offset:24560
	ds_write_b128 v8, v[29:32] offset:16384
	v_fma_f64 v[33:34], v[33:34], v[25:26], v[41:42]
	s_waitcnt lgkmcnt(3)
	v_mul_f64 v[43:44], v[31:32], -v[15:16]
	v_mul_f64 v[31:32], v[31:32], v[13:14]
	ds_read_b128 v[21:24], v60 offset:16384
	v_fma_f64 v[25:26], v[35:36], v[25:26], v[27:28]
	v_mul_f64 v[27:28], v[11:12], v[15:16]
	v_mul_f64 v[35:36], v[11:12], -v[13:14]
	v_fma_f64 v[41:42], v[13:14], v[29:30], v[43:44]
	v_fma_f64 v[29:30], v[15:16], v[29:30], v[31:32]
	v_add_f64 v[17:18], v[17:18], -v[33:34]
	v_add_f64 v[19:20], v[19:20], -v[25:26]
	v_fma_f64 v[11:12], -v[13:14], v[9:10], v[27:28]
	v_fma_f64 v[13:14], -v[15:16], v[9:10], v[35:36]
	s_waitcnt lgkmcnt(0)
	v_add_f64 v[21:22], v[21:22], -v[41:42]
	v_add_f64 v[23:24], v[23:24], -v[29:30]
	ds_write_b128 v60, v[17:20] offset:32768
	ds_read_b128 v[15:18], v8 offset:40944
	ds_write_b128 v60, v[11:14]
	ds_read_b128 v[9:12], v8 offset:8176
	ds_write_b128 v60, v[21:24] offset:16384
	ds_read_b128 v[19:22], v45 offset:24560
	s_waitcnt lgkmcnt(4)
	v_mul_f64 v[13:14], v[17:18], -v[39:40]
	v_mul_f64 v[17:18], v[17:18], v[37:38]
	ds_read_b128 v[23:26], v45 offset:8176
	ds_read_b128 v[27:30], v8 offset:24560
	;; [unrolled: 1-line block ×3, first 2 shown]
	s_waitcnt lgkmcnt(3)
	v_mul_f64 v[35:36], v[21:22], -v[11:12]
	v_mul_f64 v[41:42], v[21:22], v[9:10]
	v_fma_f64 v[13:14], v[37:38], v[15:16], v[13:14]
	v_fma_f64 v[15:16], v[39:40], v[15:16], v[17:18]
	s_waitcnt lgkmcnt(1)
	v_mul_f64 v[17:18], v[21:22], v[29:30]
	v_mul_f64 v[29:30], v[29:30], -v[19:20]
	v_fma_f64 v[35:36], v[9:10], v[19:20], v[35:36]
	v_fma_f64 v[37:38], v[11:12], v[19:20], v[41:42]
	s_waitcnt lgkmcnt(0)
	v_add_f64 v[8:9], v[31:32], -v[13:14]
	v_add_f64 v[10:11], v[33:34], -v[15:16]
	v_fma_f64 v[12:13], -v[19:20], v[27:28], v[17:18]
	v_fma_f64 v[14:15], -v[21:22], v[27:28], v[29:30]
	v_add_f64 v[16:17], v[23:24], -v[35:36]
	v_add_f64 v[18:19], v[25:26], -v[37:38]
	ds_write_b128 v45, v[8:11] offset:40944
	ds_write_b128 v45, v[16:19] offset:8176
	;; [unrolled: 1-line block ×3, first 2 shown]
	s_branch .LBB282_1
.LBB282_4:
	v_cmp_gt_u32_e32 vcc, 2, v0
	v_lshlrev_b32_e32 v8, 8, v0
	s_and_saveexec_b64 s[0:1], vcc
	s_cbranch_execz .LBB282_6
; %bb.5:
	v_max_u32_e32 v9, 1, v8
	v_lshlrev_b32_e32 v40, 4, v9
	v_lshlrev_b32_e32 v39, 12, v0
	ds_read_b128 v[9:12], v40 offset:40944
	ds_read_b128 v[13:16], v39 offset:26608
	v_min_u32_e32 v17, 0xff, v8
	v_lshlrev_b32_e32 v41, 4, v17
	ds_read_b128 v[17:20], v41 offset:36864
	ds_read_b128 v[21:24], v39 offset:18432
	ds_read_b128 v[25:28], v39 offset:10224
	ds_read_b128 v[29:32], v39 offset:2048
	s_waitcnt lgkmcnt(4)
	v_mul_f64 v[33:34], v[11:12], -v[15:16]
	v_mul_f64 v[11:12], v[11:12], v[13:14]
	s_waitcnt lgkmcnt(1)
	v_mul_f64 v[35:36], v[19:20], -v[27:28]
	v_mul_f64 v[19:20], v[19:20], v[25:26]
	v_fma_f64 v[33:34], v[13:14], v[9:10], v[33:34]
	v_fma_f64 v[37:38], v[15:16], v[9:10], v[11:12]
	ds_read_b128 v[9:12], v39 offset:42992
	ds_read_b128 v[13:16], v39 offset:34816
	v_fma_f64 v[25:26], v[25:26], v[17:18], v[35:36]
	v_fma_f64 v[17:18], v[27:28], v[17:18], v[19:20]
	s_waitcnt lgkmcnt(1)
	v_add_f64 v[9:10], v[9:10], -v[33:34]
	v_add_f64 v[11:12], v[11:12], -v[37:38]
	v_add_f64 v[9:10], v[9:10], -v[25:26]
	v_add_f64 v[11:12], v[11:12], -v[17:18]
	ds_write_b128 v39, v[9:12] offset:42992
	ds_read_b128 v[9:12], v40 offset:40944
	s_waitcnt lgkmcnt(0)
	v_mul_f64 v[17:18], v[11:12], -v[23:24]
	v_mul_f64 v[11:12], v[11:12], v[21:22]
	v_fma_f64 v[17:18], v[21:22], v[9:10], v[17:18]
	v_fma_f64 v[11:12], v[23:24], v[9:10], v[11:12]
	v_add_f64 v[9:10], v[13:14], -v[17:18]
	v_add_f64 v[11:12], v[15:16], -v[11:12]
	ds_write_b128 v39, v[9:12] offset:34816
	ds_read_b128 v[13:16], v41 offset:36864
	s_waitcnt lgkmcnt(0)
	v_mul_f64 v[17:18], v[15:16], -v[31:32]
	v_mul_f64 v[15:16], v[15:16], v[29:30]
	v_fma_f64 v[17:18], v[29:30], v[13:14], v[17:18]
	v_fma_f64 v[13:14], v[31:32], v[13:14], v[15:16]
	v_add_f64 v[9:10], v[9:10], -v[17:18]
	v_add_f64 v[11:12], v[11:12], -v[13:14]
	ds_write_b128 v39, v[9:12] offset:34816
.LBB282_6:
	s_or_b64 exec, exec, s[0:1]
	v_cmp_gt_u32_e32 vcc, 4, v0
	v_lshlrev_b32_e32 v9, 7, v0
	s_waitcnt lgkmcnt(0)
	s_barrier
	s_and_saveexec_b64 s[0:1], vcc
	s_cbranch_execz .LBB282_8
; %bb.7:
	v_max_u32_e32 v10, 1, v9
	v_lshlrev_b32_e32 v41, 4, v10
	v_lshlrev_b32_e32 v40, 11, v0
	ds_read_b128 v[10:13], v41 offset:40944
	ds_read_b128 v[14:17], v40 offset:25584
	v_min_u32_e32 v18, 0x17f, v9
	v_lshlrev_b32_e32 v42, 4, v18
	ds_read_b128 v[18:21], v42 offset:34816
	ds_read_b128 v[22:25], v40 offset:17408
	ds_read_b128 v[26:29], v40 offset:9200
	ds_read_b128 v[30:33], v40 offset:1024
	s_waitcnt lgkmcnt(4)
	v_mul_f64 v[34:35], v[12:13], -v[16:17]
	v_mul_f64 v[12:13], v[12:13], v[14:15]
	s_waitcnt lgkmcnt(1)
	v_mul_f64 v[36:37], v[20:21], -v[28:29]
	v_mul_f64 v[20:21], v[20:21], v[26:27]
	v_fma_f64 v[34:35], v[14:15], v[10:11], v[34:35]
	v_fma_f64 v[38:39], v[16:17], v[10:11], v[12:13]
	ds_read_b128 v[10:13], v40 offset:41968
	ds_read_b128 v[14:17], v40 offset:33792
	v_fma_f64 v[26:27], v[26:27], v[18:19], v[36:37]
	v_fma_f64 v[18:19], v[28:29], v[18:19], v[20:21]
	s_waitcnt lgkmcnt(1)
	v_add_f64 v[10:11], v[10:11], -v[34:35]
	v_add_f64 v[12:13], v[12:13], -v[38:39]
	v_add_f64 v[10:11], v[10:11], -v[26:27]
	v_add_f64 v[12:13], v[12:13], -v[18:19]
	ds_write_b128 v40, v[10:13] offset:41968
	ds_read_b128 v[10:13], v41 offset:40944
	s_waitcnt lgkmcnt(0)
	v_mul_f64 v[18:19], v[12:13], -v[24:25]
	v_mul_f64 v[12:13], v[12:13], v[22:23]
	v_fma_f64 v[18:19], v[22:23], v[10:11], v[18:19]
	v_fma_f64 v[12:13], v[24:25], v[10:11], v[12:13]
	v_add_f64 v[10:11], v[14:15], -v[18:19]
	v_add_f64 v[12:13], v[16:17], -v[12:13]
	ds_write_b128 v40, v[10:13] offset:33792
	ds_read_b128 v[14:17], v42 offset:34816
	s_waitcnt lgkmcnt(0)
	v_mul_f64 v[18:19], v[16:17], -v[32:33]
	v_mul_f64 v[16:17], v[16:17], v[30:31]
	v_fma_f64 v[18:19], v[30:31], v[14:15], v[18:19]
	v_fma_f64 v[14:15], v[32:33], v[14:15], v[16:17]
	v_add_f64 v[10:11], v[10:11], -v[18:19]
	v_add_f64 v[12:13], v[12:13], -v[14:15]
	ds_write_b128 v40, v[10:13] offset:33792
.LBB282_8:
	s_or_b64 exec, exec, s[0:1]
	v_cmp_gt_u32_e32 vcc, 8, v0
	v_lshlrev_b32_e32 v10, 6, v0
	s_waitcnt lgkmcnt(0)
	s_barrier
	;; [unrolled: 56-line block ×3, first 2 shown]
	s_and_saveexec_b64 s[0:1], vcc
	s_cbranch_execz .LBB282_12
; %bb.11:
	v_max_u32_e32 v12, 1, v11
	v_lshlrev_b32_e32 v43, 4, v12
	v_lshlrev_b32_e32 v42, 9, v0
	ds_read_b128 v[12:15], v43 offset:40944
	ds_read_b128 v[16:19], v42 offset:24816
	v_min_u32_e32 v20, 0x1df, v11
	v_lshlrev_b32_e32 v44, 4, v20
	ds_read_b128 v[20:23], v44 offset:33280
	ds_read_b128 v[24:27], v42 offset:16640
	;; [unrolled: 1-line block ×4, first 2 shown]
	s_waitcnt lgkmcnt(4)
	v_mul_f64 v[36:37], v[14:15], -v[18:19]
	v_mul_f64 v[14:15], v[14:15], v[16:17]
	s_waitcnt lgkmcnt(1)
	v_mul_f64 v[38:39], v[22:23], -v[30:31]
	v_mul_f64 v[22:23], v[22:23], v[28:29]
	v_fma_f64 v[36:37], v[16:17], v[12:13], v[36:37]
	v_fma_f64 v[40:41], v[18:19], v[12:13], v[14:15]
	ds_read_b128 v[12:15], v42 offset:41200
	ds_read_b128 v[16:19], v42 offset:33024
	v_fma_f64 v[28:29], v[28:29], v[20:21], v[38:39]
	v_fma_f64 v[20:21], v[30:31], v[20:21], v[22:23]
	s_waitcnt lgkmcnt(1)
	v_add_f64 v[12:13], v[12:13], -v[36:37]
	v_add_f64 v[14:15], v[14:15], -v[40:41]
	;; [unrolled: 1-line block ×4, first 2 shown]
	ds_write_b128 v42, v[12:15] offset:41200
	ds_read_b128 v[12:15], v43 offset:40944
	s_waitcnt lgkmcnt(0)
	v_mul_f64 v[20:21], v[14:15], -v[26:27]
	v_mul_f64 v[14:15], v[14:15], v[24:25]
	v_fma_f64 v[20:21], v[24:25], v[12:13], v[20:21]
	v_fma_f64 v[14:15], v[26:27], v[12:13], v[14:15]
	v_add_f64 v[12:13], v[16:17], -v[20:21]
	v_add_f64 v[14:15], v[18:19], -v[14:15]
	ds_write_b128 v42, v[12:15] offset:33024
	ds_read_b128 v[16:19], v44 offset:33280
	s_waitcnt lgkmcnt(0)
	v_mul_f64 v[20:21], v[18:19], -v[34:35]
	v_mul_f64 v[18:19], v[18:19], v[32:33]
	v_fma_f64 v[20:21], v[32:33], v[16:17], v[20:21]
	v_fma_f64 v[16:17], v[34:35], v[16:17], v[18:19]
	v_add_f64 v[12:13], v[12:13], -v[20:21]
	v_add_f64 v[14:15], v[14:15], -v[16:17]
	ds_write_b128 v42, v[12:15] offset:33024
.LBB282_12:
	s_or_b64 exec, exec, s[0:1]
	v_cmp_gt_u32_e32 vcc, 32, v0
	s_waitcnt lgkmcnt(0)
	s_barrier
	s_and_saveexec_b64 s[0:1], vcc
	s_cbranch_execz .LBB282_14
; %bb.13:
	v_max_u32_e32 v12, 1, v7
	v_lshlrev_b32_e32 v36, 4, v12
	ds_read_b128 v[12:15], v36 offset:40944
	ds_read_b128 v[16:19], v8 offset:24688
	v_min_u32_e32 v7, 0x1ef, v7
	v_lshlrev_b32_e32 v7, 4, v7
	ds_read_b128 v[20:23], v7 offset:33024
	ds_read_b128 v[24:27], v8 offset:16512
	;; [unrolled: 1-line block ×3, first 2 shown]
	s_waitcnt lgkmcnt(3)
	v_mul_f64 v[32:33], v[14:15], -v[18:19]
	v_mul_f64 v[14:15], v[14:15], v[16:17]
	v_fma_f64 v[16:17], v[16:17], v[12:13], v[32:33]
	v_fma_f64 v[18:19], v[18:19], v[12:13], v[14:15]
	ds_read_b128 v[12:15], v8 offset:41072
	s_waitcnt lgkmcnt(1)
	v_mul_f64 v[34:35], v[22:23], -v[30:31]
	v_mul_f64 v[22:23], v[22:23], v[28:29]
	s_waitcnt lgkmcnt(0)
	v_add_f64 v[12:13], v[12:13], -v[16:17]
	v_add_f64 v[14:15], v[14:15], -v[18:19]
	v_fma_f64 v[28:29], v[28:29], v[20:21], v[34:35]
	v_fma_f64 v[20:21], v[30:31], v[20:21], v[22:23]
	v_add_f64 v[12:13], v[12:13], -v[28:29]
	v_add_f64 v[14:15], v[14:15], -v[20:21]
	ds_write_b128 v8, v[12:15] offset:41072
	ds_read_b128 v[12:15], v36 offset:40944
	ds_read_b128 v[16:19], v8 offset:32896
	s_waitcnt lgkmcnt(1)
	v_mul_f64 v[20:21], v[14:15], -v[26:27]
	v_mul_f64 v[14:15], v[14:15], v[24:25]
	v_fma_f64 v[20:21], v[24:25], v[12:13], v[20:21]
	v_fma_f64 v[14:15], v[26:27], v[12:13], v[14:15]
	s_waitcnt lgkmcnt(0)
	v_add_f64 v[12:13], v[16:17], -v[20:21]
	v_add_f64 v[14:15], v[18:19], -v[14:15]
	ds_write_b128 v8, v[12:15] offset:32896
	ds_read_b128 v[16:19], v7 offset:33024
	ds_read_b128 v[20:23], v8 offset:128
	s_waitcnt lgkmcnt(0)
	v_mul_f64 v[24:25], v[18:19], -v[22:23]
	v_mul_f64 v[18:19], v[18:19], v[20:21]
	v_fma_f64 v[20:21], v[20:21], v[16:17], v[24:25]
	v_fma_f64 v[16:17], v[22:23], v[16:17], v[18:19]
	v_add_f64 v[12:13], v[12:13], -v[20:21]
	v_add_f64 v[14:15], v[14:15], -v[16:17]
	ds_write_b128 v8, v[12:15] offset:32896
.LBB282_14:
	s_or_b64 exec, exec, s[0:1]
	v_cmp_gt_u32_e32 vcc, 64, v0
	s_waitcnt lgkmcnt(0)
	s_barrier
	s_and_saveexec_b64 s[0:1], vcc
	s_cbranch_execz .LBB282_16
; %bb.15:
	v_lshlrev_b32_e32 v7, 3, v0
	v_max_u32_e32 v8, 1, v7
	v_lshlrev_b32_e32 v34, 4, v8
	ds_read_b128 v[12:15], v34 offset:40944
	ds_read_b128 v[16:19], v9 offset:24624
	v_min_u32_e32 v7, 0x1f7, v7
	v_lshlrev_b32_e32 v35, 4, v7
	ds_read_b128 v[20:23], v35 offset:32896
	ds_read_b128 v[24:27], v9 offset:16448
	;; [unrolled: 1-line block ×3, first 2 shown]
	s_waitcnt lgkmcnt(3)
	v_mul_f64 v[7:8], v[14:15], -v[18:19]
	v_mul_f64 v[14:15], v[14:15], v[16:17]
	v_fma_f64 v[7:8], v[16:17], v[12:13], v[7:8]
	v_fma_f64 v[16:17], v[18:19], v[12:13], v[14:15]
	ds_read_b128 v[12:15], v9 offset:41008
	s_waitcnt lgkmcnt(1)
	v_mul_f64 v[32:33], v[22:23], -v[30:31]
	v_mul_f64 v[22:23], v[22:23], v[28:29]
	s_waitcnt lgkmcnt(0)
	v_add_f64 v[7:8], v[12:13], -v[7:8]
	v_add_f64 v[14:15], v[14:15], -v[16:17]
	v_fma_f64 v[18:19], v[28:29], v[20:21], v[32:33]
	v_fma_f64 v[20:21], v[30:31], v[20:21], v[22:23]
	v_add_f64 v[12:13], v[7:8], -v[18:19]
	v_add_f64 v[14:15], v[14:15], -v[20:21]
	ds_write_b128 v9, v[12:15] offset:41008
	ds_read_b128 v[12:15], v34 offset:40944
	ds_read_b128 v[16:19], v9 offset:32832
	s_waitcnt lgkmcnt(1)
	v_mul_f64 v[7:8], v[14:15], -v[26:27]
	v_mul_f64 v[14:15], v[14:15], v[24:25]
	v_fma_f64 v[7:8], v[24:25], v[12:13], v[7:8]
	v_fma_f64 v[14:15], v[26:27], v[12:13], v[14:15]
	s_waitcnt lgkmcnt(0)
	v_add_f64 v[12:13], v[16:17], -v[7:8]
	v_add_f64 v[14:15], v[18:19], -v[14:15]
	ds_write_b128 v9, v[12:15] offset:32832
	ds_read_b128 v[16:19], v35 offset:32896
	ds_read_b128 v[20:23], v9 offset:64
	s_waitcnt lgkmcnt(0)
	v_mul_f64 v[7:8], v[18:19], -v[22:23]
	v_mul_f64 v[18:19], v[18:19], v[20:21]
	v_fma_f64 v[7:8], v[20:21], v[16:17], v[7:8]
	v_fma_f64 v[16:17], v[22:23], v[16:17], v[18:19]
	v_add_f64 v[12:13], v[12:13], -v[7:8]
	v_add_f64 v[14:15], v[14:15], -v[16:17]
	ds_write_b128 v9, v[12:15] offset:32832
.LBB282_16:
	s_or_b64 exec, exec, s[0:1]
	s_movk_i32 s0, 0x80
	v_cmp_gt_u32_e32 vcc, s0, v0
	s_waitcnt lgkmcnt(0)
	s_barrier
	s_and_saveexec_b64 s[0:1], vcc
	s_cbranch_execz .LBB282_18
; %bb.17:
	v_lshlrev_b32_e32 v7, 2, v0
	v_max_u32_e32 v8, 1, v7
	v_lshlrev_b32_e32 v9, 4, v8
	ds_read_b128 v[12:15], v9 offset:40944
	ds_read_b128 v[16:19], v10 offset:24592
	v_min_u32_e32 v7, 0x1fb, v7
	v_lshlrev_b32_e32 v34, 4, v7
	ds_read_b128 v[20:23], v34 offset:32832
	ds_read_b128 v[24:27], v10 offset:16416
	;; [unrolled: 1-line block ×3, first 2 shown]
	s_waitcnt lgkmcnt(3)
	v_mul_f64 v[7:8], v[14:15], -v[18:19]
	v_mul_f64 v[14:15], v[14:15], v[16:17]
	v_fma_f64 v[7:8], v[16:17], v[12:13], v[7:8]
	v_fma_f64 v[16:17], v[18:19], v[12:13], v[14:15]
	ds_read_b128 v[12:15], v10 offset:40976
	s_waitcnt lgkmcnt(1)
	v_mul_f64 v[32:33], v[22:23], -v[30:31]
	v_mul_f64 v[22:23], v[22:23], v[28:29]
	s_waitcnt lgkmcnt(0)
	v_add_f64 v[7:8], v[12:13], -v[7:8]
	v_add_f64 v[14:15], v[14:15], -v[16:17]
	v_fma_f64 v[18:19], v[28:29], v[20:21], v[32:33]
	v_fma_f64 v[20:21], v[30:31], v[20:21], v[22:23]
	v_add_f64 v[12:13], v[7:8], -v[18:19]
	v_add_f64 v[14:15], v[14:15], -v[20:21]
	ds_write_b128 v10, v[12:15] offset:40976
	ds_read_b128 v[12:15], v9 offset:40944
	ds_read_b128 v[16:19], v10 offset:32800
	s_waitcnt lgkmcnt(1)
	v_mul_f64 v[7:8], v[14:15], -v[26:27]
	v_mul_f64 v[14:15], v[14:15], v[24:25]
	v_fma_f64 v[7:8], v[24:25], v[12:13], v[7:8]
	v_fma_f64 v[14:15], v[26:27], v[12:13], v[14:15]
	s_waitcnt lgkmcnt(0)
	v_add_f64 v[12:13], v[16:17], -v[7:8]
	v_add_f64 v[14:15], v[18:19], -v[14:15]
	ds_write_b128 v10, v[12:15] offset:32800
	ds_read_b128 v[16:19], v34 offset:32832
	ds_read_b128 v[20:23], v10 offset:32
	s_waitcnt lgkmcnt(0)
	v_mul_f64 v[7:8], v[18:19], -v[22:23]
	v_mul_f64 v[18:19], v[18:19], v[20:21]
	v_fma_f64 v[7:8], v[20:21], v[16:17], v[7:8]
	v_fma_f64 v[16:17], v[22:23], v[16:17], v[18:19]
	v_add_f64 v[12:13], v[12:13], -v[7:8]
	v_add_f64 v[14:15], v[14:15], -v[16:17]
	ds_write_b128 v10, v[12:15] offset:32800
.LBB282_18:
	s_or_b64 exec, exec, s[0:1]
	s_movk_i32 s0, 0x100
	v_cmp_gt_u32_e32 vcc, s0, v0
	s_waitcnt lgkmcnt(0)
	s_barrier
	s_and_saveexec_b64 s[0:1], vcc
	s_cbranch_execz .LBB282_20
; %bb.19:
	v_lshlrev_b32_e32 v0, 1, v0
	v_max_u32_e32 v7, 1, v0
	v_lshlrev_b32_e32 v32, 4, v7
	ds_read_b128 v[7:10], v32 offset:40944
	ds_read_b128 v[12:15], v11 offset:24576
	v_min_u32_e32 v0, 0x1fd, v0
	v_lshlrev_b32_e32 v0, 4, v0
	ds_read_b128 v[16:19], v0 offset:32800
	ds_read_b128 v[20:23], v11 offset:16400
	;; [unrolled: 1-line block ×3, first 2 shown]
	s_waitcnt lgkmcnt(3)
	v_mul_f64 v[28:29], v[9:10], -v[14:15]
	v_mul_f64 v[9:10], v[9:10], v[12:13]
	v_fma_f64 v[12:13], v[12:13], v[7:8], v[28:29]
	v_fma_f64 v[14:15], v[14:15], v[7:8], v[9:10]
	ds_read_b128 v[7:10], v11 offset:40960
	s_waitcnt lgkmcnt(1)
	v_mul_f64 v[30:31], v[18:19], -v[26:27]
	v_mul_f64 v[18:19], v[18:19], v[24:25]
	s_waitcnt lgkmcnt(0)
	v_add_f64 v[7:8], v[7:8], -v[12:13]
	v_add_f64 v[9:10], v[9:10], -v[14:15]
	v_fma_f64 v[24:25], v[24:25], v[16:17], v[30:31]
	v_fma_f64 v[16:17], v[26:27], v[16:17], v[18:19]
	v_add_f64 v[7:8], v[7:8], -v[24:25]
	v_add_f64 v[9:10], v[9:10], -v[16:17]
	ds_write_b128 v11, v[7:10] offset:40960
	ds_read_b128 v[7:10], v32 offset:40944
	ds_read_b128 v[12:15], v11 offset:32784
	s_waitcnt lgkmcnt(1)
	v_mul_f64 v[16:17], v[9:10], -v[22:23]
	v_mul_f64 v[9:10], v[9:10], v[20:21]
	v_fma_f64 v[16:17], v[20:21], v[7:8], v[16:17]
	v_fma_f64 v[9:10], v[22:23], v[7:8], v[9:10]
	s_waitcnt lgkmcnt(0)
	v_add_f64 v[7:8], v[12:13], -v[16:17]
	v_add_f64 v[9:10], v[14:15], -v[9:10]
	ds_write_b128 v11, v[7:10] offset:32784
	ds_read_b128 v[12:15], v0 offset:32800
	ds_read_b128 v[16:19], v11 offset:16
	s_waitcnt lgkmcnt(0)
	v_mul_f64 v[20:21], v[14:15], -v[18:19]
	v_mul_f64 v[14:15], v[14:15], v[16:17]
	v_fma_f64 v[16:17], v[16:17], v[12:13], v[20:21]
	v_fma_f64 v[12:13], v[18:19], v[12:13], v[14:15]
	v_add_f64 v[7:8], v[7:8], -v[16:17]
	v_add_f64 v[9:10], v[9:10], -v[12:13]
	ds_write_b128 v11, v[7:10] offset:32784
.LBB282_20:
	s_or_b64 exec, exec, s[0:1]
	s_waitcnt lgkmcnt(0)
	s_barrier
	ds_read2_b64 v[6:9], v6 offset1:1
	ds_read2_b64 v[10:13], v5 offset1:1
	s_waitcnt lgkmcnt(1)
	global_store_dwordx4 v[1:2], v[6:9], off
	s_waitcnt lgkmcnt(0)
	global_store_dwordx4 v[3:4], v[10:13], off
	s_endpgm
	.section	.rodata,"a",@progbits
	.p2align	6, 0x0
	.amdhsa_kernel _ZN9rocsparseL34gtsv_solve_spike_grid_level_kernelILj512E21rocsparse_complex_numIdEEEviiiPT0_PKS3_S6_
		.amdhsa_group_segment_fixed_size 49152
		.amdhsa_private_segment_fixed_size 0
		.amdhsa_kernarg_size 40
		.amdhsa_user_sgpr_count 6
		.amdhsa_user_sgpr_private_segment_buffer 1
		.amdhsa_user_sgpr_dispatch_ptr 0
		.amdhsa_user_sgpr_queue_ptr 0
		.amdhsa_user_sgpr_kernarg_segment_ptr 1
		.amdhsa_user_sgpr_dispatch_id 0
		.amdhsa_user_sgpr_flat_scratch_init 0
		.amdhsa_user_sgpr_private_segment_size 0
		.amdhsa_uses_dynamic_stack 0
		.amdhsa_system_sgpr_private_segment_wavefront_offset 0
		.amdhsa_system_sgpr_workgroup_id_x 1
		.amdhsa_system_sgpr_workgroup_id_y 1
		.amdhsa_system_sgpr_workgroup_id_z 0
		.amdhsa_system_sgpr_workgroup_info 0
		.amdhsa_system_vgpr_workitem_id 0
		.amdhsa_next_free_vgpr 85
		.amdhsa_next_free_sgpr 98
		.amdhsa_reserve_vcc 1
		.amdhsa_reserve_flat_scratch 0
		.amdhsa_float_round_mode_32 0
		.amdhsa_float_round_mode_16_64 0
		.amdhsa_float_denorm_mode_32 3
		.amdhsa_float_denorm_mode_16_64 3
		.amdhsa_dx10_clamp 1
		.amdhsa_ieee_mode 1
		.amdhsa_fp16_overflow 0
		.amdhsa_exception_fp_ieee_invalid_op 0
		.amdhsa_exception_fp_denorm_src 0
		.amdhsa_exception_fp_ieee_div_zero 0
		.amdhsa_exception_fp_ieee_overflow 0
		.amdhsa_exception_fp_ieee_underflow 0
		.amdhsa_exception_fp_ieee_inexact 0
		.amdhsa_exception_int_div_zero 0
	.end_amdhsa_kernel
	.section	.text._ZN9rocsparseL34gtsv_solve_spike_grid_level_kernelILj512E21rocsparse_complex_numIdEEEviiiPT0_PKS3_S6_,"axG",@progbits,_ZN9rocsparseL34gtsv_solve_spike_grid_level_kernelILj512E21rocsparse_complex_numIdEEEviiiPT0_PKS3_S6_,comdat
.Lfunc_end282:
	.size	_ZN9rocsparseL34gtsv_solve_spike_grid_level_kernelILj512E21rocsparse_complex_numIdEEEviiiPT0_PKS3_S6_, .Lfunc_end282-_ZN9rocsparseL34gtsv_solve_spike_grid_level_kernelILj512E21rocsparse_complex_numIdEEEviiiPT0_PKS3_S6_
                                        ; -- End function
	.set _ZN9rocsparseL34gtsv_solve_spike_grid_level_kernelILj512E21rocsparse_complex_numIdEEEviiiPT0_PKS3_S6_.num_vgpr, 61
	.set _ZN9rocsparseL34gtsv_solve_spike_grid_level_kernelILj512E21rocsparse_complex_numIdEEEviiiPT0_PKS3_S6_.num_agpr, 0
	.set _ZN9rocsparseL34gtsv_solve_spike_grid_level_kernelILj512E21rocsparse_complex_numIdEEEviiiPT0_PKS3_S6_.numbered_sgpr, 10
	.set _ZN9rocsparseL34gtsv_solve_spike_grid_level_kernelILj512E21rocsparse_complex_numIdEEEviiiPT0_PKS3_S6_.num_named_barrier, 0
	.set _ZN9rocsparseL34gtsv_solve_spike_grid_level_kernelILj512E21rocsparse_complex_numIdEEEviiiPT0_PKS3_S6_.private_seg_size, 0
	.set _ZN9rocsparseL34gtsv_solve_spike_grid_level_kernelILj512E21rocsparse_complex_numIdEEEviiiPT0_PKS3_S6_.uses_vcc, 1
	.set _ZN9rocsparseL34gtsv_solve_spike_grid_level_kernelILj512E21rocsparse_complex_numIdEEEviiiPT0_PKS3_S6_.uses_flat_scratch, 0
	.set _ZN9rocsparseL34gtsv_solve_spike_grid_level_kernelILj512E21rocsparse_complex_numIdEEEviiiPT0_PKS3_S6_.has_dyn_sized_stack, 0
	.set _ZN9rocsparseL34gtsv_solve_spike_grid_level_kernelILj512E21rocsparse_complex_numIdEEEviiiPT0_PKS3_S6_.has_recursion, 0
	.set _ZN9rocsparseL34gtsv_solve_spike_grid_level_kernelILj512E21rocsparse_complex_numIdEEEviiiPT0_PKS3_S6_.has_indirect_call, 0
	.section	.AMDGPU.csdata,"",@progbits
; Kernel info:
; codeLenInByte = 4440
; TotalNumSgprs: 14
; NumVgprs: 61
; ScratchSize: 0
; MemoryBound: 0
; FloatMode: 240
; IeeeMode: 1
; LDSByteSize: 49152 bytes/workgroup (compile time only)
; SGPRBlocks: 12
; VGPRBlocks: 21
; NumSGPRsForWavesPerEU: 102
; NumVGPRsForWavesPerEU: 85
; Occupancy: 2
; WaveLimiterHint : 0
; COMPUTE_PGM_RSRC2:SCRATCH_EN: 0
; COMPUTE_PGM_RSRC2:USER_SGPR: 6
; COMPUTE_PGM_RSRC2:TRAP_HANDLER: 0
; COMPUTE_PGM_RSRC2:TGID_X_EN: 1
; COMPUTE_PGM_RSRC2:TGID_Y_EN: 1
; COMPUTE_PGM_RSRC2:TGID_Z_EN: 0
; COMPUTE_PGM_RSRC2:TIDIG_COMP_CNT: 0
	.section	.text._ZN9rocsparseL33gtsv_solve_spike_propagate_kernelILj256ELj2E21rocsparse_complex_numIdEEEviiiPT1_PKS3_S6_S6_,"axG",@progbits,_ZN9rocsparseL33gtsv_solve_spike_propagate_kernelILj256ELj2E21rocsparse_complex_numIdEEEviiiPT1_PKS3_S6_S6_,comdat
	.globl	_ZN9rocsparseL33gtsv_solve_spike_propagate_kernelILj256ELj2E21rocsparse_complex_numIdEEEviiiPT1_PKS3_S6_S6_ ; -- Begin function _ZN9rocsparseL33gtsv_solve_spike_propagate_kernelILj256ELj2E21rocsparse_complex_numIdEEEviiiPT1_PKS3_S6_S6_
	.p2align	8
	.type	_ZN9rocsparseL33gtsv_solve_spike_propagate_kernelILj256ELj2E21rocsparse_complex_numIdEEEviiiPT1_PKS3_S6_S6_,@function
_ZN9rocsparseL33gtsv_solve_spike_propagate_kernelILj256ELj2E21rocsparse_complex_numIdEEEviiiPT1_PKS3_S6_S6_: ; @_ZN9rocsparseL33gtsv_solve_spike_propagate_kernelILj256ELj2E21rocsparse_complex_numIdEEEviiiPT1_PKS3_S6_S6_
; %bb.0:
	s_load_dword s10, s[4:5], 0x0
	v_lshl_or_b32 v9, s6, 8, v0
	v_lshlrev_b32_e32 v13, 4, v0
	s_waitcnt lgkmcnt(0)
	s_lshr_b32 s20, s10, 1
	v_cmp_gt_i32_e32 vcc, s20, v9
	v_cmp_le_i32_e64 s[0:1], s20, v9
	s_and_saveexec_b64 s[2:3], s[0:1]
	s_xor_b64 s[2:3], exec, s[2:3]
; %bb.1:
	v_mov_b32_e32 v1, 0
	v_mov_b32_e32 v2, v1
	;; [unrolled: 1-line block ×4, first 2 shown]
	ds_write_b128 v13, v[1:4] offset:16416
; %bb.2:
	s_or_saveexec_b64 s[8:9], s[2:3]
	v_mov_b32_e32 v1, 0
	v_mov_b32_e32 v3, 0
	;; [unrolled: 1-line block ×3, first 2 shown]
	v_ashrrev_i32_e32 v10, 31, v9
	v_mov_b32_e32 v4, 0
	v_add_u32_e32 v11, s20, v9
	s_xor_b64 exec, exec, s[8:9]
	s_cbranch_execz .LBB283_4
; %bb.3:
	s_load_dwordx2 s[12:13], s[4:5], 0x18
	v_lshlrev_b64 v[1:2], 4, v[9:10]
	v_mov_b32_e32 v12, 0
	s_waitcnt lgkmcnt(0)
	v_mov_b32_e32 v3, s13
	v_add_co_u32_e64 v14, s[2:3], s12, v1
	v_addc_co_u32_e64 v15, s[2:3], v3, v2, s[2:3]
	v_lshlrev_b64 v[1:2], 4, v[11:12]
	v_add_co_u32_e64 v16, s[2:3], s12, v1
	v_addc_co_u32_e64 v17, s[2:3], v3, v2, s[2:3]
	global_load_dwordx4 v[5:8], v[14:15], off
	global_load_dwordx4 v[1:4], v[16:17], off
	s_waitcnt vmcnt(1)
	ds_write_b128 v13, v[5:8] offset:16416
.LBB283_4:
	s_or_b64 exec, exec, s[8:9]
	s_waitcnt vmcnt(0)
	ds_write_b128 v13, v[1:4] offset:20512
	s_and_saveexec_b64 s[2:3], s[0:1]
	s_xor_b64 s[0:1], exec, s[2:3]
; %bb.5:
	v_mov_b32_e32 v1, 0
	v_mov_b32_e32 v2, v1
	;; [unrolled: 1-line block ×4, first 2 shown]
	ds_write_b128 v13, v[1:4] offset:8224
                                        ; implicit-def: $vgpr11
; %bb.6:
	s_or_saveexec_b64 s[8:9], s[0:1]
	s_load_dwordx2 s[2:3], s[4:5], 0x10
	v_mov_b32_e32 v3, 0
	v_mov_b32_e32 v5, 0
	;; [unrolled: 1-line block ×6, first 2 shown]
	s_xor_b64 exec, exec, s[8:9]
	s_cbranch_execz .LBB283_8
; %bb.7:
	s_load_dwordx2 s[12:13], s[4:5], 0x20
	v_lshlrev_b64 v[1:2], 4, v[9:10]
	v_mov_b32_e32 v12, 0
	s_waitcnt lgkmcnt(0)
	v_mov_b32_e32 v5, s13
	v_add_co_u32_e64 v1, s[0:1], s12, v1
	v_addc_co_u32_e64 v2, s[0:1], v5, v2, s[0:1]
	v_lshlrev_b64 v[5:6], 4, v[11:12]
	v_mov_b32_e32 v7, s13
	v_add_co_u32_e64 v10, s[0:1], s12, v5
	v_addc_co_u32_e64 v11, s[0:1], v7, v6, s[0:1]
	global_load_dwordx4 v[14:17], v[1:2], off
	global_load_dwordx4 v[5:8], v[10:11], off
	s_waitcnt vmcnt(1)
	ds_write_b128 v13, v[14:17] offset:8224
.LBB283_8:
	s_or_b64 exec, exec, s[8:9]
	v_mov_b32_e32 v1, 0
	v_mov_b32_e32 v2, 0
	s_mul_i32 s10, s10, s7
	s_waitcnt vmcnt(0)
	ds_write_b128 v13, v[5:8] offset:12320
	s_and_saveexec_b64 s[8:9], vcc
	s_cbranch_execz .LBB283_10
; %bb.9:
	s_add_i32 s0, s10, s20
	v_add_u32_e32 v1, s0, v9
	v_mov_b32_e32 v2, 0
	v_lshlrev_b64 v[1:2], 4, v[1:2]
	s_waitcnt lgkmcnt(0)
	v_mov_b32_e32 v3, s3
	v_add_co_u32_e64 v1, s[0:1], s2, v1
	v_addc_co_u32_e64 v2, s[0:1], v3, v2, s[0:1]
	global_load_dwordx4 v[1:4], v[1:2], off
.LBB283_10:
	s_or_b64 exec, exec, s[8:9]
	s_waitcnt vmcnt(0)
	ds_write_b128 v13, v[1:4] offset:16
	v_mov_b32_e32 v3, 0
	v_mov_b32_e32 v1, 0
	;; [unrolled: 1-line block ×4, first 2 shown]
	v_add_u32_e32 v5, s10, v9
	s_and_saveexec_b64 s[8:9], vcc
	s_cbranch_execz .LBB283_12
; %bb.11:
	v_ashrrev_i32_e32 v6, 31, v5
	v_lshlrev_b64 v[1:2], 4, v[5:6]
	s_waitcnt lgkmcnt(0)
	v_mov_b32_e32 v3, s3
	v_add_co_u32_e64 v1, s[0:1], s2, v1
	v_addc_co_u32_e64 v2, s[0:1], v3, v2, s[0:1]
	global_load_dwordx4 v[1:4], v[1:2], off
.LBB283_12:
	s_or_b64 exec, exec, s[8:9]
	v_cmp_eq_u32_e64 s[0:1], 0, v0
	s_waitcnt vmcnt(0)
	ds_write_b128 v13, v[1:4] offset:4112
	s_waitcnt lgkmcnt(0)
	s_barrier
	s_and_saveexec_b64 s[16:17], s[0:1]
	s_cbranch_execz .LBB283_18
; %bb.13:
	s_load_dword s21, s[4:5], 0x30
	s_load_dwordx2 s[18:19], s[4:5], 0x28
	s_cmp_lt_i32 s6, 1
	s_mov_b64 s[10:11], 0
	s_mov_b64 s[14:15], 0
	s_waitcnt lgkmcnt(0)
	s_mul_i32 s7, s7, s21
	s_mov_b64 s[12:13], 0
	s_cbranch_scc1 .LBB283_15
; %bb.14:
	s_lshl_b32 s4, s7, 1
	s_add_i32 s5, s6, s21
	s_add_i32 s4, s5, s4
	s_add_i32 s4, s4, -1
	s_mov_b32 s5, 0
	s_lshl_b64 s[4:5], s[4:5], 4
	s_add_u32 s4, s18, s4
	s_addc_u32 s5, s19, s5
	s_load_dwordx4 s[12:15], s[4:5], 0x0
.LBB283_15:
	s_add_i32 s4, s21, -1
	s_waitcnt lgkmcnt(0)
	v_mov_b32_e32 v6, s12
	v_mov_b32_e32 v7, s13
	;; [unrolled: 1-line block ×5, first 2 shown]
	s_cmp_ge_u32 s6, s4
	s_mov_b64 s[8:9], 0
	ds_write_b128 v1, v[6:9]
	s_cbranch_scc1 .LBB283_17
; %bb.16:
	s_lshl_b32 s4, s7, 1
	s_add_i32 s4, s6, s4
	s_add_i32 s4, s4, 1
	s_mov_b32 s5, 0
	s_lshl_b64 s[4:5], s[4:5], 4
	s_add_u32 s4, s18, s4
	s_addc_u32 s5, s19, s5
	s_load_dwordx4 s[8:11], s[4:5], 0x0
.LBB283_17:
	s_lshl_b32 s4, s7, 1
	s_add_i32 s4, s4, s6
	s_mov_b32 s5, 0
	s_lshl_b64 s[6:7], s[4:5], 4
	s_add_u32 s6, s18, s6
	s_addc_u32 s7, s19, s7
	s_add_i32 s4, s4, s21
	s_lshl_b64 s[4:5], s[4:5], 4
	s_add_u32 s4, s18, s4
	s_addc_u32 s5, s19, s5
	global_load_dwordx4 v[6:9], v1, s[6:7]
	global_load_dwordx4 v[14:17], v1, s[4:5]
	s_waitcnt lgkmcnt(0)
	v_mov_b32_e32 v18, s8
	v_mov_b32_e32 v19, s9
	;; [unrolled: 1-line block ×4, first 2 shown]
	ds_write_b128 v1, v[18:21] offset:8208
	s_waitcnt vmcnt(1)
	ds_write_b128 v1, v[6:9] offset:4112
	s_waitcnt vmcnt(0)
	ds_write_b128 v1, v[14:17] offset:4096
.LBB283_18:
	s_or_b64 exec, exec, s[16:17]
	v_add_u32_e32 v1, 16, v13
	v_add_u32_e32 v2, 0x1010, v13
	s_waitcnt lgkmcnt(0)
	s_barrier
	s_and_saveexec_b64 s[4:5], s[0:1]
	s_cbranch_execz .LBB283_20
; %bb.19:
	v_mov_b32_e32 v42, 0
	ds_read_b128 v[6:9], v42 offset:8208
	ds_read_b128 v[10:13], v42 offset:14352
	ds_read_b128 v[14:17], v42 offset:10272
	ds_read_b128 v[18:21], v42 offset:6160
	ds_read_b128 v[22:25], v42 offset:2048
	ds_read_b128 v[26:29], v42
	ds_read_b128 v[30:33], v42 offset:22544
	ds_read_b128 v[34:37], v42 offset:18464
	s_waitcnt lgkmcnt(6)
	v_mul_f64 v[3:4], v[8:9], -v[12:13]
	v_mul_f64 v[38:39], v[8:9], v[10:11]
	s_waitcnt lgkmcnt(5)
	v_mul_f64 v[40:41], v[8:9], -v[16:17]
	v_mul_f64 v[8:9], v[8:9], v[14:15]
	v_fma_f64 v[3:4], v[10:11], v[6:7], v[3:4]
	v_fma_f64 v[10:11], v[12:13], v[6:7], v[38:39]
	s_waitcnt lgkmcnt(1)
	v_mul_f64 v[12:13], v[28:29], -v[32:33]
	v_mul_f64 v[38:39], v[28:29], v[30:31]
	v_fma_f64 v[14:15], v[14:15], v[6:7], v[40:41]
	s_waitcnt lgkmcnt(0)
	v_mul_f64 v[40:41], v[28:29], -v[36:37]
	v_mul_f64 v[28:29], v[28:29], v[34:35]
	v_fma_f64 v[6:7], v[16:17], v[6:7], v[8:9]
	v_add_f64 v[3:4], v[22:23], -v[3:4]
	v_add_f64 v[8:9], v[24:25], -v[10:11]
	v_fma_f64 v[10:11], v[30:31], v[26:27], v[12:13]
	v_fma_f64 v[12:13], v[32:33], v[26:27], v[38:39]
	v_add_f64 v[14:15], v[18:19], -v[14:15]
	v_fma_f64 v[16:17], v[34:35], v[26:27], v[40:41]
	v_fma_f64 v[18:19], v[36:37], v[26:27], v[28:29]
	v_add_f64 v[20:21], v[20:21], -v[6:7]
	v_add_f64 v[6:7], v[3:4], -v[10:11]
	;; [unrolled: 1-line block ×5, first 2 shown]
	ds_write_b128 v42, v[6:9] offset:2048
	ds_write_b128 v42, v[10:13] offset:6160
.LBB283_20:
	s_or_b64 exec, exec, s[4:5]
	v_cmp_gt_u32_e64 s[0:1], 2, v0
	s_waitcnt lgkmcnt(0)
	s_barrier
	s_and_saveexec_b64 s[4:5], s[0:1]
	s_cbranch_execz .LBB283_22
; %bb.21:
	v_lshlrev_b32_e32 v42, 11, v0
	ds_read_b128 v[6:9], v42 offset:6160
	ds_read_b128 v[10:13], v42 offset:13328
	ds_read_b128 v[14:17], v42 offset:9248
	ds_read_b128 v[18:21], v42 offset:5136
	ds_read_b128 v[22:25], v42 offset:1024
	ds_read_b128 v[26:29], v42
	ds_read_b128 v[30:33], v42 offset:21520
	ds_read_b128 v[34:37], v42 offset:17440
	s_waitcnt lgkmcnt(6)
	v_mul_f64 v[3:4], v[8:9], -v[12:13]
	v_mul_f64 v[38:39], v[8:9], v[10:11]
	s_waitcnt lgkmcnt(5)
	v_mul_f64 v[40:41], v[8:9], -v[16:17]
	v_mul_f64 v[8:9], v[8:9], v[14:15]
	v_fma_f64 v[3:4], v[10:11], v[6:7], v[3:4]
	v_fma_f64 v[10:11], v[12:13], v[6:7], v[38:39]
	s_waitcnt lgkmcnt(1)
	v_mul_f64 v[12:13], v[28:29], -v[32:33]
	v_mul_f64 v[38:39], v[28:29], v[30:31]
	v_fma_f64 v[14:15], v[14:15], v[6:7], v[40:41]
	s_waitcnt lgkmcnt(0)
	v_mul_f64 v[40:41], v[28:29], -v[36:37]
	v_mul_f64 v[28:29], v[28:29], v[34:35]
	v_fma_f64 v[6:7], v[16:17], v[6:7], v[8:9]
	v_add_f64 v[3:4], v[22:23], -v[3:4]
	v_add_f64 v[8:9], v[24:25], -v[10:11]
	v_fma_f64 v[10:11], v[30:31], v[26:27], v[12:13]
	v_fma_f64 v[12:13], v[32:33], v[26:27], v[38:39]
	v_add_f64 v[14:15], v[18:19], -v[14:15]
	v_fma_f64 v[16:17], v[34:35], v[26:27], v[40:41]
	v_fma_f64 v[18:19], v[36:37], v[26:27], v[28:29]
	v_add_f64 v[20:21], v[20:21], -v[6:7]
	v_add_f64 v[6:7], v[3:4], -v[10:11]
	v_add_f64 v[8:9], v[8:9], -v[12:13]
	v_add_f64 v[10:11], v[14:15], -v[16:17]
	v_add_f64 v[12:13], v[20:21], -v[18:19]
	ds_write_b128 v42, v[6:9] offset:1024
	ds_write_b128 v42, v[10:13] offset:5136
.LBB283_22:
	s_or_b64 exec, exec, s[4:5]
	v_cmp_gt_u32_e64 s[0:1], 4, v0
	s_waitcnt lgkmcnt(0)
	s_barrier
	s_and_saveexec_b64 s[4:5], s[0:1]
	s_cbranch_execz .LBB283_24
; %bb.23:
	v_lshlrev_b32_e32 v42, 10, v0
	ds_read_b128 v[6:9], v42 offset:5136
	ds_read_b128 v[10:13], v42 offset:12816
	ds_read_b128 v[14:17], v42 offset:8736
	ds_read_b128 v[18:21], v42 offset:4624
	ds_read_b128 v[22:25], v42 offset:512
	ds_read_b128 v[26:29], v42
	ds_read_b128 v[30:33], v42 offset:21008
	ds_read_b128 v[34:37], v42 offset:16928
	s_waitcnt lgkmcnt(6)
	v_mul_f64 v[3:4], v[8:9], -v[12:13]
	v_mul_f64 v[38:39], v[8:9], v[10:11]
	s_waitcnt lgkmcnt(5)
	v_mul_f64 v[40:41], v[8:9], -v[16:17]
	v_mul_f64 v[8:9], v[8:9], v[14:15]
	v_fma_f64 v[3:4], v[10:11], v[6:7], v[3:4]
	v_fma_f64 v[10:11], v[12:13], v[6:7], v[38:39]
	s_waitcnt lgkmcnt(1)
	v_mul_f64 v[12:13], v[28:29], -v[32:33]
	v_mul_f64 v[38:39], v[28:29], v[30:31]
	v_fma_f64 v[14:15], v[14:15], v[6:7], v[40:41]
	s_waitcnt lgkmcnt(0)
	v_mul_f64 v[40:41], v[28:29], -v[36:37]
	v_mul_f64 v[28:29], v[28:29], v[34:35]
	v_fma_f64 v[6:7], v[16:17], v[6:7], v[8:9]
	v_add_f64 v[3:4], v[22:23], -v[3:4]
	v_add_f64 v[8:9], v[24:25], -v[10:11]
	v_fma_f64 v[10:11], v[30:31], v[26:27], v[12:13]
	v_fma_f64 v[12:13], v[32:33], v[26:27], v[38:39]
	v_add_f64 v[14:15], v[18:19], -v[14:15]
	v_fma_f64 v[16:17], v[34:35], v[26:27], v[40:41]
	v_fma_f64 v[18:19], v[36:37], v[26:27], v[28:29]
	v_add_f64 v[20:21], v[20:21], -v[6:7]
	v_add_f64 v[6:7], v[3:4], -v[10:11]
	v_add_f64 v[8:9], v[8:9], -v[12:13]
	v_add_f64 v[10:11], v[14:15], -v[16:17]
	v_add_f64 v[12:13], v[20:21], -v[18:19]
	ds_write_b128 v42, v[6:9] offset:512
	ds_write_b128 v42, v[10:13] offset:4624
.LBB283_24:
	;; [unrolled: 47-line block ×5, first 2 shown]
	s_or_b64 exec, exec, s[4:5]
	v_cmp_gt_u32_e64 s[0:1], 64, v0
	s_waitcnt lgkmcnt(0)
	s_barrier
	s_and_saveexec_b64 s[4:5], s[0:1]
	s_cbranch_execz .LBB283_32
; %bb.31:
	v_lshlrev_b32_e32 v42, 6, v0
	ds_read_b128 v[6:9], v42 offset:4176
	ds_read_b128 v[10:13], v42 offset:12336
	;; [unrolled: 1-line block ×4, first 2 shown]
	ds_read_b128 v[22:25], v42
	ds_read_b128 v[26:29], v42 offset:32
	ds_read_b128 v[30:33], v42 offset:20528
	;; [unrolled: 1-line block ×3, first 2 shown]
	s_waitcnt lgkmcnt(6)
	v_mul_f64 v[3:4], v[8:9], -v[12:13]
	v_mul_f64 v[38:39], v[8:9], v[10:11]
	s_waitcnt lgkmcnt(5)
	v_mul_f64 v[40:41], v[8:9], -v[16:17]
	v_mul_f64 v[8:9], v[8:9], v[14:15]
	v_fma_f64 v[3:4], v[10:11], v[6:7], v[3:4]
	v_fma_f64 v[10:11], v[12:13], v[6:7], v[38:39]
	s_waitcnt lgkmcnt(1)
	v_mul_f64 v[12:13], v[24:25], -v[32:33]
	v_mul_f64 v[38:39], v[24:25], v[30:31]
	v_fma_f64 v[14:15], v[14:15], v[6:7], v[40:41]
	s_waitcnt lgkmcnt(0)
	v_mul_f64 v[40:41], v[24:25], -v[36:37]
	v_mul_f64 v[24:25], v[24:25], v[34:35]
	v_fma_f64 v[6:7], v[16:17], v[6:7], v[8:9]
	v_add_f64 v[3:4], v[26:27], -v[3:4]
	v_add_f64 v[8:9], v[28:29], -v[10:11]
	v_fma_f64 v[10:11], v[30:31], v[22:23], v[12:13]
	v_fma_f64 v[12:13], v[32:33], v[22:23], v[38:39]
	v_add_f64 v[14:15], v[18:19], -v[14:15]
	v_fma_f64 v[16:17], v[34:35], v[22:23], v[40:41]
	v_fma_f64 v[18:19], v[36:37], v[22:23], v[24:25]
	v_add_f64 v[20:21], v[20:21], -v[6:7]
	v_add_f64 v[6:7], v[3:4], -v[10:11]
	;; [unrolled: 1-line block ×5, first 2 shown]
	ds_write_b128 v42, v[6:9] offset:32
	ds_write_b128 v42, v[10:13] offset:4144
.LBB283_32:
	s_or_b64 exec, exec, s[4:5]
	s_movk_i32 s0, 0x80
	v_cmp_gt_u32_e64 s[0:1], s0, v0
	s_waitcnt lgkmcnt(0)
	s_barrier
	s_and_saveexec_b64 s[4:5], s[0:1]
	s_cbranch_execz .LBB283_34
; %bb.33:
	v_lshlrev_b32_e32 v0, 5, v0
	ds_read_b128 v[6:9], v0 offset:4144
	ds_read_b128 v[10:13], v0 offset:12320
	;; [unrolled: 1-line block ×4, first 2 shown]
	ds_read_b128 v[22:25], v0
	ds_read_b128 v[26:29], v0 offset:16
	ds_read_b128 v[30:33], v0 offset:20512
	;; [unrolled: 1-line block ×3, first 2 shown]
	s_waitcnt lgkmcnt(6)
	v_mul_f64 v[3:4], v[8:9], -v[12:13]
	v_mul_f64 v[38:39], v[8:9], v[10:11]
	s_waitcnt lgkmcnt(5)
	v_mul_f64 v[40:41], v[8:9], -v[16:17]
	v_mul_f64 v[8:9], v[8:9], v[14:15]
	v_fma_f64 v[3:4], v[10:11], v[6:7], v[3:4]
	v_fma_f64 v[10:11], v[12:13], v[6:7], v[38:39]
	s_waitcnt lgkmcnt(1)
	v_mul_f64 v[12:13], v[24:25], -v[32:33]
	v_mul_f64 v[38:39], v[24:25], v[30:31]
	v_fma_f64 v[14:15], v[14:15], v[6:7], v[40:41]
	s_waitcnt lgkmcnt(0)
	v_mul_f64 v[40:41], v[24:25], -v[36:37]
	v_mul_f64 v[24:25], v[24:25], v[34:35]
	v_fma_f64 v[6:7], v[16:17], v[6:7], v[8:9]
	v_add_f64 v[3:4], v[26:27], -v[3:4]
	v_add_f64 v[8:9], v[28:29], -v[10:11]
	v_fma_f64 v[10:11], v[30:31], v[22:23], v[12:13]
	v_fma_f64 v[12:13], v[32:33], v[22:23], v[38:39]
	v_add_f64 v[14:15], v[18:19], -v[14:15]
	v_fma_f64 v[16:17], v[34:35], v[22:23], v[40:41]
	v_fma_f64 v[18:19], v[36:37], v[22:23], v[24:25]
	v_add_f64 v[20:21], v[20:21], -v[6:7]
	v_add_f64 v[6:7], v[3:4], -v[10:11]
	;; [unrolled: 1-line block ×5, first 2 shown]
	ds_write_b128 v0, v[6:9] offset:16
	ds_write_b128 v0, v[10:13] offset:4128
.LBB283_34:
	s_or_b64 exec, exec, s[4:5]
	s_waitcnt lgkmcnt(0)
	s_barrier
	s_and_saveexec_b64 s[0:1], vcc
	s_cbranch_execz .LBB283_36
; %bb.35:
	v_ashrrev_i32_e32 v6, 31, v5
	v_lshlrev_b64 v[3:4], 4, v[5:6]
	ds_read2_b64 v[6:9], v2 offset1:1
	v_mov_b32_e32 v0, s3
	v_add_co_u32_e32 v10, vcc, s2, v3
	v_addc_co_u32_e32 v11, vcc, v0, v4, vcc
	ds_read2_b64 v[0:3], v1 offset1:1
	v_add_u32_e32 v4, s20, v5
	v_mov_b32_e32 v5, 0
	v_lshlrev_b64 v[4:5], 4, v[4:5]
	s_waitcnt lgkmcnt(1)
	global_store_dwordx4 v[10:11], v[6:9], off
	v_add_co_u32_e32 v4, vcc, s2, v4
	v_mov_b32_e32 v6, s3
	v_addc_co_u32_e32 v5, vcc, v6, v5, vcc
	s_waitcnt lgkmcnt(0)
	global_store_dwordx4 v[4:5], v[0:3], off
.LBB283_36:
	s_endpgm
	.section	.rodata,"a",@progbits
	.p2align	6, 0x0
	.amdhsa_kernel _ZN9rocsparseL33gtsv_solve_spike_propagate_kernelILj256ELj2E21rocsparse_complex_numIdEEEviiiPT1_PKS3_S6_S6_
		.amdhsa_group_segment_fixed_size 24608
		.amdhsa_private_segment_fixed_size 0
		.amdhsa_kernarg_size 304
		.amdhsa_user_sgpr_count 6
		.amdhsa_user_sgpr_private_segment_buffer 1
		.amdhsa_user_sgpr_dispatch_ptr 0
		.amdhsa_user_sgpr_queue_ptr 0
		.amdhsa_user_sgpr_kernarg_segment_ptr 1
		.amdhsa_user_sgpr_dispatch_id 0
		.amdhsa_user_sgpr_flat_scratch_init 0
		.amdhsa_user_sgpr_private_segment_size 0
		.amdhsa_uses_dynamic_stack 0
		.amdhsa_system_sgpr_private_segment_wavefront_offset 0
		.amdhsa_system_sgpr_workgroup_id_x 1
		.amdhsa_system_sgpr_workgroup_id_y 1
		.amdhsa_system_sgpr_workgroup_id_z 0
		.amdhsa_system_sgpr_workgroup_info 0
		.amdhsa_system_vgpr_workitem_id 0
		.amdhsa_next_free_vgpr 85
		.amdhsa_next_free_sgpr 98
		.amdhsa_reserve_vcc 1
		.amdhsa_reserve_flat_scratch 0
		.amdhsa_float_round_mode_32 0
		.amdhsa_float_round_mode_16_64 0
		.amdhsa_float_denorm_mode_32 3
		.amdhsa_float_denorm_mode_16_64 3
		.amdhsa_dx10_clamp 1
		.amdhsa_ieee_mode 1
		.amdhsa_fp16_overflow 0
		.amdhsa_exception_fp_ieee_invalid_op 0
		.amdhsa_exception_fp_denorm_src 0
		.amdhsa_exception_fp_ieee_div_zero 0
		.amdhsa_exception_fp_ieee_overflow 0
		.amdhsa_exception_fp_ieee_underflow 0
		.amdhsa_exception_fp_ieee_inexact 0
		.amdhsa_exception_int_div_zero 0
	.end_amdhsa_kernel
	.section	.text._ZN9rocsparseL33gtsv_solve_spike_propagate_kernelILj256ELj2E21rocsparse_complex_numIdEEEviiiPT1_PKS3_S6_S6_,"axG",@progbits,_ZN9rocsparseL33gtsv_solve_spike_propagate_kernelILj256ELj2E21rocsparse_complex_numIdEEEviiiPT1_PKS3_S6_S6_,comdat
.Lfunc_end283:
	.size	_ZN9rocsparseL33gtsv_solve_spike_propagate_kernelILj256ELj2E21rocsparse_complex_numIdEEEviiiPT1_PKS3_S6_S6_, .Lfunc_end283-_ZN9rocsparseL33gtsv_solve_spike_propagate_kernelILj256ELj2E21rocsparse_complex_numIdEEEviiiPT1_PKS3_S6_S6_
                                        ; -- End function
	.set _ZN9rocsparseL33gtsv_solve_spike_propagate_kernelILj256ELj2E21rocsparse_complex_numIdEEEviiiPT1_PKS3_S6_S6_.num_vgpr, 43
	.set _ZN9rocsparseL33gtsv_solve_spike_propagate_kernelILj256ELj2E21rocsparse_complex_numIdEEEviiiPT1_PKS3_S6_S6_.num_agpr, 0
	.set _ZN9rocsparseL33gtsv_solve_spike_propagate_kernelILj256ELj2E21rocsparse_complex_numIdEEEviiiPT1_PKS3_S6_S6_.numbered_sgpr, 22
	.set _ZN9rocsparseL33gtsv_solve_spike_propagate_kernelILj256ELj2E21rocsparse_complex_numIdEEEviiiPT1_PKS3_S6_S6_.num_named_barrier, 0
	.set _ZN9rocsparseL33gtsv_solve_spike_propagate_kernelILj256ELj2E21rocsparse_complex_numIdEEEviiiPT1_PKS3_S6_S6_.private_seg_size, 0
	.set _ZN9rocsparseL33gtsv_solve_spike_propagate_kernelILj256ELj2E21rocsparse_complex_numIdEEEviiiPT1_PKS3_S6_S6_.uses_vcc, 1
	.set _ZN9rocsparseL33gtsv_solve_spike_propagate_kernelILj256ELj2E21rocsparse_complex_numIdEEEviiiPT1_PKS3_S6_S6_.uses_flat_scratch, 0
	.set _ZN9rocsparseL33gtsv_solve_spike_propagate_kernelILj256ELj2E21rocsparse_complex_numIdEEEviiiPT1_PKS3_S6_S6_.has_dyn_sized_stack, 0
	.set _ZN9rocsparseL33gtsv_solve_spike_propagate_kernelILj256ELj2E21rocsparse_complex_numIdEEEviiiPT1_PKS3_S6_S6_.has_recursion, 0
	.set _ZN9rocsparseL33gtsv_solve_spike_propagate_kernelILj256ELj2E21rocsparse_complex_numIdEEEviiiPT1_PKS3_S6_S6_.has_indirect_call, 0
	.section	.AMDGPU.csdata,"",@progbits
; Kernel info:
; codeLenInByte = 3572
; TotalNumSgprs: 26
; NumVgprs: 43
; ScratchSize: 0
; MemoryBound: 0
; FloatMode: 240
; IeeeMode: 1
; LDSByteSize: 24608 bytes/workgroup (compile time only)
; SGPRBlocks: 12
; VGPRBlocks: 21
; NumSGPRsForWavesPerEU: 102
; NumVGPRsForWavesPerEU: 85
; Occupancy: 2
; WaveLimiterHint : 0
; COMPUTE_PGM_RSRC2:SCRATCH_EN: 0
; COMPUTE_PGM_RSRC2:USER_SGPR: 6
; COMPUTE_PGM_RSRC2:TRAP_HANDLER: 0
; COMPUTE_PGM_RSRC2:TGID_X_EN: 1
; COMPUTE_PGM_RSRC2:TGID_Y_EN: 1
; COMPUTE_PGM_RSRC2:TGID_Z_EN: 0
; COMPUTE_PGM_RSRC2:TIDIG_COMP_CNT: 0
	.section	.text._ZN9rocsparseL39gtsv_spike_backward_substitution_kernelILj256ELj2E21rocsparse_complex_numIdEEEviiiPT1_PKS3_S6_,"axG",@progbits,_ZN9rocsparseL39gtsv_spike_backward_substitution_kernelILj256ELj2E21rocsparse_complex_numIdEEEviiiPT1_PKS3_S6_,comdat
	.globl	_ZN9rocsparseL39gtsv_spike_backward_substitution_kernelILj256ELj2E21rocsparse_complex_numIdEEEviiiPT1_PKS3_S6_ ; -- Begin function _ZN9rocsparseL39gtsv_spike_backward_substitution_kernelILj256ELj2E21rocsparse_complex_numIdEEEviiiPT1_PKS3_S6_
	.p2align	8
	.type	_ZN9rocsparseL39gtsv_spike_backward_substitution_kernelILj256ELj2E21rocsparse_complex_numIdEEEviiiPT1_PKS3_S6_,@function
_ZN9rocsparseL39gtsv_spike_backward_substitution_kernelILj256ELj2E21rocsparse_complex_numIdEEEviiiPT1_PKS3_S6_: ; @_ZN9rocsparseL39gtsv_spike_backward_substitution_kernelILj256ELj2E21rocsparse_complex_numIdEEEviiiPT1_PKS3_S6_
; %bb.0:
	s_endpgm
	.section	.rodata,"a",@progbits
	.p2align	6, 0x0
	.amdhsa_kernel _ZN9rocsparseL39gtsv_spike_backward_substitution_kernelILj256ELj2E21rocsparse_complex_numIdEEEviiiPT1_PKS3_S6_
		.amdhsa_group_segment_fixed_size 0
		.amdhsa_private_segment_fixed_size 0
		.amdhsa_kernarg_size 40
		.amdhsa_user_sgpr_count 6
		.amdhsa_user_sgpr_private_segment_buffer 1
		.amdhsa_user_sgpr_dispatch_ptr 0
		.amdhsa_user_sgpr_queue_ptr 0
		.amdhsa_user_sgpr_kernarg_segment_ptr 1
		.amdhsa_user_sgpr_dispatch_id 0
		.amdhsa_user_sgpr_flat_scratch_init 0
		.amdhsa_user_sgpr_private_segment_size 0
		.amdhsa_uses_dynamic_stack 0
		.amdhsa_system_sgpr_private_segment_wavefront_offset 0
		.amdhsa_system_sgpr_workgroup_id_x 1
		.amdhsa_system_sgpr_workgroup_id_y 0
		.amdhsa_system_sgpr_workgroup_id_z 0
		.amdhsa_system_sgpr_workgroup_info 0
		.amdhsa_system_vgpr_workitem_id 0
		.amdhsa_next_free_vgpr 1
		.amdhsa_next_free_sgpr 0
		.amdhsa_reserve_vcc 0
		.amdhsa_reserve_flat_scratch 0
		.amdhsa_float_round_mode_32 0
		.amdhsa_float_round_mode_16_64 0
		.amdhsa_float_denorm_mode_32 3
		.amdhsa_float_denorm_mode_16_64 3
		.amdhsa_dx10_clamp 1
		.amdhsa_ieee_mode 1
		.amdhsa_fp16_overflow 0
		.amdhsa_exception_fp_ieee_invalid_op 0
		.amdhsa_exception_fp_denorm_src 0
		.amdhsa_exception_fp_ieee_div_zero 0
		.amdhsa_exception_fp_ieee_overflow 0
		.amdhsa_exception_fp_ieee_underflow 0
		.amdhsa_exception_fp_ieee_inexact 0
		.amdhsa_exception_int_div_zero 0
	.end_amdhsa_kernel
	.section	.text._ZN9rocsparseL39gtsv_spike_backward_substitution_kernelILj256ELj2E21rocsparse_complex_numIdEEEviiiPT1_PKS3_S6_,"axG",@progbits,_ZN9rocsparseL39gtsv_spike_backward_substitution_kernelILj256ELj2E21rocsparse_complex_numIdEEEviiiPT1_PKS3_S6_,comdat
.Lfunc_end284:
	.size	_ZN9rocsparseL39gtsv_spike_backward_substitution_kernelILj256ELj2E21rocsparse_complex_numIdEEEviiiPT1_PKS3_S6_, .Lfunc_end284-_ZN9rocsparseL39gtsv_spike_backward_substitution_kernelILj256ELj2E21rocsparse_complex_numIdEEEviiiPT1_PKS3_S6_
                                        ; -- End function
	.set _ZN9rocsparseL39gtsv_spike_backward_substitution_kernelILj256ELj2E21rocsparse_complex_numIdEEEviiiPT1_PKS3_S6_.num_vgpr, 0
	.set _ZN9rocsparseL39gtsv_spike_backward_substitution_kernelILj256ELj2E21rocsparse_complex_numIdEEEviiiPT1_PKS3_S6_.num_agpr, 0
	.set _ZN9rocsparseL39gtsv_spike_backward_substitution_kernelILj256ELj2E21rocsparse_complex_numIdEEEviiiPT1_PKS3_S6_.numbered_sgpr, 0
	.set _ZN9rocsparseL39gtsv_spike_backward_substitution_kernelILj256ELj2E21rocsparse_complex_numIdEEEviiiPT1_PKS3_S6_.num_named_barrier, 0
	.set _ZN9rocsparseL39gtsv_spike_backward_substitution_kernelILj256ELj2E21rocsparse_complex_numIdEEEviiiPT1_PKS3_S6_.private_seg_size, 0
	.set _ZN9rocsparseL39gtsv_spike_backward_substitution_kernelILj256ELj2E21rocsparse_complex_numIdEEEviiiPT1_PKS3_S6_.uses_vcc, 0
	.set _ZN9rocsparseL39gtsv_spike_backward_substitution_kernelILj256ELj2E21rocsparse_complex_numIdEEEviiiPT1_PKS3_S6_.uses_flat_scratch, 0
	.set _ZN9rocsparseL39gtsv_spike_backward_substitution_kernelILj256ELj2E21rocsparse_complex_numIdEEEviiiPT1_PKS3_S6_.has_dyn_sized_stack, 0
	.set _ZN9rocsparseL39gtsv_spike_backward_substitution_kernelILj256ELj2E21rocsparse_complex_numIdEEEviiiPT1_PKS3_S6_.has_recursion, 0
	.set _ZN9rocsparseL39gtsv_spike_backward_substitution_kernelILj256ELj2E21rocsparse_complex_numIdEEEviiiPT1_PKS3_S6_.has_indirect_call, 0
	.section	.AMDGPU.csdata,"",@progbits
; Kernel info:
; codeLenInByte = 4
; TotalNumSgprs: 4
; NumVgprs: 0
; ScratchSize: 0
; MemoryBound: 0
; FloatMode: 240
; IeeeMode: 1
; LDSByteSize: 0 bytes/workgroup (compile time only)
; SGPRBlocks: 0
; VGPRBlocks: 0
; NumSGPRsForWavesPerEU: 4
; NumVGPRsForWavesPerEU: 1
; Occupancy: 10
; WaveLimiterHint : 0
; COMPUTE_PGM_RSRC2:SCRATCH_EN: 0
; COMPUTE_PGM_RSRC2:USER_SGPR: 6
; COMPUTE_PGM_RSRC2:TRAP_HANDLER: 0
; COMPUTE_PGM_RSRC2:TGID_X_EN: 1
; COMPUTE_PGM_RSRC2:TGID_Y_EN: 0
; COMPUTE_PGM_RSRC2:TGID_Z_EN: 0
; COMPUTE_PGM_RSRC2:TIDIG_COMP_CNT: 0
	.section	.text._ZN9rocsparseL32gtsv_transpose_back_array_kernelILj256ELj2E21rocsparse_complex_numIdEEEviiiPKT1_PS3_,"axG",@progbits,_ZN9rocsparseL32gtsv_transpose_back_array_kernelILj256ELj2E21rocsparse_complex_numIdEEEviiiPKT1_PS3_,comdat
	.globl	_ZN9rocsparseL32gtsv_transpose_back_array_kernelILj256ELj2E21rocsparse_complex_numIdEEEviiiPKT1_PS3_ ; -- Begin function _ZN9rocsparseL32gtsv_transpose_back_array_kernelILj256ELj2E21rocsparse_complex_numIdEEEviiiPKT1_PS3_
	.p2align	8
	.type	_ZN9rocsparseL32gtsv_transpose_back_array_kernelILj256ELj2E21rocsparse_complex_numIdEEEviiiPKT1_PS3_,@function
_ZN9rocsparseL32gtsv_transpose_back_array_kernelILj256ELj2E21rocsparse_complex_numIdEEEviiiPKT1_PS3_: ; @_ZN9rocsparseL32gtsv_transpose_back_array_kernelILj256ELj2E21rocsparse_complex_numIdEEEviiiPKT1_PS3_
; %bb.0:
	s_load_dwordx4 s[0:3], s[4:5], 0x0
	s_waitcnt lgkmcnt(0)
	v_cvt_f32_u32_e32 v1, s1
	s_sub_i32 s3, 0, s1
	v_rcp_iflag_f32_e32 v1, v1
	v_mul_f32_e32 v1, 0x4f7ffffe, v1
	v_cvt_u32_f32_e32 v2, v1
	v_mul_lo_u32 v1, s3, v2
	v_mul_hi_u32 v3, v2, v1
	v_lshl_or_b32 v1, s6, 8, v0
	v_lshlrev_b32_e32 v0, 1, v1
	v_add_u32_e32 v2, v2, v3
	v_mul_hi_u32 v2, v0, v2
	v_mul_lo_u32 v3, v2, s1
	v_add_u32_e32 v4, 1, v2
	v_sub_u32_e32 v3, v0, v3
	v_cmp_le_u32_e32 vcc, s1, v3
	v_cndmask_b32_e32 v2, v2, v4, vcc
	v_subrev_u32_e32 v4, s1, v3
	v_cndmask_b32_e32 v3, v3, v4, vcc
	v_add_u32_e32 v4, 1, v2
	v_cmp_le_u32_e32 vcc, s1, v3
	v_cndmask_b32_e32 v2, v2, v4, vcc
	v_mul_lo_u32 v3, v2, s1
	v_sub_u32_e32 v0, v0, v3
	v_add_u32_e32 v0, v2, v0
	v_cmp_gt_i32_e32 vcc, s0, v0
	s_and_saveexec_b64 s[8:9], vcc
	s_cbranch_execz .LBB285_2
; %bb.1:
	s_load_dwordx4 s[8:11], s[4:5], 0x10
	s_mul_i32 s0, s1, s7
	v_add_u32_e32 v1, s0, v1
	v_ashrrev_i32_e32 v2, 31, v1
	v_lshlrev_b64 v[1:2], 4, v[1:2]
	s_waitcnt lgkmcnt(0)
	v_mov_b32_e32 v3, s9
	v_add_co_u32_e32 v1, vcc, s8, v1
	v_addc_co_u32_e32 v2, vcc, v3, v2, vcc
	global_load_dwordx4 v[1:4], v[1:2], off
	s_mul_i32 s0, s2, s7
	v_add_u32_e32 v5, s0, v0
	v_ashrrev_i32_e32 v6, 31, v5
	v_lshlrev_b64 v[5:6], 4, v[5:6]
	v_mov_b32_e32 v0, s11
	v_add_co_u32_e32 v5, vcc, s10, v5
	v_addc_co_u32_e32 v6, vcc, v0, v6, vcc
	s_waitcnt vmcnt(0)
	global_store_dwordx4 v[5:6], v[1:4], off
.LBB285_2:
	s_endpgm
	.section	.rodata,"a",@progbits
	.p2align	6, 0x0
	.amdhsa_kernel _ZN9rocsparseL32gtsv_transpose_back_array_kernelILj256ELj2E21rocsparse_complex_numIdEEEviiiPKT1_PS3_
		.amdhsa_group_segment_fixed_size 0
		.amdhsa_private_segment_fixed_size 0
		.amdhsa_kernarg_size 32
		.amdhsa_user_sgpr_count 6
		.amdhsa_user_sgpr_private_segment_buffer 1
		.amdhsa_user_sgpr_dispatch_ptr 0
		.amdhsa_user_sgpr_queue_ptr 0
		.amdhsa_user_sgpr_kernarg_segment_ptr 1
		.amdhsa_user_sgpr_dispatch_id 0
		.amdhsa_user_sgpr_flat_scratch_init 0
		.amdhsa_user_sgpr_private_segment_size 0
		.amdhsa_uses_dynamic_stack 0
		.amdhsa_system_sgpr_private_segment_wavefront_offset 0
		.amdhsa_system_sgpr_workgroup_id_x 1
		.amdhsa_system_sgpr_workgroup_id_y 1
		.amdhsa_system_sgpr_workgroup_id_z 0
		.amdhsa_system_sgpr_workgroup_info 0
		.amdhsa_system_vgpr_workitem_id 0
		.amdhsa_next_free_vgpr 7
		.amdhsa_next_free_sgpr 12
		.amdhsa_reserve_vcc 1
		.amdhsa_reserve_flat_scratch 0
		.amdhsa_float_round_mode_32 0
		.amdhsa_float_round_mode_16_64 0
		.amdhsa_float_denorm_mode_32 3
		.amdhsa_float_denorm_mode_16_64 3
		.amdhsa_dx10_clamp 1
		.amdhsa_ieee_mode 1
		.amdhsa_fp16_overflow 0
		.amdhsa_exception_fp_ieee_invalid_op 0
		.amdhsa_exception_fp_denorm_src 0
		.amdhsa_exception_fp_ieee_div_zero 0
		.amdhsa_exception_fp_ieee_overflow 0
		.amdhsa_exception_fp_ieee_underflow 0
		.amdhsa_exception_fp_ieee_inexact 0
		.amdhsa_exception_int_div_zero 0
	.end_amdhsa_kernel
	.section	.text._ZN9rocsparseL32gtsv_transpose_back_array_kernelILj256ELj2E21rocsparse_complex_numIdEEEviiiPKT1_PS3_,"axG",@progbits,_ZN9rocsparseL32gtsv_transpose_back_array_kernelILj256ELj2E21rocsparse_complex_numIdEEEviiiPKT1_PS3_,comdat
.Lfunc_end285:
	.size	_ZN9rocsparseL32gtsv_transpose_back_array_kernelILj256ELj2E21rocsparse_complex_numIdEEEviiiPKT1_PS3_, .Lfunc_end285-_ZN9rocsparseL32gtsv_transpose_back_array_kernelILj256ELj2E21rocsparse_complex_numIdEEEviiiPKT1_PS3_
                                        ; -- End function
	.set _ZN9rocsparseL32gtsv_transpose_back_array_kernelILj256ELj2E21rocsparse_complex_numIdEEEviiiPKT1_PS3_.num_vgpr, 7
	.set _ZN9rocsparseL32gtsv_transpose_back_array_kernelILj256ELj2E21rocsparse_complex_numIdEEEviiiPKT1_PS3_.num_agpr, 0
	.set _ZN9rocsparseL32gtsv_transpose_back_array_kernelILj256ELj2E21rocsparse_complex_numIdEEEviiiPKT1_PS3_.numbered_sgpr, 12
	.set _ZN9rocsparseL32gtsv_transpose_back_array_kernelILj256ELj2E21rocsparse_complex_numIdEEEviiiPKT1_PS3_.num_named_barrier, 0
	.set _ZN9rocsparseL32gtsv_transpose_back_array_kernelILj256ELj2E21rocsparse_complex_numIdEEEviiiPKT1_PS3_.private_seg_size, 0
	.set _ZN9rocsparseL32gtsv_transpose_back_array_kernelILj256ELj2E21rocsparse_complex_numIdEEEviiiPKT1_PS3_.uses_vcc, 1
	.set _ZN9rocsparseL32gtsv_transpose_back_array_kernelILj256ELj2E21rocsparse_complex_numIdEEEviiiPKT1_PS3_.uses_flat_scratch, 0
	.set _ZN9rocsparseL32gtsv_transpose_back_array_kernelILj256ELj2E21rocsparse_complex_numIdEEEviiiPKT1_PS3_.has_dyn_sized_stack, 0
	.set _ZN9rocsparseL32gtsv_transpose_back_array_kernelILj256ELj2E21rocsparse_complex_numIdEEEviiiPKT1_PS3_.has_recursion, 0
	.set _ZN9rocsparseL32gtsv_transpose_back_array_kernelILj256ELj2E21rocsparse_complex_numIdEEEviiiPKT1_PS3_.has_indirect_call, 0
	.section	.AMDGPU.csdata,"",@progbits
; Kernel info:
; codeLenInByte = 248
; TotalNumSgprs: 16
; NumVgprs: 7
; ScratchSize: 0
; MemoryBound: 0
; FloatMode: 240
; IeeeMode: 1
; LDSByteSize: 0 bytes/workgroup (compile time only)
; SGPRBlocks: 1
; VGPRBlocks: 1
; NumSGPRsForWavesPerEU: 16
; NumVGPRsForWavesPerEU: 7
; Occupancy: 10
; WaveLimiterHint : 0
; COMPUTE_PGM_RSRC2:SCRATCH_EN: 0
; COMPUTE_PGM_RSRC2:USER_SGPR: 6
; COMPUTE_PGM_RSRC2:TRAP_HANDLER: 0
; COMPUTE_PGM_RSRC2:TGID_X_EN: 1
; COMPUTE_PGM_RSRC2:TGID_Y_EN: 1
; COMPUTE_PGM_RSRC2:TGID_Z_EN: 0
; COMPUTE_PGM_RSRC2:TIDIG_COMP_CNT: 0
	.section	.text._ZN9rocsparseL42gtsv_transpose_and_pad_array_shared_kernelILj256ELj4E21rocsparse_complex_numIdEEEviiiPKT1_PS3_S3_,"axG",@progbits,_ZN9rocsparseL42gtsv_transpose_and_pad_array_shared_kernelILj256ELj4E21rocsparse_complex_numIdEEEviiiPKT1_PS3_S3_,comdat
	.globl	_ZN9rocsparseL42gtsv_transpose_and_pad_array_shared_kernelILj256ELj4E21rocsparse_complex_numIdEEEviiiPKT1_PS3_S3_ ; -- Begin function _ZN9rocsparseL42gtsv_transpose_and_pad_array_shared_kernelILj256ELj4E21rocsparse_complex_numIdEEEviiiPKT1_PS3_S3_
	.p2align	8
	.type	_ZN9rocsparseL42gtsv_transpose_and_pad_array_shared_kernelILj256ELj4E21rocsparse_complex_numIdEEEviiiPKT1_PS3_S3_,@function
_ZN9rocsparseL42gtsv_transpose_and_pad_array_shared_kernelILj256ELj4E21rocsparse_complex_numIdEEEviiiPKT1_PS3_S3_: ; @_ZN9rocsparseL42gtsv_transpose_and_pad_array_shared_kernelILj256ELj4E21rocsparse_complex_numIdEEEviiiPKT1_PS3_S3_
; %bb.0:
	s_load_dwordx4 s[0:3], s[4:5], 0x0
	v_lshl_or_b32 v2, s6, 8, v0
	v_lshlrev_b32_e32 v1, 4, v0
	s_waitcnt lgkmcnt(0)
	v_cmp_le_i32_e32 vcc, s0, v2
	s_and_saveexec_b64 s[8:9], vcc
	s_xor_b64 s[8:9], exec, s[8:9]
	s_cbranch_execz .LBB286_2
; %bb.1:
	s_load_dwordx4 s[12:15], s[4:5], 0x20
	s_waitcnt lgkmcnt(0)
	v_mov_b32_e32 v2, s12
	v_mov_b32_e32 v3, s13
	;; [unrolled: 1-line block ×4, first 2 shown]
	ds_write_b128 v1, v[2:5]
                                        ; implicit-def: $vgpr2
                                        ; implicit-def: $vgpr1
.LBB286_2:
	s_andn2_saveexec_b64 s[8:9], s[8:9]
	s_cbranch_execz .LBB286_4
; %bb.3:
	s_load_dwordx2 s[10:11], s[4:5], 0x10
	s_mul_i32 s0, s2, s7
	v_add_u32_e32 v2, s0, v2
	v_ashrrev_i32_e32 v3, 31, v2
	v_lshlrev_b64 v[2:3], 4, v[2:3]
	s_waitcnt lgkmcnt(0)
	v_mov_b32_e32 v4, s11
	v_add_co_u32_e32 v2, vcc, s10, v2
	v_addc_co_u32_e32 v3, vcc, v4, v3, vcc
	global_load_dwordx4 v[2:5], v[2:3], off
	s_waitcnt vmcnt(0)
	ds_write2_b64 v1, v[2:3], v[4:5] offset1:1
.LBB286_4:
	s_or_b64 exec, exec, s[8:9]
	v_and_b32_e32 v3, 63, v0
	v_lshrrev_b32_e32 v2, 6, v0
	s_lshr_b32 s0, s1, 2
	v_lshl_or_b32 v0, s6, 6, v3
	v_mad_u64_u32 v[0:1], s[2:3], s0, v2, v[0:1]
	s_waitcnt lgkmcnt(0)
	s_barrier
	v_cmp_gt_i32_e32 vcc, s1, v0
	s_and_saveexec_b64 s[2:3], vcc
	s_cbranch_execz .LBB286_6
; %bb.5:
	s_mul_i32 s0, s1, s7
	s_load_dwordx2 s[2:3], s[4:5], 0x18
	v_lshlrev_b32_e32 v1, 4, v2
	v_add_u32_e32 v0, s0, v0
	v_lshl_or_b32 v2, v3, 6, v1
	v_ashrrev_i32_e32 v1, 31, v0
	v_lshlrev_b64 v[4:5], 4, v[0:1]
	ds_read2_b64 v[0:3], v2 offset1:1
	s_waitcnt lgkmcnt(0)
	v_mov_b32_e32 v6, s3
	v_add_co_u32_e32 v4, vcc, s2, v4
	v_addc_co_u32_e32 v5, vcc, v6, v5, vcc
	global_store_dwordx4 v[4:5], v[0:3], off
.LBB286_6:
	s_endpgm
	.section	.rodata,"a",@progbits
	.p2align	6, 0x0
	.amdhsa_kernel _ZN9rocsparseL42gtsv_transpose_and_pad_array_shared_kernelILj256ELj4E21rocsparse_complex_numIdEEEviiiPKT1_PS3_S3_
		.amdhsa_group_segment_fixed_size 4096
		.amdhsa_private_segment_fixed_size 0
		.amdhsa_kernarg_size 48
		.amdhsa_user_sgpr_count 6
		.amdhsa_user_sgpr_private_segment_buffer 1
		.amdhsa_user_sgpr_dispatch_ptr 0
		.amdhsa_user_sgpr_queue_ptr 0
		.amdhsa_user_sgpr_kernarg_segment_ptr 1
		.amdhsa_user_sgpr_dispatch_id 0
		.amdhsa_user_sgpr_flat_scratch_init 0
		.amdhsa_user_sgpr_private_segment_size 0
		.amdhsa_uses_dynamic_stack 0
		.amdhsa_system_sgpr_private_segment_wavefront_offset 0
		.amdhsa_system_sgpr_workgroup_id_x 1
		.amdhsa_system_sgpr_workgroup_id_y 1
		.amdhsa_system_sgpr_workgroup_id_z 0
		.amdhsa_system_sgpr_workgroup_info 0
		.amdhsa_system_vgpr_workitem_id 0
		.amdhsa_next_free_vgpr 7
		.amdhsa_next_free_sgpr 16
		.amdhsa_reserve_vcc 1
		.amdhsa_reserve_flat_scratch 0
		.amdhsa_float_round_mode_32 0
		.amdhsa_float_round_mode_16_64 0
		.amdhsa_float_denorm_mode_32 3
		.amdhsa_float_denorm_mode_16_64 3
		.amdhsa_dx10_clamp 1
		.amdhsa_ieee_mode 1
		.amdhsa_fp16_overflow 0
		.amdhsa_exception_fp_ieee_invalid_op 0
		.amdhsa_exception_fp_denorm_src 0
		.amdhsa_exception_fp_ieee_div_zero 0
		.amdhsa_exception_fp_ieee_overflow 0
		.amdhsa_exception_fp_ieee_underflow 0
		.amdhsa_exception_fp_ieee_inexact 0
		.amdhsa_exception_int_div_zero 0
	.end_amdhsa_kernel
	.section	.text._ZN9rocsparseL42gtsv_transpose_and_pad_array_shared_kernelILj256ELj4E21rocsparse_complex_numIdEEEviiiPKT1_PS3_S3_,"axG",@progbits,_ZN9rocsparseL42gtsv_transpose_and_pad_array_shared_kernelILj256ELj4E21rocsparse_complex_numIdEEEviiiPKT1_PS3_S3_,comdat
.Lfunc_end286:
	.size	_ZN9rocsparseL42gtsv_transpose_and_pad_array_shared_kernelILj256ELj4E21rocsparse_complex_numIdEEEviiiPKT1_PS3_S3_, .Lfunc_end286-_ZN9rocsparseL42gtsv_transpose_and_pad_array_shared_kernelILj256ELj4E21rocsparse_complex_numIdEEEviiiPKT1_PS3_S3_
                                        ; -- End function
	.set _ZN9rocsparseL42gtsv_transpose_and_pad_array_shared_kernelILj256ELj4E21rocsparse_complex_numIdEEEviiiPKT1_PS3_S3_.num_vgpr, 7
	.set _ZN9rocsparseL42gtsv_transpose_and_pad_array_shared_kernelILj256ELj4E21rocsparse_complex_numIdEEEviiiPKT1_PS3_S3_.num_agpr, 0
	.set _ZN9rocsparseL42gtsv_transpose_and_pad_array_shared_kernelILj256ELj4E21rocsparse_complex_numIdEEEviiiPKT1_PS3_S3_.numbered_sgpr, 16
	.set _ZN9rocsparseL42gtsv_transpose_and_pad_array_shared_kernelILj256ELj4E21rocsparse_complex_numIdEEEviiiPKT1_PS3_S3_.num_named_barrier, 0
	.set _ZN9rocsparseL42gtsv_transpose_and_pad_array_shared_kernelILj256ELj4E21rocsparse_complex_numIdEEEviiiPKT1_PS3_S3_.private_seg_size, 0
	.set _ZN9rocsparseL42gtsv_transpose_and_pad_array_shared_kernelILj256ELj4E21rocsparse_complex_numIdEEEviiiPKT1_PS3_S3_.uses_vcc, 1
	.set _ZN9rocsparseL42gtsv_transpose_and_pad_array_shared_kernelILj256ELj4E21rocsparse_complex_numIdEEEviiiPKT1_PS3_S3_.uses_flat_scratch, 0
	.set _ZN9rocsparseL42gtsv_transpose_and_pad_array_shared_kernelILj256ELj4E21rocsparse_complex_numIdEEEviiiPKT1_PS3_S3_.has_dyn_sized_stack, 0
	.set _ZN9rocsparseL42gtsv_transpose_and_pad_array_shared_kernelILj256ELj4E21rocsparse_complex_numIdEEEviiiPKT1_PS3_S3_.has_recursion, 0
	.set _ZN9rocsparseL42gtsv_transpose_and_pad_array_shared_kernelILj256ELj4E21rocsparse_complex_numIdEEEviiiPKT1_PS3_S3_.has_indirect_call, 0
	.section	.AMDGPU.csdata,"",@progbits
; Kernel info:
; codeLenInByte = 276
; TotalNumSgprs: 20
; NumVgprs: 7
; ScratchSize: 0
; MemoryBound: 0
; FloatMode: 240
; IeeeMode: 1
; LDSByteSize: 4096 bytes/workgroup (compile time only)
; SGPRBlocks: 2
; VGPRBlocks: 1
; NumSGPRsForWavesPerEU: 20
; NumVGPRsForWavesPerEU: 7
; Occupancy: 10
; WaveLimiterHint : 0
; COMPUTE_PGM_RSRC2:SCRATCH_EN: 0
; COMPUTE_PGM_RSRC2:USER_SGPR: 6
; COMPUTE_PGM_RSRC2:TRAP_HANDLER: 0
; COMPUTE_PGM_RSRC2:TGID_X_EN: 1
; COMPUTE_PGM_RSRC2:TGID_Y_EN: 1
; COMPUTE_PGM_RSRC2:TGID_Z_EN: 0
; COMPUTE_PGM_RSRC2:TIDIG_COMP_CNT: 0
	.section	.text._ZN9rocsparseL18gtsv_LBM_wv_kernelILj256ELj4E21rocsparse_complex_numIdEEEviiiPKT1_S5_S5_PS3_S6_S6_Pi,"axG",@progbits,_ZN9rocsparseL18gtsv_LBM_wv_kernelILj256ELj4E21rocsparse_complex_numIdEEEviiiPKT1_S5_S5_PS3_S6_S6_Pi,comdat
	.globl	_ZN9rocsparseL18gtsv_LBM_wv_kernelILj256ELj4E21rocsparse_complex_numIdEEEviiiPKT1_S5_S5_PS3_S6_S6_Pi ; -- Begin function _ZN9rocsparseL18gtsv_LBM_wv_kernelILj256ELj4E21rocsparse_complex_numIdEEEviiiPKT1_S5_S5_PS3_S6_S6_Pi
	.p2align	8
	.type	_ZN9rocsparseL18gtsv_LBM_wv_kernelILj256ELj4E21rocsparse_complex_numIdEEEviiiPKT1_S5_S5_PS3_S6_S6_Pi,@function
_ZN9rocsparseL18gtsv_LBM_wv_kernelILj256ELj4E21rocsparse_complex_numIdEEEviiiPKT1_S5_S5_PS3_S6_S6_Pi: ; @_ZN9rocsparseL18gtsv_LBM_wv_kernelILj256ELj4E21rocsparse_complex_numIdEEEviiiPKT1_S5_S5_PS3_S6_S6_Pi
; %bb.0:
	s_load_dword s29, s[4:5], 0x0
	v_lshl_or_b32 v40, s6, 8, v0
	s_waitcnt lgkmcnt(0)
	s_lshr_b32 s28, s29, 2
	v_cmp_gt_i32_e32 vcc, s28, v40
	s_and_saveexec_b64 s[0:1], vcc
	s_cbranch_execz .LBB287_72
; %bb.1:
	s_load_dwordx2 s[16:17], s[4:5], 0x10
	s_load_dwordx8 s[8:15], s[4:5], 0x20
	v_ashrrev_i32_e32 v41, 31, v40
	v_lshlrev_b64 v[0:1], 4, v[40:41]
	s_mul_i32 s30, s28, 3
	v_add_u32_e32 v9, s30, v40
	v_mov_b32_e32 v10, 0
	s_waitcnt lgkmcnt(0)
	v_mov_b32_e32 v3, s17
	v_add_co_u32_e32 v2, vcc, s16, v0
	v_lshlrev_b64 v[11:12], 4, v[9:10]
	v_addc_co_u32_e32 v3, vcc, v3, v1, vcc
	v_mov_b32_e32 v7, s9
	v_add_co_u32_e32 v6, vcc, s8, v11
	global_load_dwordx4 v[2:5], v[2:3], off
	v_addc_co_u32_e32 v7, vcc, v7, v12, vcc
	global_load_dwordx4 v[6:9], v[6:7], off
	s_load_dwordx2 s[6:7], s[4:5], 0x40
	v_mov_b32_e32 v13, s13
	v_add_co_u32_e32 v11, vcc, s12, v11
	v_addc_co_u32_e32 v12, vcc, v13, v12, vcc
	v_mov_b32_e32 v14, s11
	v_add_co_u32_e32 v41, vcc, s10, v0
	s_cmp_lt_i32 s29, 1
	v_add_u32_e32 v61, s28, v40
	v_addc_co_u32_e32 v42, vcc, v14, v1, vcc
	v_mov_b32_e32 v43, v10
	s_waitcnt vmcnt(1)
	global_store_dwordx4 v[41:42], v[2:5], off
	s_waitcnt vmcnt(1)
	global_store_dwordx4 v[11:12], v[6:9], off
	s_cbranch_scc1 .LBB287_65
; %bb.2:
	s_load_dwordx2 s[18:19], s[4:5], 0x18
	s_mov_b32 s22, 0
	s_mov_b32 s24, 0x372fe950
	s_lshl_b32 s31, s28, 1
	v_add_u32_e32 v62, s28, v61
	s_waitcnt lgkmcnt(0)
	v_mov_b32_e32 v2, s19
	v_add_co_u32_e32 v0, vcc, s18, v0
	v_addc_co_u32_e32 v1, vcc, v2, v1, vcc
	global_load_dwordx4 v[0:3], v[0:1], off
	v_mov_b32_e32 v43, 0
	s_mov_b64 s[20:21], 0
	s_brev_b32 s23, 8
	v_mov_b32_e32 v63, 0x260
	s_mov_b32 s25, 0x3fe3c6ef
	v_mov_b32_e32 v64, 2
	v_mov_b32_e32 v65, 1
	;; [unrolled: 1-line block ×4, first 2 shown]
	s_branch .LBB287_5
.LBB287_3:                              ;   in Loop: Header=BB287_5 Depth=1
	s_or_b64 exec, exec, s[4:5]
	v_mul_f64 v[4:5], v[0:1], -v[32:33]
	v_mul_f64 v[0:1], v[0:1], v[34:35]
	v_mov_b32_e32 v8, s28
	v_fma_f64 v[4:5], v[34:35], v[2:3], v[4:5]
	v_fma_f64 v[2:3], v[32:33], v[2:3], v[0:1]
	v_add_f64 v[0:1], v[20:21], -v[4:5]
	v_add_f64 v[2:3], v[22:23], -v[2:3]
.LBB287_4:                              ;   in Loop: Header=BB287_5 Depth=1
	s_or_b64 exec, exec, s[2:3]
	v_add_u32_e32 v43, v8, v43
	v_cmp_le_i32_e32 vcc, s29, v43
	s_or_b64 s[20:21], vcc, s[20:21]
	s_andn2_b64 exec, exec, s[20:21]
	s_cbranch_execz .LBB287_64
.LBB287_5:                              ; =>This Inner Loop Header: Depth=1
	v_add_u32_e32 v45, v43, v40
	v_ashrrev_i32_e32 v46, 31, v45
	v_lshlrev_b64 v[47:48], 4, v[45:46]
	v_mov_b32_e32 v5, s9
	v_add_co_u32_e32 v4, vcc, s8, v47
	v_addc_co_u32_e32 v5, vcc, v5, v48, vcc
	global_load_dwordx4 v[16:19], v[4:5], off
	v_mov_b32_e32 v20, 0
	v_mov_b32_e32 v4, 0
	;; [unrolled: 1-line block ×6, first 2 shown]
	v_cmp_gt_u32_e64 s[0:1], s30, v43
	s_and_saveexec_b64 s[2:3], s[0:1]
	s_cbranch_execz .LBB287_7
; %bb.6:                                ;   in Loop: Header=BB287_5 Depth=1
	v_add_u32_e32 v4, v61, v43
	v_ashrrev_i32_e32 v5, 31, v4
	v_lshlrev_b64 v[4:5], 4, v[4:5]
	v_mov_b32_e32 v6, s17
	v_add_co_u32_e32 v4, vcc, s16, v4
	v_addc_co_u32_e32 v5, vcc, v6, v5, vcc
	global_load_dwordx4 v[4:7], v[4:5], off
.LBB287_7:                              ;   in Loop: Header=BB287_5 Depth=1
	s_or_b64 exec, exec, s[2:3]
	v_mov_b32_e32 v22, 0
	v_mov_b32_e32 v23, 0
	s_and_saveexec_b64 s[2:3], s[0:1]
	s_cbranch_execz .LBB287_9
; %bb.8:                                ;   in Loop: Header=BB287_5 Depth=1
	v_add_u32_e32 v8, v61, v43
	v_ashrrev_i32_e32 v9, 31, v8
	v_lshlrev_b64 v[8:9], 4, v[8:9]
	v_mov_b32_e32 v10, s19
	v_add_co_u32_e32 v8, vcc, s18, v8
	v_addc_co_u32_e32 v9, vcc, v10, v9, vcc
	global_load_dwordx4 v[20:23], v[8:9], off
.LBB287_9:                              ;   in Loop: Header=BB287_5 Depth=1
	s_or_b64 exec, exec, s[2:3]
	v_mov_b32_e32 v12, 0
	v_mov_b32_e32 v8, 0
	;; [unrolled: 1-line block ×6, first 2 shown]
	s_and_saveexec_b64 s[2:3], s[0:1]
	s_cbranch_execz .LBB287_11
; %bb.10:                               ;   in Loop: Header=BB287_5 Depth=1
	v_add_u32_e32 v8, v61, v43
	v_ashrrev_i32_e32 v9, 31, v8
	v_lshlrev_b64 v[8:9], 4, v[8:9]
	v_mov_b32_e32 v10, s9
	v_add_co_u32_e32 v8, vcc, s8, v8
	v_addc_co_u32_e32 v9, vcc, v10, v9, vcc
	global_load_dwordx4 v[8:11], v[8:9], off
.LBB287_11:                             ;   in Loop: Header=BB287_5 Depth=1
	s_or_b64 exec, exec, s[2:3]
	v_mov_b32_e32 v14, 0
	v_mov_b32_e32 v15, 0
	v_cmp_gt_u32_e64 s[2:3], s31, v43
	s_and_saveexec_b64 s[4:5], s[2:3]
	s_cbranch_execz .LBB287_13
; %bb.12:                               ;   in Loop: Header=BB287_5 Depth=1
	v_add_u32_e32 v12, v62, v43
	v_ashrrev_i32_e32 v13, 31, v12
	v_lshlrev_b64 v[12:13], 4, v[12:13]
	v_mov_b32_e32 v14, s17
	v_add_co_u32_e32 v12, vcc, s16, v12
	v_addc_co_u32_e32 v13, vcc, v14, v13, vcc
	global_load_dwordx4 v[12:15], v[12:13], off
.LBB287_13:                             ;   in Loop: Header=BB287_5 Depth=1
	s_or_b64 exec, exec, s[4:5]
	s_waitcnt vmcnt(0)
	v_cmp_gt_f64_e32 vcc, 0, v[4:5]
	v_xor_b32_e32 v24, 0x80000000, v5
	v_mov_b32_e32 v26, v4
	v_mov_b32_e32 v28, v6
	v_cndmask_b32_e32 v27, v5, v24, vcc
	v_cmp_gt_f64_e32 vcc, 0, v[6:7]
	v_xor_b32_e32 v24, 0x80000000, v7
	v_cndmask_b32_e32 v29, v7, v24, vcc
	v_cmp_ngt_f64_e32 vcc, v[26:27], v[28:29]
                                        ; implicit-def: $vgpr24_vgpr25
	s_and_saveexec_b64 s[4:5], vcc
	s_xor_b64 s[4:5], exec, s[4:5]
	s_cbranch_execz .LBB287_17
; %bb.14:                               ;   in Loop: Header=BB287_5 Depth=1
	v_cmp_neq_f64_e32 vcc, 0, v[6:7]
	v_mov_b32_e32 v24, 0
	v_mov_b32_e32 v25, 0
	s_and_saveexec_b64 s[26:27], vcc
	s_cbranch_execz .LBB287_16
; %bb.15:                               ;   in Loop: Header=BB287_5 Depth=1
	v_div_scale_f64 v[24:25], s[34:35], v[28:29], v[28:29], v[26:27]
	v_rcp_f64_e32 v[30:31], v[24:25]
	v_fma_f64 v[32:33], -v[24:25], v[30:31], 1.0
	v_fma_f64 v[30:31], v[30:31], v[32:33], v[30:31]
	v_div_scale_f64 v[32:33], vcc, v[26:27], v[28:29], v[26:27]
	v_fma_f64 v[34:35], -v[24:25], v[30:31], 1.0
	v_fma_f64 v[30:31], v[30:31], v[34:35], v[30:31]
	v_mul_f64 v[34:35], v[32:33], v[30:31]
	v_fma_f64 v[24:25], -v[24:25], v[34:35], v[32:33]
	v_div_fmas_f64 v[24:25], v[24:25], v[30:31], v[34:35]
	v_div_fixup_f64 v[24:25], v[24:25], v[28:29], v[26:27]
	v_fma_f64 v[24:25], v[24:25], v[24:25], 1.0
	v_cmp_gt_f64_e32 vcc, s[22:23], v[24:25]
	v_cndmask_b32_e32 v26, 0, v66, vcc
	v_ldexp_f64 v[24:25], v[24:25], v26
	v_rsq_f64_e32 v[26:27], v[24:25]
	v_mul_f64 v[30:31], v[24:25], v[26:27]
	v_mul_f64 v[26:27], v[26:27], 0.5
	v_fma_f64 v[32:33], -v[26:27], v[30:31], 0.5
	v_fma_f64 v[30:31], v[30:31], v[32:33], v[30:31]
	v_fma_f64 v[26:27], v[26:27], v[32:33], v[26:27]
	v_fma_f64 v[32:33], -v[30:31], v[30:31], v[24:25]
	v_fma_f64 v[30:31], v[32:33], v[26:27], v[30:31]
	v_fma_f64 v[32:33], -v[30:31], v[30:31], v[24:25]
	v_fma_f64 v[26:27], v[32:33], v[26:27], v[30:31]
	v_cndmask_b32_e32 v30, 0, v67, vcc
	v_cmp_class_f64_e32 vcc, v[24:25], v63
	v_ldexp_f64 v[26:27], v[26:27], v30
	v_cndmask_b32_e32 v25, v27, v25, vcc
	v_cndmask_b32_e32 v24, v26, v24, vcc
	v_mul_f64 v[24:25], v[28:29], v[24:25]
.LBB287_16:                             ;   in Loop: Header=BB287_5 Depth=1
	s_or_b64 exec, exec, s[26:27]
                                        ; implicit-def: $vgpr26_vgpr27
                                        ; implicit-def: $vgpr28_vgpr29
.LBB287_17:                             ;   in Loop: Header=BB287_5 Depth=1
	s_andn2_saveexec_b64 s[4:5], s[4:5]
	s_cbranch_execz .LBB287_19
; %bb.18:                               ;   in Loop: Header=BB287_5 Depth=1
	v_div_scale_f64 v[24:25], s[26:27], v[26:27], v[26:27], v[28:29]
	v_rcp_f64_e32 v[30:31], v[24:25]
	v_fma_f64 v[32:33], -v[24:25], v[30:31], 1.0
	v_fma_f64 v[30:31], v[30:31], v[32:33], v[30:31]
	v_div_scale_f64 v[32:33], vcc, v[28:29], v[26:27], v[28:29]
	v_fma_f64 v[34:35], -v[24:25], v[30:31], 1.0
	v_fma_f64 v[30:31], v[30:31], v[34:35], v[30:31]
	v_mul_f64 v[34:35], v[32:33], v[30:31]
	v_fma_f64 v[24:25], -v[24:25], v[34:35], v[32:33]
	v_div_fmas_f64 v[24:25], v[24:25], v[30:31], v[34:35]
	v_div_fixup_f64 v[24:25], v[24:25], v[26:27], v[28:29]
	v_fma_f64 v[24:25], v[24:25], v[24:25], 1.0
	v_cmp_gt_f64_e32 vcc, s[22:23], v[24:25]
	v_cndmask_b32_e32 v28, 0, v66, vcc
	v_ldexp_f64 v[24:25], v[24:25], v28
	v_rsq_f64_e32 v[28:29], v[24:25]
	v_mul_f64 v[30:31], v[24:25], v[28:29]
	v_mul_f64 v[28:29], v[28:29], 0.5
	v_fma_f64 v[32:33], -v[28:29], v[30:31], 0.5
	v_fma_f64 v[30:31], v[30:31], v[32:33], v[30:31]
	v_fma_f64 v[28:29], v[28:29], v[32:33], v[28:29]
	v_fma_f64 v[32:33], -v[30:31], v[30:31], v[24:25]
	v_fma_f64 v[30:31], v[32:33], v[28:29], v[30:31]
	v_fma_f64 v[32:33], -v[30:31], v[30:31], v[24:25]
	v_fma_f64 v[28:29], v[32:33], v[28:29], v[30:31]
	v_cndmask_b32_e32 v30, 0, v67, vcc
	v_cmp_class_f64_e32 vcc, v[24:25], v63
	v_ldexp_f64 v[28:29], v[28:29], v30
	v_cndmask_b32_e32 v25, v29, v25, vcc
	v_cndmask_b32_e32 v24, v28, v24, vcc
	v_mul_f64 v[24:25], v[26:27], v[24:25]
.LBB287_19:                             ;   in Loop: Header=BB287_5 Depth=1
	s_or_b64 exec, exec, s[4:5]
	v_cmp_gt_f64_e32 vcc, 0, v[12:13]
	v_xor_b32_e32 v26, 0x80000000, v13
	v_mov_b32_e32 v28, v12
	v_mov_b32_e32 v30, v14
	v_cndmask_b32_e32 v29, v13, v26, vcc
	v_cmp_gt_f64_e32 vcc, 0, v[14:15]
	v_xor_b32_e32 v26, 0x80000000, v15
	v_cndmask_b32_e32 v31, v15, v26, vcc
	v_cmp_ngt_f64_e32 vcc, v[28:29], v[30:31]
                                        ; implicit-def: $vgpr26_vgpr27
	s_and_saveexec_b64 s[4:5], vcc
	s_xor_b64 s[4:5], exec, s[4:5]
	s_cbranch_execz .LBB287_23
; %bb.20:                               ;   in Loop: Header=BB287_5 Depth=1
	v_cmp_neq_f64_e32 vcc, 0, v[14:15]
	v_mov_b32_e32 v26, 0
	v_mov_b32_e32 v27, 0
	s_and_saveexec_b64 s[26:27], vcc
	s_cbranch_execz .LBB287_22
; %bb.21:                               ;   in Loop: Header=BB287_5 Depth=1
	v_div_scale_f64 v[26:27], s[34:35], v[30:31], v[30:31], v[28:29]
	v_rcp_f64_e32 v[32:33], v[26:27]
	v_fma_f64 v[34:35], -v[26:27], v[32:33], 1.0
	v_fma_f64 v[32:33], v[32:33], v[34:35], v[32:33]
	v_div_scale_f64 v[34:35], vcc, v[28:29], v[30:31], v[28:29]
	v_fma_f64 v[36:37], -v[26:27], v[32:33], 1.0
	v_fma_f64 v[32:33], v[32:33], v[36:37], v[32:33]
	v_mul_f64 v[36:37], v[34:35], v[32:33]
	v_fma_f64 v[26:27], -v[26:27], v[36:37], v[34:35]
	v_div_fmas_f64 v[26:27], v[26:27], v[32:33], v[36:37]
	v_div_fixup_f64 v[26:27], v[26:27], v[30:31], v[28:29]
	v_fma_f64 v[26:27], v[26:27], v[26:27], 1.0
	v_cmp_gt_f64_e32 vcc, s[22:23], v[26:27]
	v_cndmask_b32_e32 v28, 0, v66, vcc
	v_ldexp_f64 v[26:27], v[26:27], v28
	v_rsq_f64_e32 v[28:29], v[26:27]
	v_mul_f64 v[32:33], v[26:27], v[28:29]
	v_mul_f64 v[28:29], v[28:29], 0.5
	v_fma_f64 v[34:35], -v[28:29], v[32:33], 0.5
	v_fma_f64 v[32:33], v[32:33], v[34:35], v[32:33]
	v_fma_f64 v[28:29], v[28:29], v[34:35], v[28:29]
	v_fma_f64 v[34:35], -v[32:33], v[32:33], v[26:27]
	v_fma_f64 v[32:33], v[34:35], v[28:29], v[32:33]
	v_fma_f64 v[34:35], -v[32:33], v[32:33], v[26:27]
	v_fma_f64 v[28:29], v[34:35], v[28:29], v[32:33]
	v_cndmask_b32_e32 v32, 0, v67, vcc
	v_cmp_class_f64_e32 vcc, v[26:27], v63
	v_ldexp_f64 v[28:29], v[28:29], v32
	v_cndmask_b32_e32 v27, v29, v27, vcc
	v_cndmask_b32_e32 v26, v28, v26, vcc
	v_mul_f64 v[26:27], v[30:31], v[26:27]
.LBB287_22:                             ;   in Loop: Header=BB287_5 Depth=1
	s_or_b64 exec, exec, s[26:27]
                                        ; implicit-def: $vgpr28_vgpr29
                                        ; implicit-def: $vgpr30_vgpr31
.LBB287_23:                             ;   in Loop: Header=BB287_5 Depth=1
	s_andn2_saveexec_b64 s[4:5], s[4:5]
	s_cbranch_execz .LBB287_25
; %bb.24:                               ;   in Loop: Header=BB287_5 Depth=1
	v_div_scale_f64 v[26:27], s[26:27], v[28:29], v[28:29], v[30:31]
	v_rcp_f64_e32 v[32:33], v[26:27]
	v_fma_f64 v[34:35], -v[26:27], v[32:33], 1.0
	v_fma_f64 v[32:33], v[32:33], v[34:35], v[32:33]
	v_div_scale_f64 v[34:35], vcc, v[30:31], v[28:29], v[30:31]
	v_fma_f64 v[36:37], -v[26:27], v[32:33], 1.0
	v_fma_f64 v[32:33], v[32:33], v[36:37], v[32:33]
	v_mul_f64 v[36:37], v[34:35], v[32:33]
	v_fma_f64 v[26:27], -v[26:27], v[36:37], v[34:35]
	v_div_fmas_f64 v[26:27], v[26:27], v[32:33], v[36:37]
	v_div_fixup_f64 v[26:27], v[26:27], v[28:29], v[30:31]
	v_fma_f64 v[26:27], v[26:27], v[26:27], 1.0
	v_cmp_gt_f64_e32 vcc, s[22:23], v[26:27]
	v_cndmask_b32_e32 v30, 0, v66, vcc
	v_ldexp_f64 v[26:27], v[26:27], v30
	v_rsq_f64_e32 v[30:31], v[26:27]
	v_mul_f64 v[32:33], v[26:27], v[30:31]
	v_mul_f64 v[30:31], v[30:31], 0.5
	v_fma_f64 v[34:35], -v[30:31], v[32:33], 0.5
	v_fma_f64 v[32:33], v[32:33], v[34:35], v[32:33]
	v_fma_f64 v[30:31], v[30:31], v[34:35], v[30:31]
	v_fma_f64 v[34:35], -v[32:33], v[32:33], v[26:27]
	v_fma_f64 v[32:33], v[34:35], v[30:31], v[32:33]
	v_fma_f64 v[34:35], -v[32:33], v[32:33], v[26:27]
	v_fma_f64 v[30:31], v[34:35], v[30:31], v[32:33]
	v_cndmask_b32_e32 v32, 0, v67, vcc
	v_cmp_class_f64_e32 vcc, v[26:27], v63
	v_ldexp_f64 v[30:31], v[30:31], v32
	v_cndmask_b32_e32 v27, v31, v27, vcc
	v_cndmask_b32_e32 v26, v30, v26, vcc
	v_mul_f64 v[26:27], v[28:29], v[26:27]
.LBB287_25:                             ;   in Loop: Header=BB287_5 Depth=1
	s_or_b64 exec, exec, s[4:5]
	v_cmp_gt_f64_e32 vcc, 0, v[20:21]
	v_xor_b32_e32 v28, 0x80000000, v21
	v_mov_b32_e32 v30, v20
	v_mov_b32_e32 v32, v22
	v_cndmask_b32_e32 v31, v21, v28, vcc
	v_cmp_gt_f64_e32 vcc, 0, v[22:23]
	v_xor_b32_e32 v28, 0x80000000, v23
	v_cndmask_b32_e32 v33, v23, v28, vcc
	v_cmp_ngt_f64_e32 vcc, v[30:31], v[32:33]
                                        ; implicit-def: $vgpr28_vgpr29
	s_and_saveexec_b64 s[4:5], vcc
	s_xor_b64 s[4:5], exec, s[4:5]
	s_cbranch_execz .LBB287_29
; %bb.26:                               ;   in Loop: Header=BB287_5 Depth=1
	v_cmp_neq_f64_e32 vcc, 0, v[22:23]
	v_mov_b32_e32 v28, 0
	v_mov_b32_e32 v29, 0
	s_and_saveexec_b64 s[26:27], vcc
	s_cbranch_execz .LBB287_28
; %bb.27:                               ;   in Loop: Header=BB287_5 Depth=1
	v_div_scale_f64 v[28:29], s[34:35], v[32:33], v[32:33], v[30:31]
	v_rcp_f64_e32 v[34:35], v[28:29]
	v_fma_f64 v[36:37], -v[28:29], v[34:35], 1.0
	v_fma_f64 v[34:35], v[34:35], v[36:37], v[34:35]
	v_div_scale_f64 v[36:37], vcc, v[30:31], v[32:33], v[30:31]
	v_fma_f64 v[38:39], -v[28:29], v[34:35], 1.0
	v_fma_f64 v[34:35], v[34:35], v[38:39], v[34:35]
	v_mul_f64 v[38:39], v[36:37], v[34:35]
	v_fma_f64 v[28:29], -v[28:29], v[38:39], v[36:37]
	v_div_fmas_f64 v[28:29], v[28:29], v[34:35], v[38:39]
	v_div_fixup_f64 v[28:29], v[28:29], v[32:33], v[30:31]
	v_fma_f64 v[28:29], v[28:29], v[28:29], 1.0
	v_cmp_gt_f64_e32 vcc, s[22:23], v[28:29]
	v_cndmask_b32_e32 v30, 0, v66, vcc
	v_ldexp_f64 v[28:29], v[28:29], v30
	v_rsq_f64_e32 v[30:31], v[28:29]
	v_mul_f64 v[34:35], v[28:29], v[30:31]
	v_mul_f64 v[30:31], v[30:31], 0.5
	v_fma_f64 v[36:37], -v[30:31], v[34:35], 0.5
	v_fma_f64 v[34:35], v[34:35], v[36:37], v[34:35]
	v_fma_f64 v[30:31], v[30:31], v[36:37], v[30:31]
	v_fma_f64 v[36:37], -v[34:35], v[34:35], v[28:29]
	v_fma_f64 v[34:35], v[36:37], v[30:31], v[34:35]
	v_fma_f64 v[36:37], -v[34:35], v[34:35], v[28:29]
	v_fma_f64 v[30:31], v[36:37], v[30:31], v[34:35]
	v_cndmask_b32_e32 v34, 0, v67, vcc
	v_cmp_class_f64_e32 vcc, v[28:29], v63
	v_ldexp_f64 v[30:31], v[30:31], v34
	v_cndmask_b32_e32 v29, v31, v29, vcc
	v_cndmask_b32_e32 v28, v30, v28, vcc
	v_mul_f64 v[28:29], v[32:33], v[28:29]
.LBB287_28:                             ;   in Loop: Header=BB287_5 Depth=1
	s_or_b64 exec, exec, s[26:27]
                                        ; implicit-def: $vgpr30_vgpr31
                                        ; implicit-def: $vgpr32_vgpr33
.LBB287_29:                             ;   in Loop: Header=BB287_5 Depth=1
	s_andn2_saveexec_b64 s[4:5], s[4:5]
	s_cbranch_execz .LBB287_31
; %bb.30:                               ;   in Loop: Header=BB287_5 Depth=1
	v_div_scale_f64 v[28:29], s[26:27], v[30:31], v[30:31], v[32:33]
	v_rcp_f64_e32 v[34:35], v[28:29]
	v_fma_f64 v[36:37], -v[28:29], v[34:35], 1.0
	v_fma_f64 v[34:35], v[34:35], v[36:37], v[34:35]
	v_div_scale_f64 v[36:37], vcc, v[32:33], v[30:31], v[32:33]
	v_fma_f64 v[38:39], -v[28:29], v[34:35], 1.0
	v_fma_f64 v[34:35], v[34:35], v[38:39], v[34:35]
	v_mul_f64 v[38:39], v[36:37], v[34:35]
	v_fma_f64 v[28:29], -v[28:29], v[38:39], v[36:37]
	v_div_fmas_f64 v[28:29], v[28:29], v[34:35], v[38:39]
	v_div_fixup_f64 v[28:29], v[28:29], v[30:31], v[32:33]
	v_fma_f64 v[28:29], v[28:29], v[28:29], 1.0
	v_cmp_gt_f64_e32 vcc, s[22:23], v[28:29]
	v_cndmask_b32_e32 v32, 0, v66, vcc
	v_ldexp_f64 v[28:29], v[28:29], v32
	v_rsq_f64_e32 v[32:33], v[28:29]
	v_mul_f64 v[34:35], v[28:29], v[32:33]
	v_mul_f64 v[32:33], v[32:33], 0.5
	v_fma_f64 v[36:37], -v[32:33], v[34:35], 0.5
	v_fma_f64 v[34:35], v[34:35], v[36:37], v[34:35]
	v_fma_f64 v[32:33], v[32:33], v[36:37], v[32:33]
	v_fma_f64 v[36:37], -v[34:35], v[34:35], v[28:29]
	v_fma_f64 v[34:35], v[36:37], v[32:33], v[34:35]
	v_fma_f64 v[36:37], -v[34:35], v[34:35], v[28:29]
	v_fma_f64 v[32:33], v[36:37], v[32:33], v[34:35]
	v_cndmask_b32_e32 v34, 0, v67, vcc
	v_cmp_class_f64_e32 vcc, v[28:29], v63
	v_ldexp_f64 v[32:33], v[32:33], v34
	v_cndmask_b32_e32 v29, v33, v29, vcc
	v_cndmask_b32_e32 v28, v32, v28, vcc
	v_mul_f64 v[28:29], v[30:31], v[28:29]
.LBB287_31:                             ;   in Loop: Header=BB287_5 Depth=1
	s_or_b64 exec, exec, s[4:5]
	v_cmp_gt_f64_e32 vcc, 0, v[16:17]
	v_xor_b32_e32 v30, 0x80000000, v17
	v_mov_b32_e32 v32, v16
	v_mov_b32_e32 v34, v18
	v_cndmask_b32_e32 v33, v17, v30, vcc
	v_cmp_gt_f64_e32 vcc, 0, v[18:19]
	v_xor_b32_e32 v30, 0x80000000, v19
	v_cndmask_b32_e32 v35, v19, v30, vcc
	v_cmp_ngt_f64_e32 vcc, v[32:33], v[34:35]
                                        ; implicit-def: $vgpr30_vgpr31
	s_and_saveexec_b64 s[4:5], vcc
	s_xor_b64 s[4:5], exec, s[4:5]
	s_cbranch_execz .LBB287_35
; %bb.32:                               ;   in Loop: Header=BB287_5 Depth=1
	v_cmp_neq_f64_e32 vcc, 0, v[18:19]
	v_mov_b32_e32 v30, 0
	v_mov_b32_e32 v31, 0
	s_and_saveexec_b64 s[26:27], vcc
	s_cbranch_execz .LBB287_34
; %bb.33:                               ;   in Loop: Header=BB287_5 Depth=1
	v_div_scale_f64 v[30:31], s[34:35], v[34:35], v[34:35], v[32:33]
	v_rcp_f64_e32 v[36:37], v[30:31]
	v_fma_f64 v[38:39], -v[30:31], v[36:37], 1.0
	v_fma_f64 v[36:37], v[36:37], v[38:39], v[36:37]
	v_div_scale_f64 v[38:39], vcc, v[32:33], v[34:35], v[32:33]
	v_fma_f64 v[49:50], -v[30:31], v[36:37], 1.0
	v_fma_f64 v[36:37], v[36:37], v[49:50], v[36:37]
	v_mul_f64 v[49:50], v[38:39], v[36:37]
	v_fma_f64 v[30:31], -v[30:31], v[49:50], v[38:39]
	v_div_fmas_f64 v[30:31], v[30:31], v[36:37], v[49:50]
	v_div_fixup_f64 v[30:31], v[30:31], v[34:35], v[32:33]
	v_fma_f64 v[30:31], v[30:31], v[30:31], 1.0
	v_cmp_gt_f64_e32 vcc, s[22:23], v[30:31]
	v_cndmask_b32_e32 v32, 0, v66, vcc
	v_ldexp_f64 v[30:31], v[30:31], v32
	v_rsq_f64_e32 v[32:33], v[30:31]
	v_mul_f64 v[36:37], v[30:31], v[32:33]
	v_mul_f64 v[32:33], v[32:33], 0.5
	v_fma_f64 v[38:39], -v[32:33], v[36:37], 0.5
	v_fma_f64 v[36:37], v[36:37], v[38:39], v[36:37]
	v_fma_f64 v[32:33], v[32:33], v[38:39], v[32:33]
	v_fma_f64 v[38:39], -v[36:37], v[36:37], v[30:31]
	v_fma_f64 v[36:37], v[38:39], v[32:33], v[36:37]
	v_fma_f64 v[38:39], -v[36:37], v[36:37], v[30:31]
	v_fma_f64 v[32:33], v[38:39], v[32:33], v[36:37]
	v_cndmask_b32_e32 v36, 0, v67, vcc
	v_cmp_class_f64_e32 vcc, v[30:31], v63
	v_ldexp_f64 v[32:33], v[32:33], v36
	v_cndmask_b32_e32 v31, v33, v31, vcc
	v_cndmask_b32_e32 v30, v32, v30, vcc
	v_mul_f64 v[30:31], v[34:35], v[30:31]
.LBB287_34:                             ;   in Loop: Header=BB287_5 Depth=1
	s_or_b64 exec, exec, s[26:27]
                                        ; implicit-def: $vgpr32_vgpr33
                                        ; implicit-def: $vgpr34_vgpr35
.LBB287_35:                             ;   in Loop: Header=BB287_5 Depth=1
	s_andn2_saveexec_b64 s[4:5], s[4:5]
	s_cbranch_execz .LBB287_37
; %bb.36:                               ;   in Loop: Header=BB287_5 Depth=1
	v_div_scale_f64 v[30:31], s[26:27], v[32:33], v[32:33], v[34:35]
	v_rcp_f64_e32 v[36:37], v[30:31]
	v_fma_f64 v[38:39], -v[30:31], v[36:37], 1.0
	v_fma_f64 v[36:37], v[36:37], v[38:39], v[36:37]
	v_div_scale_f64 v[38:39], vcc, v[34:35], v[32:33], v[34:35]
	v_fma_f64 v[49:50], -v[30:31], v[36:37], 1.0
	v_fma_f64 v[36:37], v[36:37], v[49:50], v[36:37]
	v_mul_f64 v[49:50], v[38:39], v[36:37]
	v_fma_f64 v[30:31], -v[30:31], v[49:50], v[38:39]
	v_div_fmas_f64 v[30:31], v[30:31], v[36:37], v[49:50]
	v_div_fixup_f64 v[30:31], v[30:31], v[32:33], v[34:35]
	v_fma_f64 v[30:31], v[30:31], v[30:31], 1.0
	v_cmp_gt_f64_e32 vcc, s[22:23], v[30:31]
	v_cndmask_b32_e32 v34, 0, v66, vcc
	v_ldexp_f64 v[30:31], v[30:31], v34
	v_rsq_f64_e32 v[34:35], v[30:31]
	v_mul_f64 v[36:37], v[30:31], v[34:35]
	v_mul_f64 v[34:35], v[34:35], 0.5
	v_fma_f64 v[38:39], -v[34:35], v[36:37], 0.5
	v_fma_f64 v[36:37], v[36:37], v[38:39], v[36:37]
	v_fma_f64 v[34:35], v[34:35], v[38:39], v[34:35]
	v_fma_f64 v[38:39], -v[36:37], v[36:37], v[30:31]
	v_fma_f64 v[36:37], v[38:39], v[34:35], v[36:37]
	v_fma_f64 v[38:39], -v[36:37], v[36:37], v[30:31]
	v_fma_f64 v[34:35], v[38:39], v[34:35], v[36:37]
	v_cndmask_b32_e32 v36, 0, v67, vcc
	v_cmp_class_f64_e32 vcc, v[30:31], v63
	v_ldexp_f64 v[34:35], v[34:35], v36
	v_cndmask_b32_e32 v31, v35, v31, vcc
	v_cndmask_b32_e32 v30, v34, v30, vcc
	v_mul_f64 v[30:31], v[32:33], v[30:31]
.LBB287_37:                             ;   in Loop: Header=BB287_5 Depth=1
	s_or_b64 exec, exec, s[4:5]
	v_cmp_gt_f64_e32 vcc, 0, v[8:9]
	v_xor_b32_e32 v32, 0x80000000, v9
	v_xor_b32_e32 v34, 0x80000000, v11
                                        ; implicit-def: $vgpr36_vgpr37
	v_cndmask_b32_e32 v33, v9, v32, vcc
	v_cmp_gt_f64_e32 vcc, 0, v[10:11]
	v_mov_b32_e32 v32, v8
	v_cndmask_b32_e32 v35, v11, v34, vcc
	v_mov_b32_e32 v34, v10
	v_cmp_ngt_f64_e32 vcc, v[32:33], v[34:35]
	s_and_saveexec_b64 s[4:5], vcc
	s_xor_b64 s[4:5], exec, s[4:5]
	s_cbranch_execz .LBB287_41
; %bb.38:                               ;   in Loop: Header=BB287_5 Depth=1
	v_cmp_neq_f64_e32 vcc, 0, v[10:11]
	v_mov_b32_e32 v36, 0
	v_mov_b32_e32 v37, 0
	s_and_saveexec_b64 s[26:27], vcc
	s_cbranch_execz .LBB287_40
; %bb.39:                               ;   in Loop: Header=BB287_5 Depth=1
	v_div_scale_f64 v[36:37], s[34:35], v[34:35], v[34:35], v[32:33]
	v_rcp_f64_e32 v[38:39], v[36:37]
	v_fma_f64 v[49:50], -v[36:37], v[38:39], 1.0
	v_fma_f64 v[38:39], v[38:39], v[49:50], v[38:39]
	v_div_scale_f64 v[49:50], vcc, v[32:33], v[34:35], v[32:33]
	v_fma_f64 v[51:52], -v[36:37], v[38:39], 1.0
	v_fma_f64 v[38:39], v[38:39], v[51:52], v[38:39]
	v_mul_f64 v[51:52], v[49:50], v[38:39]
	v_fma_f64 v[36:37], -v[36:37], v[51:52], v[49:50]
	v_div_fmas_f64 v[36:37], v[36:37], v[38:39], v[51:52]
	v_div_fixup_f64 v[32:33], v[36:37], v[34:35], v[32:33]
	v_fma_f64 v[32:33], v[32:33], v[32:33], 1.0
	v_cmp_gt_f64_e32 vcc, s[22:23], v[32:33]
	v_cndmask_b32_e32 v36, 0, v66, vcc
	v_ldexp_f64 v[32:33], v[32:33], v36
	v_rsq_f64_e32 v[36:37], v[32:33]
	v_mul_f64 v[38:39], v[32:33], v[36:37]
	v_mul_f64 v[36:37], v[36:37], 0.5
	v_fma_f64 v[49:50], -v[36:37], v[38:39], 0.5
	v_fma_f64 v[38:39], v[38:39], v[49:50], v[38:39]
	v_fma_f64 v[36:37], v[36:37], v[49:50], v[36:37]
	v_fma_f64 v[49:50], -v[38:39], v[38:39], v[32:33]
	v_fma_f64 v[38:39], v[49:50], v[36:37], v[38:39]
	v_fma_f64 v[49:50], -v[38:39], v[38:39], v[32:33]
	v_fma_f64 v[36:37], v[49:50], v[36:37], v[38:39]
	v_cndmask_b32_e32 v38, 0, v67, vcc
	v_cmp_class_f64_e32 vcc, v[32:33], v63
	v_ldexp_f64 v[36:37], v[36:37], v38
	v_cndmask_b32_e32 v33, v37, v33, vcc
	v_cndmask_b32_e32 v32, v36, v32, vcc
	v_mul_f64 v[36:37], v[34:35], v[32:33]
.LBB287_40:                             ;   in Loop: Header=BB287_5 Depth=1
	s_or_b64 exec, exec, s[26:27]
                                        ; implicit-def: $vgpr32_vgpr33
                                        ; implicit-def: $vgpr34_vgpr35
.LBB287_41:                             ;   in Loop: Header=BB287_5 Depth=1
	s_andn2_saveexec_b64 s[4:5], s[4:5]
	s_cbranch_execz .LBB287_43
; %bb.42:                               ;   in Loop: Header=BB287_5 Depth=1
	v_div_scale_f64 v[36:37], s[26:27], v[32:33], v[32:33], v[34:35]
	v_rcp_f64_e32 v[38:39], v[36:37]
	v_fma_f64 v[49:50], -v[36:37], v[38:39], 1.0
	v_fma_f64 v[38:39], v[38:39], v[49:50], v[38:39]
	v_div_scale_f64 v[49:50], vcc, v[34:35], v[32:33], v[34:35]
	v_fma_f64 v[51:52], -v[36:37], v[38:39], 1.0
	v_fma_f64 v[38:39], v[38:39], v[51:52], v[38:39]
	v_mul_f64 v[51:52], v[49:50], v[38:39]
	v_fma_f64 v[36:37], -v[36:37], v[51:52], v[49:50]
	v_div_fmas_f64 v[36:37], v[36:37], v[38:39], v[51:52]
	v_div_fixup_f64 v[34:35], v[36:37], v[32:33], v[34:35]
	v_fma_f64 v[34:35], v[34:35], v[34:35], 1.0
	v_cmp_gt_f64_e32 vcc, s[22:23], v[34:35]
	v_cndmask_b32_e32 v36, 0, v66, vcc
	v_ldexp_f64 v[34:35], v[34:35], v36
	v_rsq_f64_e32 v[36:37], v[34:35]
	v_mul_f64 v[38:39], v[34:35], v[36:37]
	v_mul_f64 v[36:37], v[36:37], 0.5
	v_fma_f64 v[49:50], -v[36:37], v[38:39], 0.5
	v_fma_f64 v[38:39], v[38:39], v[49:50], v[38:39]
	v_fma_f64 v[36:37], v[36:37], v[49:50], v[36:37]
	v_fma_f64 v[49:50], -v[38:39], v[38:39], v[34:35]
	v_fma_f64 v[38:39], v[49:50], v[36:37], v[38:39]
	v_fma_f64 v[49:50], -v[38:39], v[38:39], v[34:35]
	v_fma_f64 v[36:37], v[49:50], v[36:37], v[38:39]
	v_cndmask_b32_e32 v38, 0, v67, vcc
	v_cmp_class_f64_e32 vcc, v[34:35], v63
	v_ldexp_f64 v[36:37], v[36:37], v38
	v_cndmask_b32_e32 v35, v37, v35, vcc
	v_cndmask_b32_e32 v34, v36, v34, vcc
	v_mul_f64 v[36:37], v[32:33], v[34:35]
.LBB287_43:                             ;   in Loop: Header=BB287_5 Depth=1
	s_or_b64 exec, exec, s[4:5]
	v_cmp_gt_f64_e32 vcc, 0, v[0:1]
	v_xor_b32_e32 v32, 0x80000000, v1
	v_xor_b32_e32 v34, 0x80000000, v3
                                        ; implicit-def: $vgpr38_vgpr39
	v_cndmask_b32_e32 v33, v1, v32, vcc
	v_cmp_gt_f64_e32 vcc, 0, v[2:3]
	v_mov_b32_e32 v32, v0
	v_cndmask_b32_e32 v35, v3, v34, vcc
	v_mov_b32_e32 v34, v2
	v_cmp_ngt_f64_e32 vcc, v[32:33], v[34:35]
	s_and_saveexec_b64 s[4:5], vcc
	s_xor_b64 s[4:5], exec, s[4:5]
	s_cbranch_execz .LBB287_47
; %bb.44:                               ;   in Loop: Header=BB287_5 Depth=1
	v_cmp_neq_f64_e32 vcc, 0, v[2:3]
	v_mov_b32_e32 v38, 0
	v_mov_b32_e32 v39, 0
	s_and_saveexec_b64 s[26:27], vcc
	s_cbranch_execz .LBB287_46
; %bb.45:                               ;   in Loop: Header=BB287_5 Depth=1
	v_div_scale_f64 v[38:39], s[34:35], v[34:35], v[34:35], v[32:33]
	v_rcp_f64_e32 v[49:50], v[38:39]
	v_fma_f64 v[51:52], -v[38:39], v[49:50], 1.0
	v_fma_f64 v[49:50], v[49:50], v[51:52], v[49:50]
	v_div_scale_f64 v[51:52], vcc, v[32:33], v[34:35], v[32:33]
	v_fma_f64 v[53:54], -v[38:39], v[49:50], 1.0
	v_fma_f64 v[49:50], v[49:50], v[53:54], v[49:50]
	v_mul_f64 v[53:54], v[51:52], v[49:50]
	v_fma_f64 v[38:39], -v[38:39], v[53:54], v[51:52]
	v_div_fmas_f64 v[38:39], v[38:39], v[49:50], v[53:54]
	v_div_fixup_f64 v[32:33], v[38:39], v[34:35], v[32:33]
	v_fma_f64 v[32:33], v[32:33], v[32:33], 1.0
	v_cmp_gt_f64_e32 vcc, s[22:23], v[32:33]
	v_cndmask_b32_e32 v38, 0, v66, vcc
	v_ldexp_f64 v[32:33], v[32:33], v38
	v_cndmask_b32_e32 v44, 0, v67, vcc
	v_rsq_f64_e32 v[38:39], v[32:33]
	v_cmp_class_f64_e32 vcc, v[32:33], v63
	v_mul_f64 v[49:50], v[32:33], v[38:39]
	v_mul_f64 v[38:39], v[38:39], 0.5
	v_fma_f64 v[51:52], -v[38:39], v[49:50], 0.5
	v_fma_f64 v[49:50], v[49:50], v[51:52], v[49:50]
	v_fma_f64 v[38:39], v[38:39], v[51:52], v[38:39]
	v_fma_f64 v[51:52], -v[49:50], v[49:50], v[32:33]
	v_fma_f64 v[49:50], v[51:52], v[38:39], v[49:50]
	v_fma_f64 v[51:52], -v[49:50], v[49:50], v[32:33]
	v_fma_f64 v[38:39], v[51:52], v[38:39], v[49:50]
	v_ldexp_f64 v[38:39], v[38:39], v44
	v_cndmask_b32_e32 v33, v39, v33, vcc
	v_cndmask_b32_e32 v32, v38, v32, vcc
	v_mul_f64 v[38:39], v[34:35], v[32:33]
.LBB287_46:                             ;   in Loop: Header=BB287_5 Depth=1
	s_or_b64 exec, exec, s[26:27]
                                        ; implicit-def: $vgpr32_vgpr33
                                        ; implicit-def: $vgpr34_vgpr35
.LBB287_47:                             ;   in Loop: Header=BB287_5 Depth=1
	s_andn2_saveexec_b64 s[4:5], s[4:5]
	s_cbranch_execz .LBB287_49
; %bb.48:                               ;   in Loop: Header=BB287_5 Depth=1
	v_div_scale_f64 v[38:39], s[26:27], v[32:33], v[32:33], v[34:35]
	v_rcp_f64_e32 v[49:50], v[38:39]
	v_fma_f64 v[51:52], -v[38:39], v[49:50], 1.0
	v_fma_f64 v[49:50], v[49:50], v[51:52], v[49:50]
	v_div_scale_f64 v[51:52], vcc, v[34:35], v[32:33], v[34:35]
	v_fma_f64 v[53:54], -v[38:39], v[49:50], 1.0
	v_fma_f64 v[49:50], v[49:50], v[53:54], v[49:50]
	v_mul_f64 v[53:54], v[51:52], v[49:50]
	v_fma_f64 v[38:39], -v[38:39], v[53:54], v[51:52]
	v_div_fmas_f64 v[38:39], v[38:39], v[49:50], v[53:54]
	v_div_fixup_f64 v[34:35], v[38:39], v[32:33], v[34:35]
	v_fma_f64 v[34:35], v[34:35], v[34:35], 1.0
	v_cmp_gt_f64_e32 vcc, s[22:23], v[34:35]
	v_cndmask_b32_e32 v38, 0, v66, vcc
	v_ldexp_f64 v[34:35], v[34:35], v38
	v_cndmask_b32_e32 v44, 0, v67, vcc
	v_rsq_f64_e32 v[38:39], v[34:35]
	v_cmp_class_f64_e32 vcc, v[34:35], v63
	v_mul_f64 v[49:50], v[34:35], v[38:39]
	v_mul_f64 v[38:39], v[38:39], 0.5
	v_fma_f64 v[51:52], -v[38:39], v[49:50], 0.5
	v_fma_f64 v[49:50], v[49:50], v[51:52], v[49:50]
	v_fma_f64 v[38:39], v[38:39], v[51:52], v[38:39]
	v_fma_f64 v[51:52], -v[49:50], v[49:50], v[34:35]
	v_fma_f64 v[49:50], v[51:52], v[38:39], v[49:50]
	v_fma_f64 v[51:52], -v[49:50], v[49:50], v[34:35]
	v_fma_f64 v[38:39], v[51:52], v[38:39], v[49:50]
	v_ldexp_f64 v[38:39], v[38:39], v44
	v_cndmask_b32_e32 v35, v39, v35, vcc
	v_cndmask_b32_e32 v34, v38, v34, vcc
	v_mul_f64 v[38:39], v[32:33], v[34:35]
.LBB287_49:                             ;   in Loop: Header=BB287_5 Depth=1
	s_or_b64 exec, exec, s[4:5]
	v_mul_f64 v[32:33], v[18:19], -v[6:7]
	v_mul_f64 v[49:50], v[18:19], v[4:5]
                                        ; implicit-def: $vgpr53_vgpr54
	v_fma_f64 v[34:35], v[4:5], v[16:17], v[32:33]
	v_fma_f64 v[32:33], v[6:7], v[16:17], v[49:50]
	v_cmp_gt_f64_e32 vcc, 0, v[34:35]
	v_xor_b32_e32 v44, 0x80000000, v35
	v_xor_b32_e32 v51, 0x80000000, v33
	v_mov_b32_e32 v49, v34
	v_cndmask_b32_e32 v50, v35, v44, vcc
	v_cmp_gt_f64_e32 vcc, 0, v[32:33]
	v_cndmask_b32_e32 v52, v33, v51, vcc
	v_mov_b32_e32 v51, v32
	v_cmp_ngt_f64_e32 vcc, v[49:50], v[51:52]
	s_and_saveexec_b64 s[4:5], vcc
	s_xor_b64 s[4:5], exec, s[4:5]
	s_cbranch_execz .LBB287_53
; %bb.50:                               ;   in Loop: Header=BB287_5 Depth=1
	v_cmp_neq_f64_e32 vcc, 0, v[32:33]
	v_mov_b32_e32 v53, 0
	v_mov_b32_e32 v54, 0
	s_and_saveexec_b64 s[26:27], vcc
	s_cbranch_execz .LBB287_52
; %bb.51:                               ;   in Loop: Header=BB287_5 Depth=1
	v_div_scale_f64 v[53:54], s[34:35], v[51:52], v[51:52], v[49:50]
	v_rcp_f64_e32 v[55:56], v[53:54]
	v_fma_f64 v[57:58], -v[53:54], v[55:56], 1.0
	v_fma_f64 v[55:56], v[55:56], v[57:58], v[55:56]
	v_div_scale_f64 v[57:58], vcc, v[49:50], v[51:52], v[49:50]
	v_fma_f64 v[59:60], -v[53:54], v[55:56], 1.0
	v_fma_f64 v[55:56], v[55:56], v[59:60], v[55:56]
	v_mul_f64 v[59:60], v[57:58], v[55:56]
	v_fma_f64 v[53:54], -v[53:54], v[59:60], v[57:58]
	v_div_fmas_f64 v[53:54], v[53:54], v[55:56], v[59:60]
	v_div_fixup_f64 v[49:50], v[53:54], v[51:52], v[49:50]
	v_fma_f64 v[49:50], v[49:50], v[49:50], 1.0
	v_cmp_gt_f64_e32 vcc, s[22:23], v[49:50]
	v_cndmask_b32_e32 v44, 0, v66, vcc
	v_ldexp_f64 v[49:50], v[49:50], v44
	v_cndmask_b32_e32 v44, 0, v67, vcc
	v_rsq_f64_e32 v[53:54], v[49:50]
	v_cmp_class_f64_e32 vcc, v[49:50], v63
	v_mul_f64 v[55:56], v[49:50], v[53:54]
	v_mul_f64 v[53:54], v[53:54], 0.5
	v_fma_f64 v[57:58], -v[53:54], v[55:56], 0.5
	v_fma_f64 v[55:56], v[55:56], v[57:58], v[55:56]
	v_fma_f64 v[53:54], v[53:54], v[57:58], v[53:54]
	v_fma_f64 v[57:58], -v[55:56], v[55:56], v[49:50]
	v_fma_f64 v[55:56], v[57:58], v[53:54], v[55:56]
	v_fma_f64 v[57:58], -v[55:56], v[55:56], v[49:50]
	v_fma_f64 v[53:54], v[57:58], v[53:54], v[55:56]
	v_ldexp_f64 v[53:54], v[53:54], v44
	v_cndmask_b32_e32 v50, v54, v50, vcc
	v_cndmask_b32_e32 v49, v53, v49, vcc
	v_mul_f64 v[53:54], v[51:52], v[49:50]
.LBB287_52:                             ;   in Loop: Header=BB287_5 Depth=1
	s_or_b64 exec, exec, s[26:27]
                                        ; implicit-def: $vgpr49_vgpr50
                                        ; implicit-def: $vgpr51_vgpr52
.LBB287_53:                             ;   in Loop: Header=BB287_5 Depth=1
	s_andn2_saveexec_b64 s[4:5], s[4:5]
	s_cbranch_execz .LBB287_55
; %bb.54:                               ;   in Loop: Header=BB287_5 Depth=1
	v_div_scale_f64 v[53:54], s[26:27], v[49:50], v[49:50], v[51:52]
	v_rcp_f64_e32 v[55:56], v[53:54]
	v_fma_f64 v[57:58], -v[53:54], v[55:56], 1.0
	v_fma_f64 v[55:56], v[55:56], v[57:58], v[55:56]
	v_div_scale_f64 v[57:58], vcc, v[51:52], v[49:50], v[51:52]
	v_fma_f64 v[59:60], -v[53:54], v[55:56], 1.0
	v_fma_f64 v[55:56], v[55:56], v[59:60], v[55:56]
	v_mul_f64 v[59:60], v[57:58], v[55:56]
	v_fma_f64 v[53:54], -v[53:54], v[59:60], v[57:58]
	v_div_fmas_f64 v[53:54], v[53:54], v[55:56], v[59:60]
	v_div_fixup_f64 v[51:52], v[53:54], v[49:50], v[51:52]
	v_fma_f64 v[51:52], v[51:52], v[51:52], 1.0
	v_cmp_gt_f64_e32 vcc, s[22:23], v[51:52]
	v_cndmask_b32_e32 v44, 0, v66, vcc
	v_ldexp_f64 v[51:52], v[51:52], v44
	v_cndmask_b32_e32 v44, 0, v67, vcc
	v_rsq_f64_e32 v[53:54], v[51:52]
	v_cmp_class_f64_e32 vcc, v[51:52], v63
	v_mul_f64 v[55:56], v[51:52], v[53:54]
	v_mul_f64 v[53:54], v[53:54], 0.5
	v_fma_f64 v[57:58], -v[53:54], v[55:56], 0.5
	v_fma_f64 v[55:56], v[55:56], v[57:58], v[55:56]
	v_fma_f64 v[53:54], v[53:54], v[57:58], v[53:54]
	v_fma_f64 v[57:58], -v[55:56], v[55:56], v[51:52]
	v_fma_f64 v[55:56], v[57:58], v[53:54], v[55:56]
	v_fma_f64 v[57:58], -v[55:56], v[55:56], v[51:52]
	v_fma_f64 v[53:54], v[57:58], v[53:54], v[55:56]
	v_ldexp_f64 v[53:54], v[53:54], v44
	v_cndmask_b32_e32 v52, v54, v52, vcc
	v_cndmask_b32_e32 v51, v53, v51, vcc
	v_mul_f64 v[53:54], v[49:50], v[51:52]
.LBB287_55:                             ;   in Loop: Header=BB287_5 Depth=1
	s_or_b64 exec, exec, s[4:5]
	v_cmp_lt_f64_e32 vcc, v[24:25], v[26:27]
	v_cmp_ne_u32_e64 s[4:5], s30, v43
	v_cndmask_b32_e32 v25, v25, v27, vcc
	v_cndmask_b32_e32 v24, v24, v26, vcc
	v_cmp_lt_f64_e32 vcc, v[28:29], v[24:25]
	v_mul_f64 v[26:27], v[53:54], s[24:25]
	v_cndmask_b32_e32 v25, v29, v25, vcc
	v_cndmask_b32_e32 v24, v28, v24, vcc
	v_cmp_lt_f64_e32 vcc, v[30:31], v[24:25]
	v_cndmask_b32_e32 v25, v31, v25, vcc
	v_cndmask_b32_e32 v24, v30, v24, vcc
	v_cmp_lt_f64_e32 vcc, v[36:37], v[24:25]
	v_cndmask_b32_e32 v25, v37, v25, vcc
	v_cndmask_b32_e32 v24, v36, v24, vcc
	v_mul_f64 v[24:25], v[24:25], v[38:39]
	v_cmp_nge_f64_e32 vcc, v[24:25], v[26:27]
	s_and_b64 s[4:5], s[4:5], vcc
	s_and_saveexec_b64 s[26:27], s[4:5]
	s_xor_b64 s[4:5], exec, s[26:27]
	s_cbranch_execz .LBB287_61
; %bb.56:                               ;   in Loop: Header=BB287_5 Depth=1
	v_mul_f64 v[26:27], v[0:1], v[22:23]
	v_mul_f64 v[24:25], v[22:23], -v[2:3]
	v_ashrrev_i32_e32 v44, 31, v43
	v_add_u32_e32 v53, v61, v43
	v_ashrrev_i32_e32 v54, 31, v53
	v_lshlrev_b64 v[55:56], 4, v[53:54]
	v_fma_f64 v[26:27], v[2:3], v[20:21], v[26:27]
	v_fma_f64 v[24:25], v[0:1], v[20:21], v[24:25]
	v_add_f64 v[26:27], v[26:27], -v[32:33]
	v_add_f64 v[24:25], v[24:25], -v[34:35]
	v_mul_f64 v[28:29], v[26:27], v[26:27]
	v_fma_f64 v[28:29], v[24:25], v[24:25], v[28:29]
	v_div_scale_f64 v[30:31], s[26:27], v[28:29], v[28:29], 1.0
	v_rcp_f64_e32 v[32:33], v[30:31]
	v_fma_f64 v[34:35], -v[30:31], v[32:33], 1.0
	v_fma_f64 v[32:33], v[32:33], v[34:35], v[32:33]
	v_fma_f64 v[34:35], -v[30:31], v[32:33], 1.0
	v_fma_f64 v[32:33], v[32:33], v[34:35], v[32:33]
	v_div_scale_f64 v[34:35], vcc, 1.0, v[28:29], 1.0
	v_mul_f64 v[36:37], v[34:35], v[32:33]
	v_fma_f64 v[30:31], -v[30:31], v[36:37], v[34:35]
	s_nop 1
	v_div_fmas_f64 v[30:31], v[30:31], v[32:33], v[36:37]
	v_mov_b32_e32 v32, s13
	v_mov_b32_e32 v36, s13
	v_div_fixup_f64 v[28:29], v[30:31], v[28:29], 1.0
	v_fma_f64 v[30:31], v[26:27], 0, v[24:25]
	v_fma_f64 v[24:25], v[24:25], 0, -v[26:27]
	v_mul_f64 v[49:50], v[30:31], v[28:29]
	v_mul_f64 v[51:52], v[24:25], v[28:29]
	v_lshlrev_b64 v[24:25], 4, v[43:44]
	v_mov_b32_e32 v28, s11
	v_add_co_u32_e32 v72, vcc, v41, v24
	v_addc_co_u32_e32 v73, vcc, v42, v25, vcc
	v_add_co_u32_e32 v57, vcc, s10, v55
	v_addc_co_u32_e32 v58, vcc, v28, v56, vcc
	global_load_dwordx4 v[24:27], v[72:73], off
	global_load_dwordx4 v[28:31], v[57:58], off
	v_add_co_u32_e32 v74, vcc, s12, v47
	v_addc_co_u32_e32 v75, vcc, v32, v48, vcc
	global_load_dwordx4 v[32:35], v[74:75], off
	v_add_co_u32_e32 v59, vcc, s12, v55
	v_addc_co_u32_e32 v60, vcc, v36, v56, vcc
	global_load_dwordx4 v[36:39], v[59:60], off
	s_waitcnt vmcnt(3)
	v_mul_f64 v[70:71], v[20:21], v[26:27]
	s_waitcnt vmcnt(2)
	v_mul_f64 v[78:79], v[16:17], v[30:31]
	v_mul_f64 v[68:69], v[26:27], -v[22:23]
	v_mul_f64 v[76:77], v[30:31], -v[18:19]
	v_fma_f64 v[70:71], v[22:23], v[24:25], v[70:71]
	v_fma_f64 v[78:79], v[18:19], v[28:29], v[78:79]
	v_fma_f64 v[68:69], v[20:21], v[24:25], v[68:69]
	v_fma_f64 v[76:77], v[16:17], v[28:29], v[76:77]
	v_add_f64 v[70:71], v[70:71], -v[78:79]
	v_add_f64 v[76:77], v[68:69], -v[76:77]
	v_mul_f64 v[68:69], v[51:52], -v[70:71]
	v_fma_f64 v[68:69], v[76:77], v[49:50], v[68:69]
	v_mul_f64 v[76:77], v[51:52], v[76:77]
	v_fma_f64 v[70:71], v[70:71], v[49:50], v[76:77]
	global_store_dwordx4 v[72:73], v[68:71], off
	s_waitcnt vmcnt(2)
	v_mul_f64 v[68:69], v[34:35], -v[22:23]
	s_waitcnt vmcnt(1)
	v_mul_f64 v[70:71], v[16:17], v[38:39]
	v_fma_f64 v[68:69], v[20:21], v[32:33], v[68:69]
	v_mul_f64 v[20:21], v[20:21], v[34:35]
	v_fma_f64 v[70:71], v[18:19], v[36:37], v[70:71]
	v_fma_f64 v[20:21], v[22:23], v[32:33], v[20:21]
	v_mul_f64 v[22:23], v[38:39], -v[18:19]
	v_fma_f64 v[22:23], v[16:17], v[36:37], v[22:23]
	v_add_f64 v[22:23], v[68:69], -v[22:23]
	v_add_f64 v[68:69], v[20:21], -v[70:71]
	v_mul_f64 v[20:21], v[51:52], -v[68:69]
	v_fma_f64 v[20:21], v[22:23], v[49:50], v[20:21]
	v_mul_f64 v[22:23], v[51:52], v[22:23]
	v_fma_f64 v[22:23], v[68:69], v[49:50], v[22:23]
	global_store_dwordx4 v[74:75], v[20:23], off
	s_nop 0
	v_mul_f64 v[20:21], v[18:19], v[10:11]
	v_fma_f64 v[20:21], -v[16:17], v[8:9], v[20:21]
	v_mul_f64 v[16:17], v[10:11], -v[16:17]
	v_fma_f64 v[18:19], -v[18:19], v[8:9], v[16:17]
	v_mul_f64 v[16:17], v[51:52], -v[18:19]
	v_fma_f64 v[16:17], v[20:21], v[49:50], v[16:17]
	v_mul_f64 v[20:21], v[51:52], v[20:21]
	v_fma_f64 v[18:19], v[18:19], v[49:50], v[20:21]
	v_add_co_u32_e32 v20, vcc, s14, v47
	v_mov_b32_e32 v21, s15
	v_addc_co_u32_e32 v21, vcc, v21, v48, vcc
	global_store_dwordx4 v[20:21], v[16:19], off
	s_nop 0
	v_lshlrev_b64 v[16:17], 2, v[45:46]
	v_mov_b32_e32 v18, s7
	v_add_co_u32_e32 v16, vcc, s6, v16
	v_addc_co_u32_e32 v17, vcc, v18, v17, vcc
	global_store_dword v[16:17], v64, off
	s_and_saveexec_b64 s[26:27], s[0:1]
	s_cbranch_execz .LBB287_58
; %bb.57:                               ;   in Loop: Header=BB287_5 Depth=1
	v_mul_f64 v[16:17], v[6:7], v[26:27]
	v_mul_f64 v[18:19], v[26:27], -v[4:5]
	v_mul_f64 v[20:21], v[30:31], -v[2:3]
	v_mul_f64 v[22:23], v[0:1], v[30:31]
	v_mul_f64 v[44:45], v[6:7], v[34:35]
	v_mul_f64 v[34:35], v[34:35], -v[4:5]
	v_mul_f64 v[46:47], v[0:1], v[38:39]
	v_mul_f64 v[38:39], v[38:39], -v[2:3]
	v_fma_f64 v[16:17], -v[4:5], v[24:25], v[16:17]
	v_fma_f64 v[18:19], -v[6:7], v[24:25], v[18:19]
	v_fma_f64 v[20:21], v[0:1], v[28:29], v[20:21]
	v_fma_f64 v[22:23], v[2:3], v[28:29], v[22:23]
	v_fma_f64 v[44:45], -v[4:5], v[32:33], v[44:45]
	v_fma_f64 v[32:33], -v[6:7], v[32:33], v[34:35]
	v_fma_f64 v[34:35], v[2:3], v[36:37], v[46:47]
	v_fma_f64 v[36:37], v[0:1], v[36:37], v[38:39]
	v_mul_f64 v[38:39], v[0:1], v[10:11]
	v_mul_f64 v[46:47], v[10:11], -v[2:3]
	v_add_f64 v[16:17], v[16:17], v[20:21]
	v_add_f64 v[18:19], v[18:19], v[22:23]
	;; [unrolled: 1-line block ×4, first 2 shown]
	v_fma_f64 v[34:35], v[2:3], v[8:9], v[38:39]
	v_fma_f64 v[32:33], v[0:1], v[8:9], v[46:47]
	v_mul_f64 v[38:39], v[51:52], v[16:17]
	v_mul_f64 v[36:37], v[51:52], -v[18:19]
	v_mul_f64 v[44:45], v[51:52], -v[22:23]
	v_mul_f64 v[46:47], v[51:52], v[20:21]
	v_mul_f64 v[68:69], v[51:52], -v[34:35]
	v_mul_f64 v[70:71], v[51:52], v[32:33]
	v_fma_f64 v[18:19], v[18:19], v[49:50], v[38:39]
	v_fma_f64 v[16:17], v[16:17], v[49:50], v[36:37]
	v_mov_b32_e32 v36, s15
	v_fma_f64 v[20:21], v[20:21], v[49:50], v[44:45]
	v_fma_f64 v[22:23], v[22:23], v[49:50], v[46:47]
	;; [unrolled: 1-line block ×4, first 2 shown]
	global_store_dwordx4 v[57:58], v[16:19], off
	global_store_dwordx4 v[59:60], v[20:23], off
	v_add_co_u32_e32 v16, vcc, s14, v55
	v_addc_co_u32_e32 v17, vcc, v36, v56, vcc
	global_store_dwordx4 v[16:17], v[32:35], off
	v_lshlrev_b64 v[16:17], 2, v[53:54]
	v_mov_b32_e32 v18, s7
	v_add_co_u32_e32 v16, vcc, s6, v16
	v_addc_co_u32_e32 v17, vcc, v18, v17, vcc
	global_store_dword v[16:17], v64, off
.LBB287_58:                             ;   in Loop: Header=BB287_5 Depth=1
	s_or_b64 exec, exec, s[26:27]
	v_mov_b32_e32 v16, 0
	v_mov_b32_e32 v18, 0
	;; [unrolled: 1-line block ×4, first 2 shown]
	s_and_saveexec_b64 s[26:27], s[2:3]
	s_cbranch_execz .LBB287_60
; %bb.59:                               ;   in Loop: Header=BB287_5 Depth=1
	v_add_u32_e32 v16, v62, v43
	v_ashrrev_i32_e32 v17, 31, v16
	v_lshlrev_b64 v[20:21], 4, v[16:17]
	v_mov_b32_e32 v16, s11
	v_add_co_u32_e32 v32, vcc, s10, v20
	v_addc_co_u32_e32 v33, vcc, v16, v21, vcc
	v_mov_b32_e32 v22, s19
	v_add_co_u32_e32 v20, vcc, s18, v20
	v_addc_co_u32_e32 v21, vcc, v22, v21, vcc
	global_load_dwordx4 v[16:19], v[32:33], off
	v_mul_f64 v[34:35], v[6:7], v[14:15]
	global_load_dwordx4 v[20:23], v[20:21], off
	v_mul_f64 v[36:37], v[14:15], -v[4:5]
	v_mul_f64 v[38:39], v[14:15], -v[2:3]
	v_mul_f64 v[44:45], v[0:1], v[14:15]
	v_fma_f64 v[4:5], -v[4:5], v[12:13], v[34:35]
	v_fma_f64 v[6:7], -v[6:7], v[12:13], v[36:37]
	v_fma_f64 v[34:35], v[0:1], v[12:13], v[38:39]
	v_fma_f64 v[36:37], v[2:3], v[12:13], v[44:45]
	v_mul_f64 v[38:39], v[2:3], -v[14:15]
	v_mul_f64 v[2:3], v[2:3], v[12:13]
	v_mul_f64 v[44:45], v[51:52], v[4:5]
	v_mul_f64 v[46:47], v[51:52], -v[6:7]
	v_mul_f64 v[53:54], v[51:52], v[34:35]
	v_mul_f64 v[55:56], v[51:52], -v[36:37]
	v_fma_f64 v[12:13], v[12:13], v[0:1], v[38:39]
	v_fma_f64 v[0:1], v[14:15], v[0:1], v[2:3]
	;; [unrolled: 1-line block ×6, first 2 shown]
	v_mul_f64 v[34:35], v[10:11], v[12:13]
	v_mul_f64 v[10:11], v[10:11], -v[0:1]
	v_mul_f64 v[36:37], v[2:3], v[26:27]
	v_mul_f64 v[26:27], v[26:27], -v[4:5]
	v_mul_f64 v[38:39], v[30:31], -v[6:7]
	v_mul_f64 v[30:31], v[14:15], v[30:31]
	v_fma_f64 v[0:1], v[0:1], v[8:9], v[34:35]
	v_fma_f64 v[8:9], v[12:13], v[8:9], v[10:11]
	v_fma_f64 v[4:5], -v[4:5], v[24:25], v[36:37]
	v_fma_f64 v[2:3], -v[2:3], v[24:25], v[26:27]
	v_fma_f64 v[10:11], v[14:15], v[28:29], v[38:39]
	v_fma_f64 v[6:7], v[6:7], v[28:29], v[30:31]
	v_mul_f64 v[12:13], v[51:52], -v[0:1]
	v_mul_f64 v[14:15], v[51:52], v[8:9]
	v_add_f64 v[4:5], v[4:5], -v[10:11]
	v_add_f64 v[2:3], v[2:3], -v[6:7]
	v_fma_f64 v[6:7], v[8:9], v[49:50], v[12:13]
	v_fma_f64 v[8:9], v[0:1], v[49:50], v[14:15]
	s_waitcnt vmcnt(1)
	v_add_f64 v[0:1], v[4:5], v[16:17]
	v_add_f64 v[2:3], v[2:3], v[18:19]
	s_waitcnt vmcnt(0)
	v_add_f64 v[18:19], v[20:21], -v[6:7]
	v_add_f64 v[16:17], v[22:23], -v[8:9]
	global_store_dwordx4 v[32:33], v[0:3], off
.LBB287_60:                             ;   in Loop: Header=BB287_5 Depth=1
	s_or_b64 exec, exec, s[26:27]
	v_mov_b32_e32 v2, v16
	v_mov_b32_e32 v0, v18
	;; [unrolled: 1-line block ×4, first 2 shown]
                                        ; implicit-def: $vgpr4_vgpr5
                                        ; implicit-def: $vgpr20_vgpr21
                                        ; implicit-def: $vgpr34_vgpr35
                                        ; implicit-def: $vgpr32_vgpr33
                                        ; implicit-def: $vgpr45_vgpr46
                                        ; implicit-def: $vgpr47_vgpr48
                                        ; implicit-def: $vgpr18_vgpr19
.LBB287_61:                             ;   in Loop: Header=BB287_5 Depth=1
	s_or_saveexec_b64 s[2:3], s[4:5]
	v_mov_b32_e32 v8, s31
	s_xor_b64 exec, exec, s[2:3]
	s_cbranch_execz .LBB287_4
; %bb.62:                               ;   in Loop: Header=BB287_5 Depth=1
	v_mul_f64 v[8:9], v[2:3], v[2:3]
	v_ashrrev_i32_e32 v44, 31, v43
	v_mov_b32_e32 v12, s13
	v_mov_b32_e32 v53, s15
	v_fma_f64 v[24:25], v[0:1], v[0:1], v[8:9]
	v_lshlrev_b64 v[8:9], 4, v[43:44]
	v_lshlrev_b64 v[44:45], 2, v[45:46]
	v_add_co_u32_e32 v30, vcc, v41, v8
	v_addc_co_u32_e32 v31, vcc, v42, v9, vcc
	v_add_co_u32_e32 v38, vcc, s12, v47
	v_div_scale_f64 v[26:27], s[4:5], v[24:25], v[24:25], 1.0
	global_load_dwordx4 v[8:11], v[30:31], off
	v_addc_co_u32_e32 v39, vcc, v12, v48, vcc
	global_load_dwordx4 v[12:15], v[38:39], off
	v_mov_b32_e32 v46, s7
	v_rcp_f64_e32 v[28:29], v[26:27]
	v_fma_f64 v[36:37], -v[26:27], v[28:29], 1.0
	v_fma_f64 v[28:29], v[28:29], v[36:37], v[28:29]
	v_div_scale_f64 v[36:37], vcc, 1.0, v[24:25], 1.0
	v_fma_f64 v[49:50], -v[26:27], v[28:29], 1.0
	v_fma_f64 v[28:29], v[28:29], v[49:50], v[28:29]
	v_mul_f64 v[49:50], v[36:37], v[28:29]
	v_fma_f64 v[26:27], -v[26:27], v[49:50], v[36:37]
	v_div_fmas_f64 v[26:27], v[26:27], v[28:29], v[49:50]
	v_fma_f64 v[28:29], v[0:1], 0, -v[2:3]
	v_fma_f64 v[2:3], v[2:3], 0, v[0:1]
	v_div_fixup_f64 v[24:25], v[26:27], v[24:25], 1.0
	v_mul_f64 v[0:1], v[28:29], v[24:25]
	v_mul_f64 v[2:3], v[2:3], v[24:25]
	v_mul_f64 v[24:25], v[0:1], -v[18:19]
	v_mul_f64 v[26:27], v[0:1], v[16:17]
	s_waitcnt vmcnt(1)
	v_mul_f64 v[28:29], v[0:1], -v[10:11]
	v_mul_f64 v[36:37], v[0:1], v[8:9]
	s_waitcnt vmcnt(0)
	v_mul_f64 v[49:50], v[0:1], -v[14:15]
	v_mul_f64 v[51:52], v[0:1], v[12:13]
	v_fma_f64 v[16:17], v[16:17], v[2:3], v[24:25]
	v_fma_f64 v[18:19], v[18:19], v[2:3], v[26:27]
	v_fma_f64 v[24:25], v[8:9], v[2:3], v[28:29]
	v_fma_f64 v[26:27], v[10:11], v[2:3], v[36:37]
	v_fma_f64 v[12:13], v[12:13], v[2:3], v[49:50]
	v_fma_f64 v[14:15], v[14:15], v[2:3], v[51:52]
	v_add_co_u32_e32 v28, vcc, s14, v47
	v_addc_co_u32_e32 v29, vcc, v53, v48, vcc
	v_add_co_u32_e32 v36, vcc, s6, v44
	v_addc_co_u32_e32 v37, vcc, v46, v45, vcc
	global_store_dwordx4 v[30:31], v[24:27], off
	global_store_dwordx4 v[38:39], v[12:15], off
	;; [unrolled: 1-line block ×3, first 2 shown]
	global_store_dword v[36:37], v65, off
	s_and_saveexec_b64 s[4:5], s[0:1]
	s_cbranch_execz .LBB287_3
; %bb.63:                               ;   in Loop: Header=BB287_5 Depth=1
	v_add_u32_e32 v12, v61, v43
	v_ashrrev_i32_e32 v13, 31, v12
	v_lshlrev_b64 v[12:13], 4, v[12:13]
	v_mov_b32_e32 v14, s11
	v_add_co_u32_e32 v16, vcc, s10, v12
	v_addc_co_u32_e32 v17, vcc, v14, v13, vcc
	global_load_dwordx4 v[12:15], v[16:17], off
	v_mul_f64 v[18:19], v[0:1], v[4:5]
	v_mul_f64 v[24:25], v[0:1], -v[6:7]
	v_fma_f64 v[6:7], v[6:7], v[2:3], v[18:19]
	v_fma_f64 v[4:5], v[4:5], v[2:3], v[24:25]
	v_mul_f64 v[18:19], v[6:7], v[10:11]
	v_mul_f64 v[10:11], v[10:11], -v[4:5]
	v_fma_f64 v[4:5], -v[4:5], v[8:9], v[18:19]
	v_fma_f64 v[6:7], -v[6:7], v[8:9], v[10:11]
	s_waitcnt vmcnt(0)
	v_add_f64 v[4:5], v[4:5], v[12:13]
	v_add_f64 v[6:7], v[6:7], v[14:15]
	global_store_dwordx4 v[16:17], v[4:7], off
	s_branch .LBB287_3
.LBB287_64:
	s_or_b64 exec, exec, s[20:21]
.LBB287_65:
	v_subrev_u32_e32 v2, s28, v43
	v_add_u32_e32 v0, v2, v40
	v_ashrrev_i32_e32 v1, 31, v0
	v_lshlrev_b64 v[0:1], 2, v[0:1]
	s_waitcnt lgkmcnt(0)
	v_mov_b32_e32 v3, s7
	v_add_co_u32_e32 v0, vcc, s6, v0
	v_addc_co_u32_e32 v1, vcc, v3, v1, vcc
	s_waitcnt vmcnt(0)
	buffer_wbinvl1_vol
	global_load_dword v0, v[0:1], off
	s_waitcnt vmcnt(0)
	v_mul_lo_u32 v0, v0, s28
	v_sub_u32_e32 v4, v2, v0
	v_cmp_lt_i32_e32 vcc, -1, v4
	s_and_b64 exec, exec, vcc
	s_cbranch_execz .LBB287_72
; %bb.66:
	v_subrev_u32_e32 v14, s28, v40
	s_lshl_b32 s4, s28, 1
	s_mov_b64 s[0:1], 0
	v_mov_b32_e32 v15, s7
	v_mov_b32_e32 v16, s15
	s_branch .LBB287_68
.LBB287_67:                             ;   in Loop: Header=BB287_68 Depth=1
	s_or_b64 exec, exec, s[2:3]
	s_waitcnt vmcnt(0)
	v_lshlrev_b64 v[0:1], 4, v[6:7]
	v_mov_b32_e32 v2, s13
	v_add_co_u32_e32 v6, vcc, s12, v0
	v_addc_co_u32_e32 v7, vcc, v2, v1, vcc
	global_load_dwordx4 v[0:3], v[6:7], off
	v_sub_u32_e32 v4, v4, v5
	v_cmp_gt_i32_e32 vcc, 0, v4
	s_or_b64 s[0:1], vcc, s[0:1]
	s_waitcnt vmcnt(0)
	v_add_f64 v[0:1], v[0:1], v[10:11]
	v_add_f64 v[2:3], v[12:13], v[2:3]
	global_store_dwordx4 v[6:7], v[0:3], off
	s_andn2_b64 exec, exec, s[0:1]
	s_cbranch_execz .LBB287_72
.LBB287_68:                             ; =>This Inner Loop Header: Depth=1
	v_add_u32_e32 v6, v4, v40
	v_ashrrev_i32_e32 v7, 31, v6
	v_lshlrev_b64 v[0:1], 2, v[6:7]
	v_lshlrev_b64 v[8:9], 4, v[6:7]
	v_add_co_u32_e32 v0, vcc, s6, v0
	v_addc_co_u32_e32 v1, vcc, v15, v1, vcc
	global_load_dword v5, v[0:1], off
	v_add_co_u32_e32 v0, vcc, s14, v8
	v_addc_co_u32_e32 v1, vcc, v16, v9, vcc
	global_load_dwordx4 v[0:3], v[0:1], off
                                        ; implicit-def: $vgpr12_vgpr13
                                        ; implicit-def: $vgpr10_vgpr11
	s_waitcnt vmcnt(1)
	v_cmp_ne_u32_e32 vcc, 1, v5
	s_and_saveexec_b64 s[2:3], vcc
	s_xor_b64 s[2:3], exec, s[2:3]
	s_cbranch_execz .LBB287_70
; %bb.69:                               ;   in Loop: Header=BB287_68 Depth=1
	v_add_u32_e32 v5, v61, v4
	v_ashrrev_i32_e32 v6, 31, v5
	v_lshlrev_b64 v[5:6], 4, v[5:6]
	v_mov_b32_e32 v7, s11
	v_add_co_u32_e32 v29, vcc, s10, v5
	v_addc_co_u32_e32 v30, vcc, v7, v6, vcc
	global_load_dwordx4 v[10:13], v[29:30], off
	v_mov_b32_e32 v7, s13
	v_add_co_u32_e32 v31, vcc, s12, v5
	v_ashrrev_i32_e32 v5, 31, v4
	v_addc_co_u32_e32 v32, vcc, v7, v6, vcc
	v_lshlrev_b64 v[5:6], 4, v[4:5]
	global_load_dwordx4 v[17:20], v[31:32], off
	v_add_co_u32_e32 v33, vcc, v41, v5
	v_addc_co_u32_e32 v34, vcc, v42, v6, vcc
	global_load_dwordx4 v[21:24], v[33:34], off
	v_mov_b32_e32 v5, s13
	v_add_co_u32_e32 v35, vcc, s12, v8
	v_addc_co_u32_e32 v36, vcc, v5, v9, vcc
	global_load_dwordx4 v[25:28], v[35:36], off
	s_waitcnt vmcnt(3)
	v_mul_f64 v[5:6], v[2:3], v[12:13]
	v_mul_f64 v[7:8], v[12:13], -v[0:1]
	s_waitcnt vmcnt(2)
	v_mul_f64 v[12:13], v[2:3], v[19:20]
	v_fma_f64 v[37:38], -v[0:1], v[10:11], v[5:6]
	v_fma_f64 v[10:11], -v[2:3], v[10:11], v[7:8]
	v_mul_f64 v[19:20], v[19:20], -v[0:1]
	v_add_u32_e32 v6, v14, v4
	v_ashrrev_i32_e32 v7, 31, v6
	v_lshlrev_b64 v[43:44], 4, v[6:7]
	v_mov_b32_e32 v5, s15
	v_fma_f64 v[12:13], -v[0:1], v[17:18], v[12:13]
	s_waitcnt vmcnt(1)
	v_add_f64 v[8:9], v[21:22], v[37:38]
	v_add_f64 v[10:11], v[10:11], v[23:24]
	v_add_co_u32_e32 v0, vcc, s14, v43
	v_fma_f64 v[19:20], -v[2:3], v[17:18], v[19:20]
	v_addc_co_u32_e32 v1, vcc, v5, v44, vcc
	global_load_dwordx4 v[0:3], v[0:1], off
	s_waitcnt vmcnt(1)
	v_add_f64 v[17:18], v[25:26], v[12:13]
	global_store_dwordx4 v[33:34], v[8:11], off
	global_load_dwordx4 v[8:11], v[29:30], off
	v_mov_b32_e32 v5, s11
	v_add_f64 v[19:20], v[19:20], v[27:28]
	v_add_co_u32_e32 v25, vcc, s10, v43
	v_addc_co_u32_e32 v26, vcc, v5, v44, vcc
	global_load_dwordx4 v[21:24], v[25:26], off
	s_waitcnt vmcnt(1)
	v_mul_f64 v[12:13], v[2:3], v[10:11]
	global_store_dwordx4 v[35:36], v[17:20], off
	global_load_dwordx4 v[17:20], v[31:32], off
	v_mul_f64 v[10:11], v[10:11], -v[0:1]
	v_fma_f64 v[12:13], -v[0:1], v[8:9], v[12:13]
	v_fma_f64 v[8:9], -v[2:3], v[8:9], v[10:11]
	s_waitcnt vmcnt(0)
	v_mul_f64 v[10:11], v[2:3], v[19:20]
	v_mul_f64 v[27:28], v[19:20], -v[0:1]
	v_add_f64 v[19:20], v[21:22], v[12:13]
	v_add_f64 v[21:22], v[8:9], v[23:24]
	v_fma_f64 v[10:11], -v[0:1], v[17:18], v[10:11]
	v_fma_f64 v[12:13], -v[2:3], v[17:18], v[27:28]
                                        ; implicit-def: $vgpr2_vgpr3
	global_store_dwordx4 v[25:26], v[19:22], off
.LBB287_70:                             ;   in Loop: Header=BB287_68 Depth=1
	s_or_saveexec_b64 s[2:3], s[2:3]
	v_mov_b32_e32 v5, s4
	s_xor_b64 exec, exec, s[2:3]
	s_cbranch_execz .LBB287_67
; %bb.71:                               ;   in Loop: Header=BB287_68 Depth=1
	v_add_u32_e32 v8, v61, v4
	v_ashrrev_i32_e32 v9, 31, v8
	v_lshlrev_b64 v[12:13], 4, v[8:9]
	v_mov_b32_e32 v5, s11
	v_add_co_u32_e32 v8, vcc, s10, v12
	v_addc_co_u32_e32 v9, vcc, v5, v13, vcc
	global_load_dwordx4 v[8:11], v[8:9], off
	v_mov_b32_e32 v17, s13
	v_add_co_u32_e32 v12, vcc, s12, v12
	v_addc_co_u32_e32 v13, vcc, v17, v13, vcc
	global_load_dwordx4 v[17:20], v[12:13], off
	v_ashrrev_i32_e32 v5, 31, v4
	v_lshlrev_b64 v[12:13], 4, v[4:5]
	v_mov_b32_e32 v5, s28
	v_add_co_u32_e32 v25, vcc, v41, v12
	v_addc_co_u32_e32 v26, vcc, v42, v13, vcc
	global_load_dwordx4 v[21:24], v[25:26], off
	s_waitcnt vmcnt(2)
	v_mul_f64 v[12:13], v[2:3], v[10:11]
	v_mul_f64 v[10:11], v[10:11], -v[0:1]
	s_waitcnt vmcnt(1)
	v_mul_f64 v[27:28], v[19:20], -v[0:1]
	v_fma_f64 v[12:13], -v[0:1], v[8:9], v[12:13]
	v_fma_f64 v[8:9], -v[2:3], v[8:9], v[10:11]
	v_mul_f64 v[10:11], v[2:3], v[19:20]
	s_waitcnt vmcnt(0)
	v_add_f64 v[19:20], v[21:22], v[12:13]
	v_add_f64 v[21:22], v[8:9], v[23:24]
	v_fma_f64 v[10:11], -v[0:1], v[17:18], v[10:11]
	v_fma_f64 v[12:13], -v[2:3], v[17:18], v[27:28]
	global_store_dwordx4 v[25:26], v[19:22], off
	s_branch .LBB287_67
.LBB287_72:
	s_endpgm
	.section	.rodata,"a",@progbits
	.p2align	6, 0x0
	.amdhsa_kernel _ZN9rocsparseL18gtsv_LBM_wv_kernelILj256ELj4E21rocsparse_complex_numIdEEEviiiPKT1_S5_S5_PS3_S6_S6_Pi
		.amdhsa_group_segment_fixed_size 0
		.amdhsa_private_segment_fixed_size 0
		.amdhsa_kernarg_size 72
		.amdhsa_user_sgpr_count 6
		.amdhsa_user_sgpr_private_segment_buffer 1
		.amdhsa_user_sgpr_dispatch_ptr 0
		.amdhsa_user_sgpr_queue_ptr 0
		.amdhsa_user_sgpr_kernarg_segment_ptr 1
		.amdhsa_user_sgpr_dispatch_id 0
		.amdhsa_user_sgpr_flat_scratch_init 0
		.amdhsa_user_sgpr_private_segment_size 0
		.amdhsa_uses_dynamic_stack 0
		.amdhsa_system_sgpr_private_segment_wavefront_offset 0
		.amdhsa_system_sgpr_workgroup_id_x 1
		.amdhsa_system_sgpr_workgroup_id_y 0
		.amdhsa_system_sgpr_workgroup_id_z 0
		.amdhsa_system_sgpr_workgroup_info 0
		.amdhsa_system_vgpr_workitem_id 0
		.amdhsa_next_free_vgpr 80
		.amdhsa_next_free_sgpr 36
		.amdhsa_reserve_vcc 1
		.amdhsa_reserve_flat_scratch 0
		.amdhsa_float_round_mode_32 0
		.amdhsa_float_round_mode_16_64 0
		.amdhsa_float_denorm_mode_32 3
		.amdhsa_float_denorm_mode_16_64 3
		.amdhsa_dx10_clamp 1
		.amdhsa_ieee_mode 1
		.amdhsa_fp16_overflow 0
		.amdhsa_exception_fp_ieee_invalid_op 0
		.amdhsa_exception_fp_denorm_src 0
		.amdhsa_exception_fp_ieee_div_zero 0
		.amdhsa_exception_fp_ieee_overflow 0
		.amdhsa_exception_fp_ieee_underflow 0
		.amdhsa_exception_fp_ieee_inexact 0
		.amdhsa_exception_int_div_zero 0
	.end_amdhsa_kernel
	.section	.text._ZN9rocsparseL18gtsv_LBM_wv_kernelILj256ELj4E21rocsparse_complex_numIdEEEviiiPKT1_S5_S5_PS3_S6_S6_Pi,"axG",@progbits,_ZN9rocsparseL18gtsv_LBM_wv_kernelILj256ELj4E21rocsparse_complex_numIdEEEviiiPKT1_S5_S5_PS3_S6_S6_Pi,comdat
.Lfunc_end287:
	.size	_ZN9rocsparseL18gtsv_LBM_wv_kernelILj256ELj4E21rocsparse_complex_numIdEEEviiiPKT1_S5_S5_PS3_S6_S6_Pi, .Lfunc_end287-_ZN9rocsparseL18gtsv_LBM_wv_kernelILj256ELj4E21rocsparse_complex_numIdEEEviiiPKT1_S5_S5_PS3_S6_S6_Pi
                                        ; -- End function
	.set _ZN9rocsparseL18gtsv_LBM_wv_kernelILj256ELj4E21rocsparse_complex_numIdEEEviiiPKT1_S5_S5_PS3_S6_S6_Pi.num_vgpr, 80
	.set _ZN9rocsparseL18gtsv_LBM_wv_kernelILj256ELj4E21rocsparse_complex_numIdEEEviiiPKT1_S5_S5_PS3_S6_S6_Pi.num_agpr, 0
	.set _ZN9rocsparseL18gtsv_LBM_wv_kernelILj256ELj4E21rocsparse_complex_numIdEEEviiiPKT1_S5_S5_PS3_S6_S6_Pi.numbered_sgpr, 36
	.set _ZN9rocsparseL18gtsv_LBM_wv_kernelILj256ELj4E21rocsparse_complex_numIdEEEviiiPKT1_S5_S5_PS3_S6_S6_Pi.num_named_barrier, 0
	.set _ZN9rocsparseL18gtsv_LBM_wv_kernelILj256ELj4E21rocsparse_complex_numIdEEEviiiPKT1_S5_S5_PS3_S6_S6_Pi.private_seg_size, 0
	.set _ZN9rocsparseL18gtsv_LBM_wv_kernelILj256ELj4E21rocsparse_complex_numIdEEEviiiPKT1_S5_S5_PS3_S6_S6_Pi.uses_vcc, 1
	.set _ZN9rocsparseL18gtsv_LBM_wv_kernelILj256ELj4E21rocsparse_complex_numIdEEEviiiPKT1_S5_S5_PS3_S6_S6_Pi.uses_flat_scratch, 0
	.set _ZN9rocsparseL18gtsv_LBM_wv_kernelILj256ELj4E21rocsparse_complex_numIdEEEviiiPKT1_S5_S5_PS3_S6_S6_Pi.has_dyn_sized_stack, 0
	.set _ZN9rocsparseL18gtsv_LBM_wv_kernelILj256ELj4E21rocsparse_complex_numIdEEEviiiPKT1_S5_S5_PS3_S6_S6_Pi.has_recursion, 0
	.set _ZN9rocsparseL18gtsv_LBM_wv_kernelILj256ELj4E21rocsparse_complex_numIdEEEviiiPKT1_S5_S5_PS3_S6_S6_Pi.has_indirect_call, 0
	.section	.AMDGPU.csdata,"",@progbits
; Kernel info:
; codeLenInByte = 7360
; TotalNumSgprs: 40
; NumVgprs: 80
; ScratchSize: 0
; MemoryBound: 1
; FloatMode: 240
; IeeeMode: 1
; LDSByteSize: 0 bytes/workgroup (compile time only)
; SGPRBlocks: 4
; VGPRBlocks: 19
; NumSGPRsForWavesPerEU: 40
; NumVGPRsForWavesPerEU: 80
; Occupancy: 3
; WaveLimiterHint : 0
; COMPUTE_PGM_RSRC2:SCRATCH_EN: 0
; COMPUTE_PGM_RSRC2:USER_SGPR: 6
; COMPUTE_PGM_RSRC2:TRAP_HANDLER: 0
; COMPUTE_PGM_RSRC2:TGID_X_EN: 1
; COMPUTE_PGM_RSRC2:TGID_Y_EN: 0
; COMPUTE_PGM_RSRC2:TGID_Z_EN: 0
; COMPUTE_PGM_RSRC2:TIDIG_COMP_CNT: 0
	.section	.text._ZN9rocsparseL19gtsv_LBM_rhs_kernelILj256ELj4ELj8E21rocsparse_complex_numIdEEEviiiPKT2_S5_S5_PS3_S5_PKi,"axG",@progbits,_ZN9rocsparseL19gtsv_LBM_rhs_kernelILj256ELj4ELj8E21rocsparse_complex_numIdEEEviiiPKT2_S5_S5_PS3_S5_PKi,comdat
	.globl	_ZN9rocsparseL19gtsv_LBM_rhs_kernelILj256ELj4ELj8E21rocsparse_complex_numIdEEEviiiPKT2_S5_S5_PS3_S5_PKi ; -- Begin function _ZN9rocsparseL19gtsv_LBM_rhs_kernelILj256ELj4ELj8E21rocsparse_complex_numIdEEEviiiPKT2_S5_S5_PS3_S5_PKi
	.p2align	8
	.type	_ZN9rocsparseL19gtsv_LBM_rhs_kernelILj256ELj4ELj8E21rocsparse_complex_numIdEEEviiiPKT2_S5_S5_PS3_S5_PKi,@function
_ZN9rocsparseL19gtsv_LBM_rhs_kernelILj256ELj4ELj8E21rocsparse_complex_numIdEEEviiiPKT2_S5_S5_PS3_S5_PKi: ; @_ZN9rocsparseL19gtsv_LBM_rhs_kernelILj256ELj4ELj8E21rocsparse_complex_numIdEEEviiiPKT2_S5_S5_PS3_S5_PKi
; %bb.0:
	s_load_dword s23, s[4:5], 0x0
	v_lshl_or_b32 v44, s6, 8, v0
	s_waitcnt lgkmcnt(0)
	s_lshr_b32 s22, s23, 2
	v_cmp_gt_i32_e32 vcc, s22, v44
	s_and_saveexec_b64 s[0:1], vcc
	s_cbranch_execz .LBB288_29
; %bb.1:
	s_load_dwordx4 s[8:11], s[4:5], 0x28
	s_load_dwordx2 s[16:17], s[4:5], 0x38
	s_cmp_lt_i32 s23, 1
	v_add_u32_e32 v103, s22, v44
	s_mul_i32 s24, s7, s23
	s_cbranch_scc1 .LBB288_21
; %bb.2:
	s_load_dwordx4 s[12:15], s[4:5], 0x10
	s_load_dwordx2 s[6:7], s[4:5], 0x20
	v_ashrrev_i32_e32 v45, 31, v44
	v_lshlrev_b64 v[0:1], 4, v[44:45]
	s_lshl_b32 s27, s24, 3
	s_waitcnt lgkmcnt(0)
	v_mov_b32_e32 v2, s15
	v_add_co_u32_e32 v0, vcc, s14, v0
	v_addc_co_u32_e32 v1, vcc, v2, v1, vcc
	global_load_dwordx4 v[0:3], v[0:1], off
	s_add_i32 s28, s27, s23
	s_add_i32 s29, s28, s23
	;; [unrolled: 1-line block ×6, first 2 shown]
	s_mul_i32 s25, s22, 3
	s_lshl_b32 s26, s22, 1
	v_add_u32_e32 v104, s22, v103
	s_add_i32 s35, s34, s23
	v_mov_b32_e32 v46, 0
	s_mov_b64 s[18:19], 0
	v_mov_b32_e32 v106, s7
	v_mov_b32_e32 v105, 0
	s_branch .LBB288_5
.LBB288_3:                              ;   in Loop: Header=BB288_5 Depth=1
	s_or_b64 exec, exec, s[4:5]
	v_fma_f64 v[0:1], v[6:7], v[8:9], v[49:50]
	v_fma_f64 v[2:3], v[4:5], v[8:9], v[47:48]
	v_mul_f64 v[4:5], v[51:52], -v[0:1]
	v_mul_f64 v[6:7], v[51:52], v[2:3]
	v_fma_f64 v[2:3], v[2:3], v[10:11], v[4:5]
	v_fma_f64 v[4:5], v[0:1], v[10:11], v[6:7]
	v_mov_b32_e32 v10, s22
	v_add_f64 v[0:1], v[12:13], -v[2:3]
	v_add_f64 v[2:3], v[14:15], -v[4:5]
.LBB288_4:                              ;   in Loop: Header=BB288_5 Depth=1
	s_or_b64 exec, exec, s[2:3]
	v_add_u32_e32 v105, v10, v105
	v_cmp_le_i32_e32 vcc, s23, v105
	s_or_b64 s[18:19], vcc, s[18:19]
	s_andn2_b64 exec, exec, s[18:19]
	s_cbranch_execz .LBB288_20
.LBB288_5:                              ; =>This Inner Loop Header: Depth=1
	v_add_u32_e32 v24, v105, v44
	v_ashrrev_i32_e32 v25, 31, v24
	v_lshlrev_b64 v[4:5], 4, v[24:25]
	v_mov_b32_e32 v12, 0
	v_add_co_u32_e32 v4, vcc, s6, v4
	v_addc_co_u32_e32 v5, vcc, v106, v5, vcc
	global_load_dwordx4 v[8:11], v[4:5], off
	v_mov_b32_e32 v4, 0
	v_mov_b32_e32 v6, 0
	;; [unrolled: 1-line block ×5, first 2 shown]
	v_cmp_gt_u32_e64 s[0:1], s25, v105
	s_and_saveexec_b64 s[2:3], s[0:1]
	s_cbranch_execz .LBB288_7
; %bb.6:                                ;   in Loop: Header=BB288_5 Depth=1
	v_add_u32_e32 v4, v103, v105
	v_ashrrev_i32_e32 v5, 31, v4
	v_lshlrev_b64 v[4:5], 4, v[4:5]
	v_mov_b32_e32 v6, s13
	v_add_co_u32_e32 v4, vcc, s12, v4
	v_addc_co_u32_e32 v5, vcc, v6, v5, vcc
	global_load_dwordx4 v[4:7], v[4:5], off
.LBB288_7:                              ;   in Loop: Header=BB288_5 Depth=1
	s_or_b64 exec, exec, s[2:3]
	v_mov_b32_e32 v14, 0
	v_mov_b32_e32 v15, 0
	s_and_saveexec_b64 s[2:3], s[0:1]
	s_cbranch_execz .LBB288_9
; %bb.8:                                ;   in Loop: Header=BB288_5 Depth=1
	v_add_u32_e32 v12, v103, v105
	v_ashrrev_i32_e32 v13, 31, v12
	v_lshlrev_b64 v[12:13], 4, v[12:13]
	v_mov_b32_e32 v14, s15
	v_add_co_u32_e32 v12, vcc, s14, v12
	v_addc_co_u32_e32 v13, vcc, v14, v13, vcc
	global_load_dwordx4 v[12:15], v[12:13], off
.LBB288_9:                              ;   in Loop: Header=BB288_5 Depth=1
	s_or_b64 exec, exec, s[2:3]
	v_mov_b32_e32 v20, 0
	v_mov_b32_e32 v16, 0
	;; [unrolled: 1-line block ×6, first 2 shown]
	s_and_saveexec_b64 s[2:3], s[0:1]
	s_cbranch_execz .LBB288_11
; %bb.10:                               ;   in Loop: Header=BB288_5 Depth=1
	v_add_u32_e32 v16, v103, v105
	v_ashrrev_i32_e32 v17, 31, v16
	v_lshlrev_b64 v[16:17], 4, v[16:17]
	v_mov_b32_e32 v18, s7
	v_add_co_u32_e32 v16, vcc, s6, v16
	v_addc_co_u32_e32 v17, vcc, v18, v17, vcc
	global_load_dwordx4 v[16:19], v[16:17], off
.LBB288_11:                             ;   in Loop: Header=BB288_5 Depth=1
	s_or_b64 exec, exec, s[2:3]
	v_mov_b32_e32 v22, 0
	v_mov_b32_e32 v23, 0
	v_cmp_gt_u32_e64 s[2:3], s26, v105
	s_and_saveexec_b64 s[4:5], s[2:3]
	s_cbranch_execz .LBB288_13
; %bb.12:                               ;   in Loop: Header=BB288_5 Depth=1
	v_add_u32_e32 v20, v104, v105
	v_ashrrev_i32_e32 v21, 31, v20
	v_lshlrev_b64 v[20:21], 4, v[20:21]
	v_mov_b32_e32 v22, s13
	v_add_co_u32_e32 v20, vcc, s12, v20
	v_addc_co_u32_e32 v21, vcc, v22, v21, vcc
	global_load_dwordx4 v[20:23], v[20:21], off
.LBB288_13:                             ;   in Loop: Header=BB288_5 Depth=1
	s_or_b64 exec, exec, s[4:5]
	v_lshlrev_b64 v[25:26], 2, v[24:25]
	v_mov_b32_e32 v27, s17
	v_add_co_u32_e32 v25, vcc, s16, v25
	v_addc_co_u32_e32 v26, vcc, v27, v26, vcc
	global_load_dword v25, v[25:26], off
	s_waitcnt vmcnt(1)
	v_mul_f64 v[47:48], v[10:11], -v[6:7]
	v_mul_f64 v[49:50], v[10:11], v[4:5]
	v_cmp_ne_u32_e32 vcc, s25, v105
	v_add_u32_e32 v45, s27, v24
	v_add_u32_e32 v36, s28, v24
	;; [unrolled: 1-line block ×8, first 2 shown]
	s_waitcnt vmcnt(0)
	v_cmp_ne_u32_e64 s[4:5], 1, v25
	s_and_b64 s[4:5], vcc, s[4:5]
	s_and_saveexec_b64 s[20:21], s[4:5]
	s_xor_b64 s[20:21], exec, s[20:21]
	s_cbranch_execz .LBB288_17
; %bb.14:                               ;   in Loop: Header=BB288_5 Depth=1
	v_mul_f64 v[37:38], v[0:1], v[14:15]
	v_mul_f64 v[39:40], v[14:15], -v[2:3]
	v_fma_f64 v[41:42], v[6:7], v[8:9], v[49:50]
	v_fma_f64 v[47:48], v[4:5], v[8:9], v[47:48]
	v_mov_b32_e32 v53, s9
	v_mov_b32_e32 v35, v46
	;; [unrolled: 1-line block ×3, first 2 shown]
	v_add_u32_e32 v81, v103, v105
	v_fma_f64 v[37:38], v[2:3], v[12:13], v[37:38]
	v_fma_f64 v[49:50], v[0:1], v[12:13], v[39:40]
	v_lshlrev_b64 v[34:35], 4, v[34:35]
	v_mov_b32_e32 v33, v46
	v_mov_b32_e32 v62, s9
	v_lshlrev_b64 v[51:52], 4, v[32:33]
	v_mov_b32_e32 v64, s9
	v_mov_b32_e32 v31, v46
	v_add_f64 v[38:39], v[37:38], -v[41:42]
	v_add_f64 v[40:41], v[49:50], -v[47:48]
	v_lshlrev_b64 v[47:48], 4, v[45:46]
	v_mov_b32_e32 v37, v46
	v_add_co_u32_e32 v79, vcc, s8, v47
	v_lshlrev_b64 v[36:37], 4, v[36:37]
	v_addc_co_u32_e32 v80, vcc, v53, v48, vcc
	v_mul_f64 v[42:43], v[38:39], v[38:39]
	v_add_co_u32_e32 v139, vcc, s8, v36
	v_add_u32_e32 v45, s27, v81
	v_addc_co_u32_e32 v140, vcc, v61, v37, vcc
	v_lshlrev_b64 v[32:33], 4, v[45:46]
	v_add_co_u32_e32 v141, vcc, s8, v34
	v_fma_f64 v[42:43], v[40:41], v[40:41], v[42:43]
	v_addc_co_u32_e32 v142, vcc, v62, v35, vcc
	v_add_co_u32_e32 v85, vcc, s8, v32
	v_mov_b32_e32 v29, v46
	v_addc_co_u32_e32 v86, vcc, v64, v33, vcc
	v_div_scale_f64 v[55:56], s[4:5], v[42:43], v[42:43], 1.0
	v_lshlrev_b64 v[57:58], 4, v[30:31]
	v_lshlrev_b64 v[59:60], 4, v[28:29]
	global_load_dwordx4 v[28:31], v[79:80], off
	global_load_dwordx4 v[32:35], v[85:86], off
	v_add_u32_e32 v45, s28, v81
	v_lshlrev_b64 v[53:54], 4, v[45:46]
	v_mov_b32_e32 v63, s9
	v_mov_b32_e32 v71, s9
	v_add_co_u32_e32 v143, vcc, s8, v51
	v_add_co_u32_e64 v36, s[4:5], s8, v53
	v_addc_co_u32_e32 v144, vcc, v63, v52, vcc
	v_rcp_f64_e32 v[49:50], v[55:56]
	v_addc_co_u32_e64 v37, s[4:5], v71, v54, s[4:5]
	v_div_scale_f64 v[65:66], vcc, 1.0, v[42:43], 1.0
	global_load_dwordx4 v[51:54], v[36:37], off
	v_mov_b32_e32 v67, s9
	v_add_co_u32_e64 v145, s[4:5], s8, v57
	v_mov_b32_e32 v27, v46
	v_addc_co_u32_e64 v146, s[4:5], v67, v58, s[4:5]
	v_mov_b32_e32 v68, s9
	v_lshlrev_b64 v[26:27], 4, v[26:27]
	v_add_co_u32_e64 v147, s[4:5], s8, v59
	v_fma_f64 v[47:48], -v[55:56], v[49:50], 1.0
	v_mov_b32_e32 v25, v46
	v_addc_co_u32_e64 v148, s[4:5], v68, v60, s[4:5]
	v_mov_b32_e32 v69, s9
	v_lshlrev_b64 v[24:25], 4, v[24:25]
	v_add_co_u32_e64 v149, s[4:5], s8, v26
	v_fma_f64 v[61:62], v[49:50], v[47:48], v[49:50]
	global_load_dwordx4 v[47:50], v[139:140], off
	v_addc_co_u32_e64 v150, s[4:5], v69, v27, s[4:5]
	v_mov_b32_e32 v70, s9
	v_add_u32_e32 v45, s29, v81
	v_add_co_u32_e64 v151, s[4:5], s8, v24
	v_fma_f64 v[63:64], -v[55:56], v[61:62], 1.0
	v_addc_co_u32_e64 v152, s[4:5], v70, v25, s[4:5]
	v_lshlrev_b64 v[24:25], 4, v[45:46]
	v_mov_b32_e32 v72, s9
	v_add_co_u32_e64 v89, s[4:5], s8, v24
	v_addc_co_u32_e64 v90, s[4:5], v72, v25, s[4:5]
	v_fma_f64 v[63:64], v[61:62], v[63:64], v[61:62]
	global_load_dwordx4 v[59:62], v[141:142], off
	global_load_dwordx4 v[71:74], v[143:144], off
	v_add_u32_e32 v45, s30, v81
	v_mov_b32_e32 v82, s9
	v_mov_b32_e32 v83, s9
	;; [unrolled: 1-line block ×4, first 2 shown]
	v_mul_f64 v[57:58], v[65:66], v[63:64]
	v_mov_b32_e32 v88, s9
	v_fma_f64 v[26:27], -v[55:56], v[57:58], v[65:66]
	global_load_dwordx4 v[65:68], v[89:90], off
	global_load_dwordx4 v[75:78], v[145:146], off
	;; [unrolled: 1-line block ×5, first 2 shown]
	v_div_fmas_f64 v[24:25], v[26:27], v[63:64], v[57:58]
	v_lshlrev_b64 v[26:27], 4, v[45:46]
	v_add_u32_e32 v45, s31, v81
	v_add_co_u32_e32 v97, vcc, s8, v26
	v_addc_co_u32_e32 v98, vcc, v82, v27, vcc
	global_load_dwordx4 v[119:122], v[97:98], off
	v_lshlrev_b64 v[26:27], 4, v[45:46]
	v_fma_f64 v[57:58], v[40:41], 0, -v[38:39]
	v_add_co_u32_e32 v153, vcc, s8, v26
	v_addc_co_u32_e32 v154, vcc, v83, v27, vcc
	global_load_dwordx4 v[123:126], v[153:154], off
	v_fma_f64 v[26:27], v[38:39], 0, v[40:41]
	v_div_fixup_f64 v[42:43], v[24:25], v[42:43], 1.0
	v_add_u32_e32 v45, s33, v81
	v_lshlrev_b64 v[55:56], 4, v[45:46]
	v_add_u32_e32 v45, s34, v81
	v_add_co_u32_e32 v155, vcc, s8, v55
	v_addc_co_u32_e32 v156, vcc, v84, v56, vcc
	v_mul_f64 v[24:25], v[57:58], v[42:43]
	v_mul_f64 v[26:27], v[26:27], v[42:43]
	global_load_dwordx4 v[127:130], v[155:156], off
	v_lshlrev_b64 v[63:64], 4, v[45:46]
	v_add_u32_e32 v45, s35, v81
	v_lshlrev_b64 v[38:39], 4, v[45:46]
	v_add_co_u32_e32 v157, vcc, s8, v63
	s_waitcnt vmcnt(13)
	v_mul_f64 v[40:41], v[24:25], v[28:29]
	s_waitcnt vmcnt(12)
	v_mul_f64 v[42:43], v[24:25], v[32:33]
	v_mul_f64 v[55:56], v[24:25], -v[30:31]
	v_mul_f64 v[57:58], v[24:25], -v[34:35]
	v_addc_co_u32_e32 v158, vcc, v87, v64, vcc
	v_add_co_u32_e32 v159, vcc, s8, v38
	v_fma_f64 v[93:94], v[30:31], v[26:27], v[40:41]
	v_fma_f64 v[95:96], v[34:35], v[26:27], v[42:43]
	s_waitcnt vmcnt(10)
	v_mul_f64 v[30:31], v[24:25], v[47:48]
	v_mul_f64 v[34:35], v[24:25], v[51:52]
	v_addc_co_u32_e32 v160, vcc, v88, v39, vcc
	global_load_dwordx4 v[131:134], v[157:158], off
	v_fma_f64 v[101:102], v[28:29], v[26:27], v[55:56]
	v_fma_f64 v[99:100], v[32:33], v[26:27], v[57:58]
	v_mul_f64 v[28:29], v[93:94], -v[14:15]
	v_mul_f64 v[32:33], v[12:13], v[93:94]
	v_mul_f64 v[38:39], v[95:96], -v[10:11]
	v_mul_f64 v[40:41], v[8:9], v[95:96]
	v_mul_f64 v[42:43], v[24:25], -v[49:50]
	v_fma_f64 v[55:56], v[49:50], v[26:27], v[30:31]
	v_mul_f64 v[30:31], v[24:25], -v[53:54]
	v_fma_f64 v[57:58], v[53:54], v[26:27], v[34:35]
	v_fma_f64 v[28:29], v[12:13], v[101:102], v[28:29]
	;; [unrolled: 1-line block ×6, first 2 shown]
	v_mul_f64 v[40:41], v[55:56], -v[14:15]
	v_mul_f64 v[42:43], v[12:13], v[55:56]
	v_fma_f64 v[69:70], v[51:52], v[26:27], v[30:31]
	v_mul_f64 v[47:48], v[57:58], -v[10:11]
	v_mul_f64 v[49:50], v[8:9], v[57:58]
	v_add_f64 v[28:29], v[28:29], -v[34:35]
	v_add_f64 v[30:31], v[32:33], -v[38:39]
	s_waitcnt vmcnt(10)
	v_mul_f64 v[32:33], v[24:25], v[59:60]
	v_fma_f64 v[34:35], v[12:13], v[63:64], v[40:41]
	v_fma_f64 v[38:39], v[14:15], v[63:64], v[42:43]
	global_load_dwordx4 v[135:138], v[159:160], off
	s_waitcnt vmcnt(9)
	v_mul_f64 v[40:41], v[24:25], v[65:66]
	v_fma_f64 v[42:43], v[8:9], v[69:70], v[47:48]
	v_fma_f64 v[47:48], v[10:11], v[69:70], v[49:50]
	v_mul_f64 v[49:50], v[24:25], -v[61:62]
	v_fma_f64 v[83:84], v[61:62], v[26:27], v[32:33]
	v_mul_f64 v[32:33], v[24:25], -v[67:68]
	global_store_dwordx4 v[79:80], v[28:31], off
	v_mul_f64 v[53:54], v[24:25], -v[73:74]
	v_fma_f64 v[87:88], v[67:68], v[26:27], v[40:41]
	v_add_f64 v[28:29], v[34:35], -v[42:43]
	v_mul_f64 v[34:35], v[24:25], v[71:72]
	v_add_f64 v[30:31], v[38:39], -v[47:48]
	v_fma_f64 v[81:82], v[59:60], v[26:27], v[49:50]
	v_mul_f64 v[38:39], v[83:84], -v[14:15]
	v_fma_f64 v[91:92], v[65:66], v[26:27], v[32:33]
	s_waitcnt vmcnt(5)
	v_mul_f64 v[32:33], v[24:25], v[119:120]
	v_mul_f64 v[42:43], v[87:88], -v[10:11]
	v_mul_f64 v[49:50], v[12:13], v[83:84]
	v_mul_f64 v[51:52], v[8:9], v[87:88]
	v_fma_f64 v[40:41], v[73:74], v[26:27], v[34:35]
	v_mul_f64 v[59:60], v[24:25], -v[121:122]
	v_fma_f64 v[34:35], v[12:13], v[81:82], v[38:39]
	v_fma_f64 v[38:39], v[71:72], v[26:27], v[53:54]
	;; [unrolled: 1-line block ×6, first 2 shown]
	v_mul_f64 v[53:54], v[40:41], -v[14:15]
	v_mul_f64 v[61:62], v[12:13], v[40:41]
	v_fma_f64 v[42:43], v[119:120], v[26:27], v[59:60]
	v_mul_f64 v[65:66], v[24:25], v[75:76]
	v_mul_f64 v[59:60], v[47:48], -v[10:11]
	v_add_f64 v[32:33], v[34:35], -v[32:33]
	v_mul_f64 v[67:68], v[8:9], v[47:48]
	v_add_f64 v[34:35], v[49:50], -v[51:52]
	v_fma_f64 v[49:50], v[12:13], v[38:39], v[53:54]
	s_waitcnt vmcnt(4)
	v_mul_f64 v[53:54], v[24:25], v[123:124]
	v_fma_f64 v[51:52], v[14:15], v[38:39], v[61:62]
	v_mul_f64 v[61:62], v[24:25], -v[77:78]
	v_fma_f64 v[59:60], v[8:9], v[42:43], v[59:60]
	v_fma_f64 v[73:74], v[77:78], v[26:27], v[65:66]
	;; [unrolled: 1-line block ×3, first 2 shown]
	v_mul_f64 v[67:68], v[24:25], -v[125:126]
	global_store_dwordx4 v[139:140], v[28:31], off
	global_store_dwordx4 v[141:142], v[32:35], off
	v_fma_f64 v[77:78], v[125:126], v[26:27], v[53:54]
	v_mul_f64 v[34:35], v[24:25], v[107:108]
	v_fma_f64 v[71:72], v[75:76], v[26:27], v[61:62]
	v_add_f64 v[28:29], v[49:50], -v[59:60]
	v_mul_f64 v[32:33], v[73:74], -v[14:15]
	v_add_f64 v[30:31], v[51:52], -v[65:66]
	v_fma_f64 v[75:76], v[123:124], v[26:27], v[67:68]
	s_waitcnt vmcnt(5)
	v_mul_f64 v[49:50], v[24:25], v[127:128]
	v_mul_f64 v[51:52], v[77:78], -v[10:11]
	v_mul_f64 v[53:54], v[12:13], v[73:74]
	v_mul_f64 v[65:66], v[8:9], v[77:78]
	v_mul_f64 v[67:68], v[24:25], -v[109:110]
	v_fma_f64 v[32:33], v[12:13], v[71:72], v[32:33]
	v_mul_f64 v[79:80], v[24:25], -v[129:130]
	v_fma_f64 v[61:62], v[109:110], v[26:27], v[34:35]
	v_fma_f64 v[59:60], v[129:130], v[26:27], v[49:50]
	;; [unrolled: 1-line block ×5, first 2 shown]
	global_store_dwordx4 v[143:144], v[28:31], off
	v_fma_f64 v[67:68], v[107:108], v[26:27], v[67:68]
	v_fma_f64 v[65:66], v[127:128], v[26:27], v[79:80]
	v_mul_f64 v[53:54], v[61:62], -v[14:15]
	v_mul_f64 v[79:80], v[59:60], -v[10:11]
	v_add_f64 v[28:29], v[32:33], -v[34:35]
	v_mul_f64 v[32:33], v[12:13], v[61:62]
	v_add_f64 v[30:31], v[49:50], -v[51:52]
	v_mul_f64 v[34:35], v[24:25], v[111:112]
	s_waitcnt vmcnt(5)
	v_mul_f64 v[49:50], v[24:25], v[131:132]
	v_mul_f64 v[107:108], v[8:9], v[59:60]
	v_fma_f64 v[53:54], v[12:13], v[67:68], v[53:54]
	v_fma_f64 v[79:80], v[8:9], v[65:66], v[79:80]
	v_mul_f64 v[109:110], v[24:25], -v[113:114]
	v_fma_f64 v[32:33], v[14:15], v[67:68], v[32:33]
	v_mul_f64 v[119:120], v[24:25], -v[133:134]
	v_fma_f64 v[51:52], v[113:114], v[26:27], v[34:35]
	v_fma_f64 v[49:50], v[133:134], v[26:27], v[49:50]
	;; [unrolled: 1-line block ×3, first 2 shown]
	global_store_dwordx4 v[145:146], v[28:31], off
	v_add_f64 v[107:108], v[53:54], -v[79:80]
	v_fma_f64 v[53:54], v[111:112], v[26:27], v[109:110]
	v_mul_f64 v[28:29], v[24:25], v[115:116]
	v_fma_f64 v[79:80], v[131:132], v[26:27], v[119:120]
	v_mul_f64 v[30:31], v[51:52], -v[14:15]
	v_mul_f64 v[111:112], v[49:50], -v[10:11]
	v_add_f64 v[109:110], v[32:33], -v[34:35]
	s_waitcnt vmcnt(5)
	v_mul_f64 v[32:33], v[24:25], v[135:136]
	v_mul_f64 v[34:35], v[12:13], v[51:52]
	v_mul_f64 v[113:114], v[24:25], -v[117:118]
	v_fma_f64 v[28:29], v[117:118], v[26:27], v[28:29]
	v_mul_f64 v[117:118], v[8:9], v[49:50]
	v_fma_f64 v[119:120], v[12:13], v[53:54], v[30:31]
	v_fma_f64 v[111:112], v[8:9], v[79:80], v[111:112]
	v_mul_f64 v[121:122], v[24:25], -v[137:138]
	v_fma_f64 v[32:33], v[137:138], v[26:27], v[32:33]
	global_store_dwordx4 v[147:148], v[107:110], off
	v_fma_f64 v[30:31], v[115:116], v[26:27], v[113:114]
	v_mul_f64 v[109:110], v[28:29], -v[14:15]
	v_fma_f64 v[113:114], v[14:15], v[53:54], v[34:35]
	v_fma_f64 v[115:116], v[10:11], v[79:80], v[117:118]
	v_add_f64 v[107:108], v[119:120], -v[111:112]
	v_fma_f64 v[34:35], v[135:136], v[26:27], v[121:122]
	v_mul_f64 v[111:112], v[32:33], -v[10:11]
	v_mul_f64 v[117:118], v[12:13], v[28:29]
	v_mul_f64 v[119:120], v[8:9], v[32:33]
	v_fma_f64 v[12:13], v[12:13], v[30:31], v[109:110]
	v_mul_f64 v[121:122], v[6:7], v[93:94]
	v_mul_f64 v[123:124], v[93:94], -v[4:5]
	v_mul_f64 v[125:126], v[95:96], -v[2:3]
	v_mul_f64 v[127:128], v[0:1], v[95:96]
	v_fma_f64 v[8:9], v[8:9], v[34:35], v[111:112]
	v_fma_f64 v[14:15], v[14:15], v[30:31], v[117:118]
	;; [unrolled: 1-line block ×3, first 2 shown]
	v_add_f64 v[109:110], v[113:114], -v[115:116]
	v_fma_f64 v[111:112], -v[4:5], v[101:102], v[121:122]
	v_fma_f64 v[113:114], -v[6:7], v[101:102], v[123:124]
	v_fma_f64 v[115:116], v[0:1], v[99:100], v[125:126]
	v_fma_f64 v[117:118], v[2:3], v[99:100], v[127:128]
	v_add_f64 v[8:9], v[12:13], -v[8:9]
	v_mul_f64 v[119:120], v[6:7], v[55:56]
	v_mul_f64 v[121:122], v[55:56], -v[4:5]
	v_add_f64 v[10:11], v[14:15], -v[10:11]
	v_mul_f64 v[123:124], v[57:58], -v[2:3]
	v_mul_f64 v[125:126], v[0:1], v[57:58]
	global_store_dwordx4 v[149:150], v[107:110], off
	v_add_f64 v[12:13], v[111:112], v[115:116]
	v_add_f64 v[14:15], v[113:114], v[117:118]
	v_fma_f64 v[107:108], -v[4:5], v[63:64], v[119:120]
	v_fma_f64 v[109:110], -v[6:7], v[63:64], v[121:122]
	global_store_dwordx4 v[151:152], v[8:11], off
	v_mul_f64 v[115:116], v[87:88], -v[2:3]
	v_mul_f64 v[8:9], v[6:7], v[83:84]
	v_mul_f64 v[10:11], v[83:84], -v[4:5]
	v_mul_f64 v[117:118], v[0:1], v[87:88]
	v_mul_f64 v[119:120], v[6:7], v[40:41]
	v_mul_f64 v[121:122], v[47:48], -v[2:3]
	v_fma_f64 v[111:112], v[0:1], v[69:70], v[123:124]
	v_fma_f64 v[113:114], v[2:3], v[69:70], v[125:126]
	v_mul_f64 v[123:124], v[40:41], -v[4:5]
	v_mul_f64 v[125:126], v[0:1], v[47:48]
	v_fma_f64 v[127:128], -v[4:5], v[81:82], v[8:9]
	v_fma_f64 v[129:130], -v[6:7], v[81:82], v[10:11]
	v_fma_f64 v[115:116], v[0:1], v[91:92], v[115:116]
	v_fma_f64 v[117:118], v[2:3], v[91:92], v[117:118]
	v_fma_f64 v[119:120], -v[4:5], v[38:39], v[119:120]
	v_fma_f64 v[121:122], v[0:1], v[42:43], v[121:122]
	v_add_f64 v[8:9], v[107:108], v[111:112]
	v_add_f64 v[10:11], v[109:110], v[113:114]
	v_mul_f64 v[111:112], v[6:7], v[73:74]
	v_mul_f64 v[113:114], v[77:78], -v[2:3]
	global_store_dwordx4 v[85:86], v[12:15], off
	v_fma_f64 v[85:86], -v[6:7], v[38:39], v[123:124]
	v_fma_f64 v[109:110], v[2:3], v[42:43], v[125:126]
	v_add_f64 v[12:13], v[127:128], v[115:116]
	v_add_f64 v[14:15], v[129:130], v[117:118]
	;; [unrolled: 1-line block ×3, first 2 shown]
	v_mul_f64 v[115:116], v[73:74], -v[4:5]
	v_mul_f64 v[117:118], v[0:1], v[77:78]
	v_mul_f64 v[119:120], v[6:7], v[61:62]
	v_mul_f64 v[121:122], v[61:62], -v[4:5]
	v_mul_f64 v[123:124], v[59:60], -v[2:3]
	v_mul_f64 v[125:126], v[0:1], v[59:60]
	v_fma_f64 v[111:112], -v[4:5], v[71:72], v[111:112]
	v_fma_f64 v[113:114], v[0:1], v[75:76], v[113:114]
	v_add_f64 v[109:110], v[85:86], v[109:110]
	v_fma_f64 v[85:86], -v[6:7], v[71:72], v[115:116]
	v_fma_f64 v[115:116], v[2:3], v[75:76], v[117:118]
	v_fma_f64 v[117:118], -v[4:5], v[67:68], v[119:120]
	v_fma_f64 v[119:120], -v[6:7], v[67:68], v[121:122]
	v_fma_f64 v[121:122], v[0:1], v[65:66], v[123:124]
	v_fma_f64 v[123:124], v[2:3], v[65:66], v[125:126]
	v_mul_f64 v[125:126], v[51:52], -v[4:5]
	v_mul_f64 v[129:130], v[0:1], v[49:50]
	v_mul_f64 v[131:132], v[6:7], v[28:29]
	v_mul_f64 v[133:134], v[28:29], -v[4:5]
	v_mul_f64 v[135:136], v[32:33], -v[2:3]
	v_mul_f64 v[137:138], v[0:1], v[32:33]
	v_add_f64 v[111:112], v[111:112], v[113:114]
	v_mul_f64 v[113:114], v[6:7], v[51:52]
	v_mul_f64 v[127:128], v[49:50], -v[2:3]
	v_fma_f64 v[125:126], -v[6:7], v[53:54], v[125:126]
	v_fma_f64 v[129:130], v[2:3], v[79:80], v[129:130]
	v_fma_f64 v[131:132], -v[4:5], v[30:31], v[131:132]
	v_fma_f64 v[133:134], -v[6:7], v[30:31], v[133:134]
	v_fma_f64 v[135:136], v[0:1], v[34:35], v[135:136]
	v_fma_f64 v[137:138], v[2:3], v[34:35], v[137:138]
	v_fma_f64 v[139:140], -v[4:5], v[53:54], v[113:114]
	v_fma_f64 v[127:128], v[0:1], v[79:80], v[127:128]
	v_add_f64 v[113:114], v[85:86], v[115:116]
	v_add_f64 v[115:116], v[117:118], v[121:122]
	;; [unrolled: 1-line block ×6, first 2 shown]
	global_store_dwordx4 v[36:37], v[8:11], off
	v_add_f64 v[119:120], v[139:140], v[127:128]
	v_mov_b32_e32 v8, 0
	v_mov_b32_e32 v10, 0
	;; [unrolled: 1-line block ×4, first 2 shown]
	global_store_dwordx4 v[89:90], v[12:15], off
	global_store_dwordx4 v[97:98], v[107:110], off
	;; [unrolled: 1-line block ×6, first 2 shown]
	s_and_saveexec_b64 s[4:5], s[2:3]
	s_cbranch_execz .LBB288_16
; %bb.15:                               ;   in Loop: Header=BB288_5 Depth=1
	v_add_u32_e32 v12, v104, v105
	v_add_u32_e32 v45, s27, v12
	v_lshlrev_b64 v[8:9], 4, v[45:46]
	v_mov_b32_e32 v10, s9
	v_add_co_u32_e32 v13, vcc, s8, v8
	v_addc_co_u32_e32 v14, vcc, v10, v9, vcc
	global_load_dwordx4 v[8:11], v[13:14], off
	v_mul_f64 v[36:37], v[22:23], -v[4:5]
	v_mul_f64 v[85:86], v[6:7], v[22:23]
	v_mul_f64 v[89:90], v[0:1], v[22:23]
	v_mul_f64 v[97:98], v[22:23], -v[2:3]
	v_add_u32_e32 v45, s28, v12
	v_mov_b32_e32 v15, s9
	v_fma_f64 v[36:37], -v[6:7], v[20:21], v[36:37]
	v_fma_f64 v[85:86], -v[4:5], v[20:21], v[85:86]
	v_fma_f64 v[89:90], v[2:3], v[20:21], v[89:90]
	v_fma_f64 v[97:98], v[0:1], v[20:21], v[97:98]
	v_mul_f64 v[4:5], v[36:37], v[93:94]
	v_mul_f64 v[6:7], v[93:94], -v[85:86]
	v_mul_f64 v[93:94], v[95:96], -v[89:90]
	v_mul_f64 v[95:96], v[97:98], v[95:96]
	v_fma_f64 v[4:5], -v[85:86], v[101:102], v[4:5]
	v_fma_f64 v[6:7], -v[36:37], v[101:102], v[6:7]
	v_fma_f64 v[93:94], v[97:98], v[99:100], v[93:94]
	v_fma_f64 v[95:96], v[89:90], v[99:100], v[95:96]
	v_mul_f64 v[101:102], v[36:37], v[83:84]
	v_add_f64 v[93:94], v[4:5], -v[93:94]
	v_add_f64 v[95:96], v[6:7], -v[95:96]
	v_lshlrev_b64 v[4:5], 4, v[45:46]
	v_add_u32_e32 v45, s29, v12
	v_add_co_u32_e32 v99, vcc, s8, v4
	v_addc_co_u32_e32 v100, vcc, v15, v5, vcc
	global_load_dwordx4 v[4:7], v[99:100], off
	s_waitcnt vmcnt(1)
	v_add_f64 v[8:9], v[93:94], v[8:9]
	v_add_f64 v[10:11], v[95:96], v[10:11]
	v_lshlrev_b64 v[93:94], 4, v[45:46]
	v_mul_f64 v[95:96], v[57:58], -v[89:90]
	v_add_co_u32_e32 v93, vcc, s8, v93
	v_addc_co_u32_e32 v94, vcc, v15, v94, vcc
	v_mul_f64 v[57:58], v[97:98], v[57:58]
	global_store_dwordx4 v[13:14], v[8:11], off
	global_load_dwordx4 v[8:11], v[93:94], off
	v_mul_f64 v[13:14], v[36:37], v[55:56]
	v_mul_f64 v[55:56], v[55:56], -v[85:86]
	v_add_u32_e32 v45, s30, v12
	v_fma_f64 v[57:58], v[89:90], v[69:70], v[57:58]
	v_fma_f64 v[13:14], -v[85:86], v[63:64], v[13:14]
	v_fma_f64 v[55:56], -v[36:37], v[63:64], v[55:56]
	v_fma_f64 v[63:64], v[97:98], v[69:70], v[95:96]
	v_mul_f64 v[69:70], v[83:84], -v[85:86]
	v_mul_f64 v[83:84], v[87:88], -v[89:90]
	v_mul_f64 v[87:88], v[97:98], v[87:88]
	v_fma_f64 v[95:96], -v[85:86], v[81:82], v[101:102]
	v_add_f64 v[55:56], v[55:56], -v[57:58]
	v_add_f64 v[13:14], v[13:14], -v[63:64]
	v_fma_f64 v[57:58], -v[36:37], v[81:82], v[69:70]
	v_fma_f64 v[63:64], v[97:98], v[91:92], v[83:84]
	v_fma_f64 v[69:70], v[89:90], v[91:92], v[87:88]
	v_mul_f64 v[81:82], v[77:78], -v[89:90]
	v_mul_f64 v[77:78], v[97:98], v[77:78]
	v_add_f64 v[57:58], v[57:58], -v[69:70]
	v_mul_f64 v[69:70], v[36:37], v[73:74]
	v_mul_f64 v[73:74], v[73:74], -v[85:86]
	s_waitcnt vmcnt(2)
	v_add_f64 v[6:7], v[55:56], v[6:7]
	v_add_f64 v[55:56], v[95:96], -v[63:64]
	v_add_f64 v[4:5], v[13:14], v[4:5]
	v_lshlrev_b64 v[13:14], 4, v[45:46]
	v_add_u32_e32 v45, s31, v12
	v_add_co_u32_e32 v13, vcc, s8, v13
	v_addc_co_u32_e32 v14, vcc, v15, v14, vcc
	v_mul_f64 v[63:64], v[47:48], -v[89:90]
	global_store_dwordx4 v[99:100], v[4:7], off
	global_load_dwordx4 v[4:7], v[13:14], off
	v_mul_f64 v[47:48], v[97:98], v[47:48]
	s_waitcnt vmcnt(2)
	v_add_f64 v[8:9], v[55:56], v[8:9]
	v_add_f64 v[10:11], v[57:58], v[10:11]
	v_lshlrev_b64 v[55:56], 4, v[45:46]
	v_mul_f64 v[57:58], v[36:37], v[40:41]
	v_add_co_u32_e32 v55, vcc, s8, v55
	v_addc_co_u32_e32 v56, vcc, v15, v56, vcc
	v_mul_f64 v[40:41], v[40:41], -v[85:86]
	global_store_dwordx4 v[93:94], v[8:11], off
	global_load_dwordx4 v[8:11], v[55:56], off
	v_fma_f64 v[57:58], -v[85:86], v[38:39], v[57:58]
	v_add_u32_e32 v45, s33, v12
	v_fma_f64 v[38:39], -v[36:37], v[38:39], v[40:41]
	v_fma_f64 v[40:41], v[97:98], v[42:43], v[63:64]
	v_fma_f64 v[42:43], v[89:90], v[42:43], v[47:48]
	v_fma_f64 v[47:48], -v[85:86], v[71:72], v[69:70]
	v_fma_f64 v[63:64], -v[36:37], v[71:72], v[73:74]
	v_fma_f64 v[69:70], v[97:98], v[75:76], v[81:82]
	v_fma_f64 v[71:72], v[89:90], v[75:76], v[77:78]
	v_add_f64 v[40:41], v[57:58], -v[40:41]
	v_add_f64 v[38:39], v[38:39], -v[42:43]
	;; [unrolled: 1-line block ×4, first 2 shown]
	s_waitcnt vmcnt(2)
	v_add_f64 v[4:5], v[40:41], v[4:5]
	v_add_f64 v[6:7], v[38:39], v[6:7]
	v_lshlrev_b64 v[38:39], 4, v[45:46]
	v_mul_f64 v[40:41], v[97:98], v[59:60]
	v_add_co_u32_e32 v38, vcc, s8, v38
	v_addc_co_u32_e32 v39, vcc, v15, v39, vcc
	v_add_u32_e32 v45, s34, v12
	v_fma_f64 v[40:41], v[89:90], v[65:66], v[40:41]
	s_waitcnt vmcnt(0)
	v_add_f64 v[8:9], v[42:43], v[8:9]
	v_add_f64 v[10:11], v[47:48], v[10:11]
	global_store_dwordx4 v[13:14], v[4:7], off
	global_store_dwordx4 v[55:56], v[8:11], off
	global_load_dwordx4 v[4:7], v[38:39], off
	v_mul_f64 v[8:9], v[36:37], v[61:62]
	v_mul_f64 v[10:11], v[61:62], -v[85:86]
	v_mul_f64 v[13:14], v[59:60], -v[89:90]
	v_fma_f64 v[8:9], -v[85:86], v[67:68], v[8:9]
	v_fma_f64 v[10:11], -v[36:37], v[67:68], v[10:11]
	v_fma_f64 v[13:14], v[97:98], v[65:66], v[13:14]
	v_add_f64 v[10:11], v[10:11], -v[40:41]
	v_add_f64 v[8:9], v[8:9], -v[13:14]
	v_mul_f64 v[13:14], v[51:52], -v[85:86]
	v_mul_f64 v[40:41], v[97:98], v[49:50]
	v_fma_f64 v[13:14], -v[36:37], v[53:54], v[13:14]
	v_fma_f64 v[40:41], v[89:90], v[79:80], v[40:41]
	v_add_f64 v[14:15], v[13:14], -v[40:41]
	v_ashrrev_i32_e32 v13, 31, v12
	s_waitcnt vmcnt(0)
	v_add_f64 v[4:5], v[8:9], v[4:5]
	v_add_f64 v[6:7], v[10:11], v[6:7]
	v_lshlrev_b64 v[8:9], 4, v[45:46]
	v_mov_b32_e32 v10, s9
	v_add_co_u32_e32 v8, vcc, s8, v8
	v_addc_co_u32_e32 v9, vcc, v10, v9, vcc
	v_mul_f64 v[10:11], v[36:37], v[51:52]
	global_store_dwordx4 v[38:39], v[4:7], off
	global_load_dwordx4 v[4:7], v[8:9], off
	v_mul_f64 v[38:39], v[49:50], -v[89:90]
	v_add_u32_e32 v45, s35, v12
	v_fma_f64 v[10:11], -v[85:86], v[53:54], v[10:11]
	v_fma_f64 v[38:39], v[97:98], v[79:80], v[38:39]
	v_add_f64 v[10:11], v[10:11], -v[38:39]
	v_mov_b32_e32 v38, s9
	v_mov_b32_e32 v39, s15
	s_waitcnt vmcnt(0)
	v_add_f64 v[4:5], v[10:11], v[4:5]
	v_add_f64 v[6:7], v[14:15], v[6:7]
	v_lshlrev_b64 v[10:11], 4, v[12:13]
	v_lshlrev_b64 v[12:13], 4, v[45:46]
	v_add_co_u32_e32 v14, vcc, s8, v12
	v_addc_co_u32_e32 v15, vcc, v38, v13, vcc
	global_store_dwordx4 v[8:9], v[4:7], off
	v_add_co_u32_e32 v8, vcc, s14, v10
	v_addc_co_u32_e32 v9, vcc, v39, v11, vcc
	global_load_dwordx4 v[4:7], v[14:15], off
	global_load_dwordx4 v[10:13], v[8:9], off
	v_mul_f64 v[8:9], v[2:3], -v[22:23]
	v_mul_f64 v[2:3], v[2:3], v[20:21]
	v_fma_f64 v[8:9], v[20:21], v[0:1], v[8:9]
	v_fma_f64 v[0:1], v[22:23], v[0:1], v[2:3]
	v_mul_f64 v[20:21], v[36:37], v[28:29]
	v_mul_f64 v[22:23], v[28:29], -v[85:86]
	v_mul_f64 v[28:29], v[32:33], -v[89:90]
	v_mul_f64 v[32:33], v[97:98], v[32:33]
	v_mul_f64 v[2:3], v[18:19], v[8:9]
	v_mul_f64 v[18:19], v[18:19], -v[0:1]
	v_fma_f64 v[0:1], v[0:1], v[16:17], v[2:3]
	v_fma_f64 v[2:3], v[8:9], v[16:17], v[18:19]
	v_fma_f64 v[8:9], -v[85:86], v[30:31], v[20:21]
	v_fma_f64 v[16:17], -v[36:37], v[30:31], v[22:23]
	v_fma_f64 v[18:19], v[97:98], v[34:35], v[28:29]
	v_fma_f64 v[20:21], v[89:90], v[34:35], v[32:33]
	v_mul_f64 v[22:23], v[24:25], -v[0:1]
	v_mul_f64 v[24:25], v[24:25], v[2:3]
	v_add_f64 v[8:9], v[8:9], -v[18:19]
	v_add_f64 v[16:17], v[16:17], -v[20:21]
	v_fma_f64 v[18:19], v[2:3], v[26:27], v[22:23]
	v_fma_f64 v[20:21], v[0:1], v[26:27], v[24:25]
	s_waitcnt vmcnt(1)
	v_add_f64 v[0:1], v[8:9], v[4:5]
	v_add_f64 v[2:3], v[16:17], v[6:7]
	s_waitcnt vmcnt(0)
	v_add_f64 v[10:11], v[10:11], -v[18:19]
	v_add_f64 v[8:9], v[12:13], -v[20:21]
	global_store_dwordx4 v[14:15], v[0:3], off
.LBB288_16:                             ;   in Loop: Header=BB288_5 Depth=1
	s_or_b64 exec, exec, s[4:5]
	v_mov_b32_e32 v2, v8
	v_mov_b32_e32 v0, v10
	;; [unrolled: 1-line block ×4, first 2 shown]
                                        ; implicit-def: $vgpr4_vgpr5
                                        ; implicit-def: $vgpr12_vgpr13
                                        ; implicit-def: $vgpr8_vgpr9
                                        ; implicit-def: $vgpr47_vgpr48
                                        ; implicit-def: $vgpr49_vgpr50
                                        ; implicit-def: $vgpr36
                                        ; implicit-def: $vgpr34
                                        ; implicit-def: $vgpr32
                                        ; implicit-def: $vgpr30
                                        ; implicit-def: $vgpr28
                                        ; implicit-def: $vgpr26
                                        ; implicit-def: $vgpr24
.LBB288_17:                             ;   in Loop: Header=BB288_5 Depth=1
	s_or_saveexec_b64 s[2:3], s[20:21]
	v_mov_b32_e32 v10, s26
	s_xor_b64 exec, exec, s[2:3]
	s_cbranch_execz .LBB288_4
; %bb.18:                               ;   in Loop: Header=BB288_5 Depth=1
	v_mul_f64 v[10:11], v[2:3], v[2:3]
	v_lshlrev_b64 v[16:17], 4, v[45:46]
	v_mov_b32_e32 v35, v46
	v_mov_b32_e32 v37, v46
	v_lshlrev_b64 v[20:21], 4, v[34:35]
	v_mov_b32_e32 v25, s9
	v_lshlrev_b64 v[18:19], 4, v[36:37]
	v_add_co_u32_e32 v73, vcc, s8, v16
	v_fma_f64 v[10:11], v[0:1], v[0:1], v[10:11]
	v_addc_co_u32_e32 v74, vcc, v25, v17, vcc
	v_mov_b32_e32 v40, s9
	v_add_co_u32_e32 v75, vcc, s8, v18
	v_mov_b32_e32 v33, v46
	v_addc_co_u32_e32 v76, vcc, v40, v19, vcc
	v_div_scale_f64 v[38:39], s[4:5], v[10:11], v[10:11], 1.0
	v_mov_b32_e32 v41, s9
	v_lshlrev_b64 v[22:23], 4, v[32:33]
	v_add_co_u32_e32 v77, vcc, s8, v20
	v_mov_b32_e32 v31, v46
	v_addc_co_u32_e32 v78, vcc, v41, v21, vcc
	v_mov_b32_e32 v42, s9
	v_lshlrev_b64 v[30:31], 4, v[30:31]
	v_add_co_u32_e32 v79, vcc, s8, v22
	v_mov_b32_e32 v29, v46
	v_addc_co_u32_e32 v80, vcc, v42, v23, vcc
	v_rcp_f64_e32 v[34:35], v[38:39]
	v_mov_b32_e32 v43, s9
	v_lshlrev_b64 v[28:29], 4, v[28:29]
	v_add_co_u32_e32 v81, vcc, s8, v30
	v_mov_b32_e32 v27, v46
	v_addc_co_u32_e32 v82, vcc, v43, v31, vcc
	v_mov_b32_e32 v45, s9
	v_lshlrev_b64 v[32:33], 4, v[26:27]
	v_add_co_u32_e32 v83, vcc, s8, v28
	v_addc_co_u32_e32 v84, vcc, v45, v29, vcc
	v_mov_b32_e32 v25, v46
	v_mov_b32_e32 v51, s9
	v_add_co_u32_e32 v85, vcc, s8, v32
	v_lshlrev_b64 v[24:25], 4, v[24:25]
	v_addc_co_u32_e32 v86, vcc, v51, v33, vcc
	v_mov_b32_e32 v32, s9
	v_add_co_u32_e32 v87, vcc, s8, v24
	v_fma_f64 v[30:31], -v[38:39], v[34:35], 1.0
	global_load_dwordx4 v[16:19], v[73:74], off
	global_load_dwordx4 v[20:23], v[75:76], off
	;; [unrolled: 1-line block ×6, first 2 shown]
	v_addc_co_u32_e32 v88, vcc, v32, v25, vcc
	global_load_dwordx4 v[65:68], v[85:86], off
	global_load_dwordx4 v[69:72], v[87:88], off
	v_div_scale_f64 v[24:25], vcc, 1.0, v[10:11], 1.0
	v_fma_f64 v[30:31], v[34:35], v[30:31], v[34:35]
	v_fma_f64 v[32:33], -v[38:39], v[30:31], 1.0
	v_fma_f64 v[30:31], v[30:31], v[32:33], v[30:31]
	v_mul_f64 v[32:33], v[24:25], v[30:31]
	v_fma_f64 v[24:25], -v[38:39], v[32:33], v[24:25]
	v_div_fmas_f64 v[24:25], v[24:25], v[30:31], v[32:33]
	v_fma_f64 v[30:31], v[0:1], 0, -v[2:3]
	v_fma_f64 v[0:1], v[2:3], 0, v[0:1]
	v_div_fixup_f64 v[10:11], v[24:25], v[10:11], 1.0
	v_mul_f64 v[51:52], v[30:31], v[10:11]
	v_mul_f64 v[10:11], v[0:1], v[10:11]
	s_waitcnt vmcnt(7)
	v_mul_f64 v[0:1], v[51:52], -v[18:19]
	v_mul_f64 v[2:3], v[51:52], v[16:17]
	s_waitcnt vmcnt(6)
	v_mul_f64 v[24:25], v[51:52], -v[22:23]
	;; [unrolled: 3-line block ×8, first 2 shown]
	v_mul_f64 v[111:112], v[51:52], v[69:70]
	v_fma_f64 v[40:41], v[16:17], v[10:11], v[0:1]
	v_fma_f64 v[42:43], v[18:19], v[10:11], v[2:3]
	;; [unrolled: 1-line block ×16, first 2 shown]
	global_store_dwordx4 v[73:74], v[40:43], off
	global_store_dwordx4 v[75:76], v[36:39], off
	;; [unrolled: 1-line block ×8, first 2 shown]
	s_and_saveexec_b64 s[4:5], s[0:1]
	s_cbranch_execz .LBB288_3
; %bb.19:                               ;   in Loop: Header=BB288_5 Depth=1
	v_add_u32_e32 v65, v103, v105
	v_add_u32_e32 v45, s27, v65
	v_lshlrev_b64 v[53:54], 4, v[45:46]
	v_mov_b32_e32 v45, s9
	v_add_co_u32_e32 v61, vcc, s8, v53
	v_addc_co_u32_e32 v62, vcc, v45, v54, vcc
	global_load_dwordx4 v[53:56], v[61:62], off
	v_add_u32_e32 v45, s28, v65
	v_lshlrev_b64 v[57:58], 4, v[45:46]
	v_add_u32_e32 v45, s29, v65
	v_mov_b32_e32 v59, s9
	v_add_co_u32_e32 v63, vcc, s8, v57
	v_addc_co_u32_e32 v64, vcc, v59, v58, vcc
	global_load_dwordx4 v[57:60], v[63:64], off
	s_waitcnt vmcnt(1)
	v_fma_f64 v[53:54], -v[4:5], v[40:41], v[53:54]
	v_fma_f64 v[55:56], -v[6:7], v[40:41], v[55:56]
	v_fma_f64 v[40:41], v[6:7], v[42:43], v[53:54]
	v_fma_f64 v[42:43], -v[4:5], v[42:43], v[55:56]
	v_lshlrev_b64 v[53:54], 4, v[45:46]
	v_mov_b32_e32 v55, s9
	v_add_co_u32_e32 v53, vcc, s8, v53
	v_addc_co_u32_e32 v54, vcc, v55, v54, vcc
	v_add_u32_e32 v45, s30, v65
	global_store_dwordx4 v[61:62], v[40:43], off
	global_load_dwordx4 v[40:43], v[53:54], off
	s_waitcnt vmcnt(2)
	v_fma_f64 v[55:56], -v[4:5], v[36:37], v[57:58]
	v_fma_f64 v[57:58], -v[6:7], v[36:37], v[59:60]
	v_fma_f64 v[36:37], v[6:7], v[38:39], v[55:56]
	v_fma_f64 v[38:39], -v[4:5], v[38:39], v[57:58]
	v_lshlrev_b64 v[55:56], 4, v[45:46]
	v_add_u32_e32 v45, s31, v65
	v_mov_b32_e32 v57, s9
	v_add_co_u32_e32 v55, vcc, s8, v55
	v_addc_co_u32_e32 v56, vcc, v57, v56, vcc
	global_store_dwordx4 v[63:64], v[36:39], off
	global_load_dwordx4 v[36:39], v[55:56], off
	s_waitcnt vmcnt(2)
	v_fma_f64 v[40:41], -v[4:5], v[32:33], v[40:41]
	v_fma_f64 v[42:43], -v[6:7], v[32:33], v[42:43]
	v_fma_f64 v[32:33], v[6:7], v[34:35], v[40:41]
	v_fma_f64 v[34:35], -v[4:5], v[34:35], v[42:43]
	v_lshlrev_b64 v[40:41], 4, v[45:46]
	v_mov_b32_e32 v42, s9
	v_add_co_u32_e32 v40, vcc, s8, v40
	v_addc_co_u32_e32 v41, vcc, v42, v41, vcc
	v_add_u32_e32 v45, s33, v65
	global_store_dwordx4 v[53:54], v[32:35], off
	global_load_dwordx4 v[32:35], v[40:41], off
	s_waitcnt vmcnt(2)
	v_fma_f64 v[36:37], -v[4:5], v[28:29], v[36:37]
	v_fma_f64 v[38:39], -v[6:7], v[28:29], v[38:39]
	v_fma_f64 v[28:29], v[6:7], v[30:31], v[36:37]
	v_fma_f64 v[30:31], -v[4:5], v[30:31], v[38:39]
	s_waitcnt vmcnt(0)
	v_fma_f64 v[32:33], -v[4:5], v[24:25], v[32:33]
	v_fma_f64 v[34:35], -v[6:7], v[24:25], v[34:35]
	v_fma_f64 v[24:25], v[6:7], v[26:27], v[32:33]
	v_fma_f64 v[26:27], -v[4:5], v[26:27], v[34:35]
	v_lshlrev_b64 v[32:33], 4, v[45:46]
	global_store_dwordx4 v[55:56], v[28:31], off
	global_store_dwordx4 v[40:41], v[24:27], off
	v_add_co_u32_e32 v32, vcc, s8, v32
	v_addc_co_u32_e32 v33, vcc, v42, v33, vcc
	global_load_dwordx4 v[24:27], v[32:33], off
	v_add_u32_e32 v45, s34, v65
	s_waitcnt vmcnt(0)
	v_fma_f64 v[24:25], -v[4:5], v[20:21], v[24:25]
	v_fma_f64 v[26:27], -v[6:7], v[20:21], v[26:27]
	v_fma_f64 v[20:21], v[6:7], v[22:23], v[24:25]
	v_fma_f64 v[22:23], -v[4:5], v[22:23], v[26:27]
	v_lshlrev_b64 v[24:25], 4, v[45:46]
	v_mov_b32_e32 v26, s9
	v_add_co_u32_e32 v24, vcc, s8, v24
	v_addc_co_u32_e32 v25, vcc, v26, v25, vcc
	v_add_u32_e32 v45, s35, v65
	global_store_dwordx4 v[32:33], v[20:23], off
	global_load_dwordx4 v[20:23], v[24:25], off
	s_waitcnt vmcnt(0)
	v_fma_f64 v[20:21], -v[4:5], v[16:17], v[20:21]
	v_fma_f64 v[22:23], -v[6:7], v[16:17], v[22:23]
	v_fma_f64 v[16:17], v[6:7], v[18:19], v[20:21]
	v_fma_f64 v[18:19], -v[4:5], v[18:19], v[22:23]
	v_lshlrev_b64 v[20:21], 4, v[45:46]
	v_mov_b32_e32 v22, s9
	v_add_co_u32_e32 v20, vcc, s8, v20
	v_addc_co_u32_e32 v21, vcc, v22, v21, vcc
	global_store_dwordx4 v[24:25], v[16:19], off
	global_load_dwordx4 v[16:19], v[20:21], off
	s_waitcnt vmcnt(0)
	v_fma_f64 v[16:17], -v[4:5], v[0:1], v[16:17]
	v_fma_f64 v[18:19], -v[6:7], v[0:1], v[18:19]
	v_fma_f64 v[0:1], v[6:7], v[2:3], v[16:17]
	v_fma_f64 v[2:3], -v[4:5], v[2:3], v[18:19]
	global_store_dwordx4 v[20:21], v[0:3], off
	s_branch .LBB288_3
.LBB288_20:
	s_or_b64 exec, exec, s[18:19]
	s_branch .LBB288_22
.LBB288_21:
	v_mov_b32_e32 v105, 0
.LBB288_22:
	v_subrev_u32_e32 v2, s22, v105
	v_add_u32_e32 v0, v2, v44
	v_ashrrev_i32_e32 v1, 31, v0
	v_lshlrev_b64 v[0:1], 2, v[0:1]
	s_waitcnt lgkmcnt(0)
	v_mov_b32_e32 v3, s17
	v_add_co_u32_e32 v0, vcc, s16, v0
	v_addc_co_u32_e32 v1, vcc, v3, v1, vcc
	s_waitcnt vmcnt(0)
	buffer_wbinvl1_vol
	global_load_dword v0, v[0:1], off
	s_waitcnt vmcnt(0)
	v_mul_lo_u32 v0, v0, s22
	v_sub_u32_e32 v8, v2, v0
	v_cmp_lt_i32_e32 vcc, -1, v8
	s_and_b64 exec, exec, vcc
	s_cbranch_execz .LBB288_29
; %bb.23:
	s_lshl_b32 s4, s24, 3
	s_add_i32 s5, s4, s23
	s_add_i32 s6, s5, s23
	;; [unrolled: 1-line block ×7, first 2 shown]
	s_lshl_b32 s18, s22, 1
	s_mov_b64 s[0:1], 0
	v_mov_b32_e32 v9, s17
	v_mov_b32_e32 v10, s11
	;; [unrolled: 1-line block ×3, first 2 shown]
	s_branch .LBB288_25
.LBB288_24:                             ;   in Loop: Header=BB288_25 Depth=1
	s_or_b64 exec, exec, s[2:3]
	v_sub_u32_e32 v8, v8, v4
	v_cmp_gt_i32_e32 vcc, 0, v8
	s_or_b64 s[0:1], vcc, s[0:1]
	s_andn2_b64 exec, exec, s[0:1]
	s_cbranch_execz .LBB288_29
.LBB288_25:                             ; =>This Inner Loop Header: Depth=1
	v_add_u32_e32 v6, v8, v44
	v_ashrrev_i32_e32 v7, 31, v6
	s_waitcnt vmcnt(0)
	v_lshlrev_b64 v[0:1], 2, v[6:7]
	v_add_co_u32_e32 v0, vcc, s16, v0
	v_addc_co_u32_e32 v1, vcc, v9, v1, vcc
	global_load_dword v4, v[0:1], off
	v_lshlrev_b64 v[0:1], 4, v[6:7]
	v_add_co_u32_e32 v0, vcc, s10, v0
	v_addc_co_u32_e32 v1, vcc, v10, v1, vcc
	global_load_dwordx4 v[0:3], v[0:1], off
	s_waitcnt vmcnt(1)
	v_cmp_ne_u32_e32 vcc, 1, v4
	s_and_saveexec_b64 s[2:3], vcc
	s_xor_b64 s[2:3], exec, s[2:3]
	s_cbranch_execz .LBB288_27
; %bb.26:                               ;   in Loop: Header=BB288_25 Depth=1
	v_add_u32_e32 v7, v103, v8
	v_add_u32_e32 v4, s4, v7
	v_lshlrev_b64 v[11:12], 4, v[4:5]
	v_mov_b32_e32 v4, s9
	v_add_co_u32_e32 v11, vcc, s8, v11
	v_addc_co_u32_e32 v12, vcc, v4, v12, vcc
	v_add_u32_e32 v4, s5, v7
	v_lshlrev_b64 v[19:20], 4, v[4:5]
	v_add_u32_e32 v4, s6, v7
	v_lshlrev_b64 v[23:24], 4, v[4:5]
	;; [unrolled: 2-line block ×8, first 2 shown]
	v_mov_b32_e32 v4, s9
	v_add_co_u32_e32 v49, vcc, s8, v15
	v_addc_co_u32_e32 v50, vcc, v4, v16, vcc
	global_load_dwordx4 v[11:14], v[11:12], off
	v_add_co_u32_e32 v19, vcc, s8, v19
	global_load_dwordx4 v[15:18], v[49:50], off
	v_addc_co_u32_e32 v20, vcc, v4, v20, vcc
	global_load_dwordx4 v[19:22], v[19:20], off
	v_mov_b32_e32 v7, s9
	v_add_co_u32_e32 v35, vcc, s8, v23
	v_addc_co_u32_e32 v36, vcc, v7, v24, vcc
	v_mov_b32_e32 v27, s9
	v_add_co_u32_e32 v37, vcc, s8, v25
	v_addc_co_u32_e32 v38, vcc, v27, v26, vcc
	;; [unrolled: 3-line block ×5, first 2 shown]
	v_add_u32_e32 v4, s5, v6
	v_mov_b32_e32 v54, s9
	v_add_co_u32_e32 v53, vcc, s8, v41
	v_lshlrev_b64 v[55:56], 4, v[4:5]
	v_addc_co_u32_e32 v54, vcc, v54, v42, vcc
	v_mov_b32_e32 v57, s9
	global_load_dwordx4 v[23:26], v[35:36], off
	global_load_dwordx4 v[27:30], v[37:38], off
	;; [unrolled: 1-line block ×3, first 2 shown]
	s_nop 0
	global_load_dwordx4 v[35:38], v[47:48], off
	global_load_dwordx4 v[39:42], v[51:52], off
	s_nop 0
	global_load_dwordx4 v[45:48], v[53:54], off
	v_add_co_u32_e32 v51, vcc, s8, v55
	v_addc_co_u32_e32 v52, vcc, v57, v56, vcc
	v_add_u32_e32 v4, s6, v6
	s_waitcnt vmcnt(7)
	v_fma_f64 v[15:16], -v[0:1], v[11:12], v[15:16]
	v_fma_f64 v[17:18], -v[2:3], v[11:12], v[17:18]
	v_fma_f64 v[15:16], v[2:3], v[13:14], v[15:16]
	v_fma_f64 v[17:18], -v[0:1], v[13:14], v[17:18]
	global_store_dwordx4 v[49:50], v[15:18], off
	global_load_dwordx4 v[15:18], v[51:52], off
	v_lshlrev_b64 v[49:50], 4, v[4:5]
	v_add_u32_e32 v4, s7, v6
	v_add_co_u32_e32 v49, vcc, s8, v49
	v_addc_co_u32_e32 v50, vcc, v7, v50, vcc
	s_waitcnt vmcnt(0)
	v_fma_f64 v[15:16], -v[0:1], v[19:20], v[15:16]
	v_fma_f64 v[17:18], -v[2:3], v[19:20], v[17:18]
	v_fma_f64 v[15:16], v[2:3], v[21:22], v[15:16]
	v_fma_f64 v[17:18], -v[0:1], v[21:22], v[17:18]
	global_store_dwordx4 v[51:52], v[15:18], off
	global_load_dwordx4 v[15:18], v[49:50], off
	v_lshlrev_b64 v[51:52], 4, v[4:5]
	v_add_u32_e32 v4, s12, v6
	v_add_co_u32_e32 v51, vcc, s8, v51
	v_addc_co_u32_e32 v52, vcc, v7, v52, vcc
	;; [unrolled: 11-line block ×5, first 2 shown]
	v_lshlrev_b64 v[6:7], 4, v[4:5]
	v_subrev_u32_e32 v4, s22, v8
	v_add_co_u32_e32 v6, vcc, s8, v6
	v_addc_co_u32_e32 v7, vcc, v43, v7, vcc
	v_mov_b32_e32 v43, s11
	s_waitcnt vmcnt(0)
	v_fma_f64 v[15:16], -v[0:1], v[35:36], v[15:16]
	v_fma_f64 v[17:18], -v[2:3], v[35:36], v[17:18]
	v_fma_f64 v[15:16], v[2:3], v[37:38], v[15:16]
	v_fma_f64 v[17:18], -v[0:1], v[37:38], v[17:18]
	global_store_dwordx4 v[51:52], v[15:18], off
	global_load_dwordx4 v[15:18], v[49:50], off
	v_mov_b32_e32 v52, s9
	s_waitcnt vmcnt(0)
	v_fma_f64 v[15:16], -v[0:1], v[39:40], v[15:16]
	v_fma_f64 v[17:18], -v[2:3], v[39:40], v[17:18]
	v_fma_f64 v[15:16], v[2:3], v[41:42], v[15:16]
	v_fma_f64 v[17:18], -v[0:1], v[41:42], v[17:18]
	global_store_dwordx4 v[49:50], v[15:18], off
	global_load_dwordx4 v[15:18], v[6:7], off
	v_add_u32_e32 v49, v4, v44
	v_ashrrev_i32_e32 v50, 31, v49
	v_lshlrev_b64 v[50:51], 4, v[49:50]
	v_add_u32_e32 v4, s4, v49
	v_add_co_u32_e32 v50, vcc, s10, v50
	v_addc_co_u32_e32 v51, vcc, v43, v51, vcc
	s_waitcnt vmcnt(0)
	v_fma_f64 v[15:16], -v[0:1], v[45:46], v[15:16]
	v_fma_f64 v[17:18], -v[2:3], v[45:46], v[17:18]
	v_fma_f64 v[15:16], v[2:3], v[47:48], v[15:16]
	v_fma_f64 v[17:18], -v[0:1], v[47:48], v[17:18]
	global_load_dwordx4 v[0:3], v[50:51], off
	v_lshlrev_b64 v[50:51], 4, v[4:5]
	v_add_u32_e32 v4, s5, v49
	v_add_co_u32_e32 v50, vcc, s8, v50
	v_addc_co_u32_e32 v51, vcc, v52, v51, vcc
	global_store_dwordx4 v[6:7], v[15:18], off
	global_load_dwordx4 v[15:18], v[50:51], off
	s_waitcnt vmcnt(0)
	v_fma_f64 v[6:7], -v[0:1], v[11:12], v[15:16]
	v_fma_f64 v[15:16], -v[2:3], v[11:12], v[17:18]
	v_mov_b32_e32 v17, s9
	v_fma_f64 v[11:12], v[2:3], v[13:14], v[6:7]
	v_fma_f64 v[13:14], -v[0:1], v[13:14], v[15:16]
	v_lshlrev_b64 v[6:7], 4, v[4:5]
	v_mov_b32_e32 v15, s9
	v_add_co_u32_e32 v6, vcc, s8, v6
	v_addc_co_u32_e32 v7, vcc, v15, v7, vcc
	v_add_u32_e32 v4, s6, v49
	global_store_dwordx4 v[50:51], v[11:14], off
	global_load_dwordx4 v[11:14], v[6:7], off
	v_lshlrev_b64 v[15:16], 4, v[4:5]
	v_add_u32_e32 v4, s7, v49
	v_add_co_u32_e32 v15, vcc, s8, v15
	v_addc_co_u32_e32 v16, vcc, v17, v16, vcc
	s_waitcnt vmcnt(0)
	v_fma_f64 v[11:12], -v[0:1], v[19:20], v[11:12]
	v_fma_f64 v[13:14], -v[2:3], v[19:20], v[13:14]
	v_fma_f64 v[11:12], v[2:3], v[21:22], v[11:12]
	v_fma_f64 v[13:14], -v[0:1], v[21:22], v[13:14]
	global_store_dwordx4 v[6:7], v[11:14], off
	global_load_dwordx4 v[11:14], v[15:16], off
	s_waitcnt vmcnt(0)
	v_fma_f64 v[6:7], -v[0:1], v[23:24], v[11:12]
	v_fma_f64 v[13:14], -v[2:3], v[23:24], v[13:14]
	v_fma_f64 v[11:12], v[2:3], v[25:26], v[6:7]
	v_fma_f64 v[13:14], -v[0:1], v[25:26], v[13:14]
	v_lshlrev_b64 v[6:7], 4, v[4:5]
	v_add_u32_e32 v4, s12, v49
	v_add_co_u32_e32 v6, vcc, s8, v6
	v_addc_co_u32_e32 v7, vcc, v17, v7, vcc
	global_store_dwordx4 v[15:16], v[11:14], off
	global_load_dwordx4 v[11:14], v[6:7], off
	v_lshlrev_b64 v[15:16], 4, v[4:5]
	v_add_u32_e32 v4, s13, v49
	v_add_co_u32_e32 v15, vcc, s8, v15
	v_addc_co_u32_e32 v16, vcc, v17, v16, vcc
	s_waitcnt vmcnt(0)
	v_fma_f64 v[11:12], -v[0:1], v[27:28], v[11:12]
	v_fma_f64 v[13:14], -v[2:3], v[27:28], v[13:14]
	v_fma_f64 v[11:12], v[2:3], v[29:30], v[11:12]
	v_fma_f64 v[13:14], -v[0:1], v[29:30], v[13:14]
	global_store_dwordx4 v[6:7], v[11:14], off
	global_load_dwordx4 v[11:14], v[15:16], off
	s_waitcnt vmcnt(0)
	v_fma_f64 v[6:7], -v[0:1], v[31:32], v[11:12]
	v_fma_f64 v[13:14], -v[2:3], v[31:32], v[13:14]
	v_fma_f64 v[11:12], v[2:3], v[33:34], v[6:7]
	v_fma_f64 v[13:14], -v[0:1], v[33:34], v[13:14]
	v_lshlrev_b64 v[6:7], 4, v[4:5]
	v_add_u32_e32 v4, s14, v49
	v_add_co_u32_e32 v6, vcc, s8, v6
	v_addc_co_u32_e32 v7, vcc, v17, v7, vcc
	global_store_dwordx4 v[15:16], v[11:14], off
	global_load_dwordx4 v[11:14], v[6:7], off
	v_lshlrev_b64 v[15:16], 4, v[4:5]
	v_add_u32_e32 v4, s15, v49
	v_add_co_u32_e32 v15, vcc, s8, v15
	v_addc_co_u32_e32 v16, vcc, v17, v16, vcc
	s_waitcnt vmcnt(0)
	v_fma_f64 v[11:12], -v[0:1], v[35:36], v[11:12]
	v_fma_f64 v[13:14], -v[2:3], v[35:36], v[13:14]
	v_fma_f64 v[11:12], v[2:3], v[37:38], v[11:12]
	v_fma_f64 v[13:14], -v[0:1], v[37:38], v[13:14]
	global_store_dwordx4 v[6:7], v[11:14], off
	global_load_dwordx4 v[11:14], v[15:16], off
	s_waitcnt vmcnt(0)
	v_fma_f64 v[6:7], -v[0:1], v[39:40], v[11:12]
	v_fma_f64 v[13:14], -v[2:3], v[39:40], v[13:14]
	v_fma_f64 v[11:12], v[2:3], v[41:42], v[6:7]
	v_fma_f64 v[13:14], -v[0:1], v[41:42], v[13:14]
	v_lshlrev_b64 v[6:7], 4, v[4:5]
	v_add_co_u32_e32 v6, vcc, s8, v6
	v_addc_co_u32_e32 v7, vcc, v17, v7, vcc
	global_store_dwordx4 v[15:16], v[11:14], off
	global_load_dwordx4 v[11:14], v[6:7], off
	s_waitcnt vmcnt(0)
	v_fma_f64 v[11:12], -v[0:1], v[45:46], v[11:12]
	v_fma_f64 v[13:14], -v[2:3], v[45:46], v[13:14]
	v_fma_f64 v[11:12], v[2:3], v[47:48], v[11:12]
	v_fma_f64 v[13:14], -v[0:1], v[47:48], v[13:14]
                                        ; implicit-def: $vgpr0_vgpr1
	global_store_dwordx4 v[6:7], v[11:14], off
                                        ; implicit-def: $vgpr6
.LBB288_27:                             ;   in Loop: Header=BB288_25 Depth=1
	s_or_saveexec_b64 s[2:3], s[2:3]
	v_mov_b32_e32 v4, s18
	s_xor_b64 exec, exec, s[2:3]
	s_cbranch_execz .LBB288_24
; %bb.28:                               ;   in Loop: Header=BB288_25 Depth=1
	v_add_u32_e32 v7, v103, v8
	v_add_u32_e32 v4, s4, v7
	v_lshlrev_b64 v[11:12], 4, v[4:5]
	v_mov_b32_e32 v4, s9
	v_add_co_u32_e32 v19, vcc, s8, v11
	v_addc_co_u32_e32 v20, vcc, v4, v12, vcc
	v_add_u32_e32 v4, s4, v6
	v_lshlrev_b64 v[11:12], 4, v[4:5]
	v_mov_b32_e32 v4, s9
	v_add_co_u32_e32 v21, vcc, s8, v11
	v_addc_co_u32_e32 v22, vcc, v4, v12, vcc
	global_load_dwordx4 v[11:14], v[19:20], off
	global_load_dwordx4 v[15:18], v[21:22], off
	v_add_u32_e32 v4, s5, v7
	v_lshlrev_b64 v[19:20], 4, v[4:5]
	v_add_u32_e32 v4, s5, v6
	v_mov_b32_e32 v25, s9
	v_lshlrev_b64 v[23:24], 4, v[4:5]
	v_add_co_u32_e32 v19, vcc, s8, v19
	v_addc_co_u32_e32 v20, vcc, v25, v20, vcc
	v_mov_b32_e32 v26, s9
	v_add_co_u32_e32 v23, vcc, s8, v23
	v_addc_co_u32_e32 v24, vcc, v26, v24, vcc
	v_add_u32_e32 v4, s6, v7
	s_waitcnt vmcnt(0)
	v_fma_f64 v[15:16], -v[0:1], v[11:12], v[15:16]
	v_fma_f64 v[17:18], -v[2:3], v[11:12], v[17:18]
	v_fma_f64 v[11:12], v[2:3], v[13:14], v[15:16]
	v_fma_f64 v[13:14], -v[0:1], v[13:14], v[17:18]
	global_store_dwordx4 v[21:22], v[11:14], off
	global_load_dwordx4 v[11:14], v[19:20], off
	s_nop 0
	global_load_dwordx4 v[15:18], v[23:24], off
	v_lshlrev_b64 v[19:20], 4, v[4:5]
	v_add_u32_e32 v4, s6, v6
	v_lshlrev_b64 v[21:22], 4, v[4:5]
	v_add_co_u32_e32 v19, vcc, s8, v19
	v_addc_co_u32_e32 v20, vcc, v25, v20, vcc
	v_add_co_u32_e32 v21, vcc, s8, v21
	v_addc_co_u32_e32 v22, vcc, v26, v22, vcc
	v_add_u32_e32 v4, s7, v7
	s_waitcnt vmcnt(0)
	v_fma_f64 v[15:16], -v[0:1], v[11:12], v[15:16]
	v_fma_f64 v[17:18], -v[2:3], v[11:12], v[17:18]
	v_fma_f64 v[11:12], v[2:3], v[13:14], v[15:16]
	v_fma_f64 v[13:14], -v[0:1], v[13:14], v[17:18]
	global_store_dwordx4 v[23:24], v[11:14], off
	global_load_dwordx4 v[11:14], v[19:20], off
	s_nop 0
	global_load_dwordx4 v[15:18], v[21:22], off
	v_lshlrev_b64 v[19:20], 4, v[4:5]
	v_add_u32_e32 v4, s7, v6
	v_lshlrev_b64 v[23:24], 4, v[4:5]
	v_add_co_u32_e32 v19, vcc, s8, v19
	v_addc_co_u32_e32 v20, vcc, v25, v20, vcc
	;; [unrolled: 17-line block ×5, first 2 shown]
	v_add_co_u32_e32 v21, vcc, s8, v21
	v_addc_co_u32_e32 v22, vcc, v26, v22, vcc
	v_add_u32_e32 v4, s15, v7
	s_waitcnt vmcnt(0)
	v_fma_f64 v[15:16], -v[0:1], v[11:12], v[15:16]
	v_fma_f64 v[17:18], -v[2:3], v[11:12], v[17:18]
	v_fma_f64 v[11:12], v[2:3], v[13:14], v[15:16]
	v_fma_f64 v[13:14], -v[0:1], v[13:14], v[17:18]
	global_store_dwordx4 v[23:24], v[11:14], off
	global_load_dwordx4 v[11:14], v[19:20], off
	s_nop 0
	global_load_dwordx4 v[15:18], v[21:22], off
	v_lshlrev_b64 v[19:20], 4, v[4:5]
	v_add_u32_e32 v4, s15, v6
	v_mov_b32_e32 v23, s9
	v_lshlrev_b64 v[6:7], 4, v[4:5]
	v_add_co_u32_e32 v19, vcc, s8, v19
	v_addc_co_u32_e32 v20, vcc, v23, v20, vcc
	v_mov_b32_e32 v24, s9
	v_add_co_u32_e32 v6, vcc, s8, v6
	v_addc_co_u32_e32 v7, vcc, v24, v7, vcc
	v_mov_b32_e32 v4, s22
	s_waitcnt vmcnt(0)
	v_fma_f64 v[15:16], -v[0:1], v[11:12], v[15:16]
	v_fma_f64 v[17:18], -v[2:3], v[11:12], v[17:18]
	v_fma_f64 v[11:12], v[2:3], v[13:14], v[15:16]
	v_fma_f64 v[13:14], -v[0:1], v[13:14], v[17:18]
	global_store_dwordx4 v[21:22], v[11:14], off
	global_load_dwordx4 v[11:14], v[19:20], off
	s_nop 0
	global_load_dwordx4 v[15:18], v[6:7], off
	s_waitcnt vmcnt(0)
	v_fma_f64 v[15:16], -v[0:1], v[11:12], v[15:16]
	v_fma_f64 v[17:18], -v[2:3], v[11:12], v[17:18]
	v_fma_f64 v[11:12], v[2:3], v[13:14], v[15:16]
	v_fma_f64 v[13:14], -v[0:1], v[13:14], v[17:18]
	global_store_dwordx4 v[6:7], v[11:14], off
	s_branch .LBB288_24
.LBB288_29:
	s_endpgm
	.section	.rodata,"a",@progbits
	.p2align	6, 0x0
	.amdhsa_kernel _ZN9rocsparseL19gtsv_LBM_rhs_kernelILj256ELj4ELj8E21rocsparse_complex_numIdEEEviiiPKT2_S5_S5_PS3_S5_PKi
		.amdhsa_group_segment_fixed_size 0
		.amdhsa_private_segment_fixed_size 0
		.amdhsa_kernarg_size 64
		.amdhsa_user_sgpr_count 6
		.amdhsa_user_sgpr_private_segment_buffer 1
		.amdhsa_user_sgpr_dispatch_ptr 0
		.amdhsa_user_sgpr_queue_ptr 0
		.amdhsa_user_sgpr_kernarg_segment_ptr 1
		.amdhsa_user_sgpr_dispatch_id 0
		.amdhsa_user_sgpr_flat_scratch_init 0
		.amdhsa_user_sgpr_private_segment_size 0
		.amdhsa_uses_dynamic_stack 0
		.amdhsa_system_sgpr_private_segment_wavefront_offset 0
		.amdhsa_system_sgpr_workgroup_id_x 1
		.amdhsa_system_sgpr_workgroup_id_y 1
		.amdhsa_system_sgpr_workgroup_id_z 0
		.amdhsa_system_sgpr_workgroup_info 0
		.amdhsa_system_vgpr_workitem_id 0
		.amdhsa_next_free_vgpr 161
		.amdhsa_next_free_sgpr 36
		.amdhsa_reserve_vcc 1
		.amdhsa_reserve_flat_scratch 0
		.amdhsa_float_round_mode_32 0
		.amdhsa_float_round_mode_16_64 0
		.amdhsa_float_denorm_mode_32 3
		.amdhsa_float_denorm_mode_16_64 3
		.amdhsa_dx10_clamp 1
		.amdhsa_ieee_mode 1
		.amdhsa_fp16_overflow 0
		.amdhsa_exception_fp_ieee_invalid_op 0
		.amdhsa_exception_fp_denorm_src 0
		.amdhsa_exception_fp_ieee_div_zero 0
		.amdhsa_exception_fp_ieee_overflow 0
		.amdhsa_exception_fp_ieee_underflow 0
		.amdhsa_exception_fp_ieee_inexact 0
		.amdhsa_exception_int_div_zero 0
	.end_amdhsa_kernel
	.section	.text._ZN9rocsparseL19gtsv_LBM_rhs_kernelILj256ELj4ELj8E21rocsparse_complex_numIdEEEviiiPKT2_S5_S5_PS3_S5_PKi,"axG",@progbits,_ZN9rocsparseL19gtsv_LBM_rhs_kernelILj256ELj4ELj8E21rocsparse_complex_numIdEEEviiiPKT2_S5_S5_PS3_S5_PKi,comdat
.Lfunc_end288:
	.size	_ZN9rocsparseL19gtsv_LBM_rhs_kernelILj256ELj4ELj8E21rocsparse_complex_numIdEEEviiiPKT2_S5_S5_PS3_S5_PKi, .Lfunc_end288-_ZN9rocsparseL19gtsv_LBM_rhs_kernelILj256ELj4ELj8E21rocsparse_complex_numIdEEEviiiPKT2_S5_S5_PS3_S5_PKi
                                        ; -- End function
	.set _ZN9rocsparseL19gtsv_LBM_rhs_kernelILj256ELj4ELj8E21rocsparse_complex_numIdEEEviiiPKT2_S5_S5_PS3_S5_PKi.num_vgpr, 161
	.set _ZN9rocsparseL19gtsv_LBM_rhs_kernelILj256ELj4ELj8E21rocsparse_complex_numIdEEEviiiPKT2_S5_S5_PS3_S5_PKi.num_agpr, 0
	.set _ZN9rocsparseL19gtsv_LBM_rhs_kernelILj256ELj4ELj8E21rocsparse_complex_numIdEEEviiiPKT2_S5_S5_PS3_S5_PKi.numbered_sgpr, 36
	.set _ZN9rocsparseL19gtsv_LBM_rhs_kernelILj256ELj4ELj8E21rocsparse_complex_numIdEEEviiiPKT2_S5_S5_PS3_S5_PKi.num_named_barrier, 0
	.set _ZN9rocsparseL19gtsv_LBM_rhs_kernelILj256ELj4ELj8E21rocsparse_complex_numIdEEEviiiPKT2_S5_S5_PS3_S5_PKi.private_seg_size, 0
	.set _ZN9rocsparseL19gtsv_LBM_rhs_kernelILj256ELj4ELj8E21rocsparse_complex_numIdEEEviiiPKT2_S5_S5_PS3_S5_PKi.uses_vcc, 1
	.set _ZN9rocsparseL19gtsv_LBM_rhs_kernelILj256ELj4ELj8E21rocsparse_complex_numIdEEEviiiPKT2_S5_S5_PS3_S5_PKi.uses_flat_scratch, 0
	.set _ZN9rocsparseL19gtsv_LBM_rhs_kernelILj256ELj4ELj8E21rocsparse_complex_numIdEEEviiiPKT2_S5_S5_PS3_S5_PKi.has_dyn_sized_stack, 0
	.set _ZN9rocsparseL19gtsv_LBM_rhs_kernelILj256ELj4ELj8E21rocsparse_complex_numIdEEEviiiPKT2_S5_S5_PS3_S5_PKi.has_recursion, 0
	.set _ZN9rocsparseL19gtsv_LBM_rhs_kernelILj256ELj4ELj8E21rocsparse_complex_numIdEEEviiiPKT2_S5_S5_PS3_S5_PKi.has_indirect_call, 0
	.section	.AMDGPU.csdata,"",@progbits
; Kernel info:
; codeLenInByte = 8764
; TotalNumSgprs: 40
; NumVgprs: 161
; ScratchSize: 0
; MemoryBound: 1
; FloatMode: 240
; IeeeMode: 1
; LDSByteSize: 0 bytes/workgroup (compile time only)
; SGPRBlocks: 4
; VGPRBlocks: 40
; NumSGPRsForWavesPerEU: 40
; NumVGPRsForWavesPerEU: 161
; Occupancy: 1
; WaveLimiterHint : 0
; COMPUTE_PGM_RSRC2:SCRATCH_EN: 0
; COMPUTE_PGM_RSRC2:USER_SGPR: 6
; COMPUTE_PGM_RSRC2:TRAP_HANDLER: 0
; COMPUTE_PGM_RSRC2:TGID_X_EN: 1
; COMPUTE_PGM_RSRC2:TGID_Y_EN: 1
; COMPUTE_PGM_RSRC2:TGID_Z_EN: 0
; COMPUTE_PGM_RSRC2:TIDIG_COMP_CNT: 0
	.section	.text._ZN9rocsparseL19gtsv_LBM_rhs_kernelILj256ELj4ELj4E21rocsparse_complex_numIdEEEviiiPKT2_S5_S5_PS3_S5_PKi,"axG",@progbits,_ZN9rocsparseL19gtsv_LBM_rhs_kernelILj256ELj4ELj4E21rocsparse_complex_numIdEEEviiiPKT2_S5_S5_PS3_S5_PKi,comdat
	.globl	_ZN9rocsparseL19gtsv_LBM_rhs_kernelILj256ELj4ELj4E21rocsparse_complex_numIdEEEviiiPKT2_S5_S5_PS3_S5_PKi ; -- Begin function _ZN9rocsparseL19gtsv_LBM_rhs_kernelILj256ELj4ELj4E21rocsparse_complex_numIdEEEviiiPKT2_S5_S5_PS3_S5_PKi
	.p2align	8
	.type	_ZN9rocsparseL19gtsv_LBM_rhs_kernelILj256ELj4ELj4E21rocsparse_complex_numIdEEEviiiPKT2_S5_S5_PS3_S5_PKi,@function
_ZN9rocsparseL19gtsv_LBM_rhs_kernelILj256ELj4ELj4E21rocsparse_complex_numIdEEEviiiPKT2_S5_S5_PS3_S5_PKi: ; @_ZN9rocsparseL19gtsv_LBM_rhs_kernelILj256ELj4ELj4E21rocsparse_complex_numIdEEEviiiPKT2_S5_S5_PS3_S5_PKi
; %bb.0:
	s_load_dword s23, s[4:5], 0x0
	v_lshl_or_b32 v28, s6, 8, v0
	s_waitcnt lgkmcnt(0)
	s_lshr_b32 s22, s23, 2
	v_cmp_gt_i32_e32 vcc, s22, v28
	s_and_saveexec_b64 s[0:1], vcc
	s_cbranch_execz .LBB289_29
; %bb.1:
	s_load_dwordx4 s[8:11], s[4:5], 0x28
	s_load_dwordx2 s[16:17], s[4:5], 0x38
	s_cmp_lt_i32 s23, 1
	v_add_u32_e32 v65, s22, v28
	s_mul_i32 s24, s7, s23
	s_cbranch_scc1 .LBB289_21
; %bb.2:
	s_load_dwordx4 s[12:15], s[4:5], 0x10
	s_load_dwordx2 s[6:7], s[4:5], 0x20
	v_ashrrev_i32_e32 v29, 31, v28
	v_lshlrev_b64 v[0:1], 4, v[28:29]
	s_lshl_b32 s27, s24, 2
	s_waitcnt lgkmcnt(0)
	v_mov_b32_e32 v2, s15
	v_add_co_u32_e32 v0, vcc, s14, v0
	v_addc_co_u32_e32 v1, vcc, v2, v1, vcc
	global_load_dwordx4 v[0:3], v[0:1], off
	s_add_i32 s28, s27, s23
	s_add_i32 s29, s28, s23
	s_mul_i32 s25, s22, 3
	s_lshl_b32 s26, s22, 1
	v_add_u32_e32 v67, s22, v65
	s_add_i32 s30, s29, s23
	v_mov_b32_e32 v30, 0
	s_mov_b64 s[18:19], 0
	v_mov_b32_e32 v68, s7
	v_mov_b32_e32 v66, 0
	s_branch .LBB289_5
.LBB289_3:                              ;   in Loop: Header=BB289_5 Depth=1
	s_or_b64 exec, exec, s[4:5]
	v_fma_f64 v[0:1], v[6:7], v[8:9], v[33:34]
	v_fma_f64 v[2:3], v[4:5], v[8:9], v[31:32]
	v_mov_b32_e32 v10, s22
	v_mul_f64 v[4:5], v[35:36], -v[0:1]
	v_mul_f64 v[6:7], v[35:36], v[2:3]
	v_fma_f64 v[2:3], v[2:3], v[14:15], v[4:5]
	v_fma_f64 v[4:5], v[0:1], v[14:15], v[6:7]
	v_add_f64 v[0:1], v[16:17], -v[2:3]
	v_add_f64 v[2:3], v[18:19], -v[4:5]
.LBB289_4:                              ;   in Loop: Header=BB289_5 Depth=1
	s_or_b64 exec, exec, s[2:3]
	v_add_u32_e32 v66, v10, v66
	v_cmp_le_i32_e32 vcc, s23, v66
	s_or_b64 s[18:19], vcc, s[18:19]
	s_andn2_b64 exec, exec, s[18:19]
	s_cbranch_execz .LBB289_20
.LBB289_5:                              ; =>This Inner Loop Header: Depth=1
	v_add_u32_e32 v25, v66, v28
	v_ashrrev_i32_e32 v26, 31, v25
	v_lshlrev_b64 v[4:5], 4, v[25:26]
	v_mov_b32_e32 v16, 0
	v_add_co_u32_e32 v4, vcc, s6, v4
	v_addc_co_u32_e32 v5, vcc, v68, v5, vcc
	global_load_dwordx4 v[8:11], v[4:5], off
	v_mov_b32_e32 v4, 0
	v_mov_b32_e32 v6, 0
	;; [unrolled: 1-line block ×5, first 2 shown]
	v_cmp_gt_u32_e64 s[0:1], s25, v66
	s_and_saveexec_b64 s[2:3], s[0:1]
	s_cbranch_execz .LBB289_7
; %bb.6:                                ;   in Loop: Header=BB289_5 Depth=1
	v_add_u32_e32 v4, v65, v66
	v_ashrrev_i32_e32 v5, 31, v4
	v_lshlrev_b64 v[4:5], 4, v[4:5]
	v_mov_b32_e32 v6, s13
	v_add_co_u32_e32 v4, vcc, s12, v4
	v_addc_co_u32_e32 v5, vcc, v6, v5, vcc
	global_load_dwordx4 v[4:7], v[4:5], off
.LBB289_7:                              ;   in Loop: Header=BB289_5 Depth=1
	s_or_b64 exec, exec, s[2:3]
	v_mov_b32_e32 v18, 0
	v_mov_b32_e32 v19, 0
	s_and_saveexec_b64 s[2:3], s[0:1]
	s_cbranch_execz .LBB289_9
; %bb.8:                                ;   in Loop: Header=BB289_5 Depth=1
	v_add_u32_e32 v12, v65, v66
	v_ashrrev_i32_e32 v13, 31, v12
	v_lshlrev_b64 v[12:13], 4, v[12:13]
	v_mov_b32_e32 v14, s15
	v_add_co_u32_e32 v12, vcc, s14, v12
	v_addc_co_u32_e32 v13, vcc, v14, v13, vcc
	global_load_dwordx4 v[16:19], v[12:13], off
.LBB289_9:                              ;   in Loop: Header=BB289_5 Depth=1
	s_or_b64 exec, exec, s[2:3]
	v_mov_b32_e32 v20, 0
	v_mov_b32_e32 v12, 0
	;; [unrolled: 1-line block ×6, first 2 shown]
	s_and_saveexec_b64 s[2:3], s[0:1]
	s_cbranch_execz .LBB289_11
; %bb.10:                               ;   in Loop: Header=BB289_5 Depth=1
	v_add_u32_e32 v12, v65, v66
	v_ashrrev_i32_e32 v13, 31, v12
	v_lshlrev_b64 v[12:13], 4, v[12:13]
	v_mov_b32_e32 v14, s7
	v_add_co_u32_e32 v12, vcc, s6, v12
	v_addc_co_u32_e32 v13, vcc, v14, v13, vcc
	global_load_dwordx4 v[12:15], v[12:13], off
.LBB289_11:                             ;   in Loop: Header=BB289_5 Depth=1
	s_or_b64 exec, exec, s[2:3]
	v_mov_b32_e32 v22, 0
	v_mov_b32_e32 v23, 0
	v_cmp_gt_u32_e64 s[2:3], s26, v66
	s_and_saveexec_b64 s[4:5], s[2:3]
	s_cbranch_execz .LBB289_13
; %bb.12:                               ;   in Loop: Header=BB289_5 Depth=1
	v_add_u32_e32 v20, v67, v66
	v_ashrrev_i32_e32 v21, 31, v20
	v_lshlrev_b64 v[20:21], 4, v[20:21]
	v_mov_b32_e32 v22, s13
	v_add_co_u32_e32 v20, vcc, s12, v20
	v_addc_co_u32_e32 v21, vcc, v22, v21, vcc
	global_load_dwordx4 v[20:23], v[20:21], off
.LBB289_13:                             ;   in Loop: Header=BB289_5 Depth=1
	s_or_b64 exec, exec, s[4:5]
	v_lshlrev_b64 v[26:27], 2, v[25:26]
	v_mov_b32_e32 v24, s17
	v_add_co_u32_e32 v26, vcc, s16, v26
	v_addc_co_u32_e32 v27, vcc, v24, v27, vcc
	global_load_dword v26, v[26:27], off
	s_waitcnt vmcnt(1)
	v_mul_f64 v[31:32], v[10:11], -v[6:7]
	v_mul_f64 v[33:34], v[10:11], v[4:5]
	v_cmp_ne_u32_e32 vcc, s25, v66
	v_add_u32_e32 v29, s27, v25
	v_add_u32_e32 v24, s28, v25
	;; [unrolled: 1-line block ×4, first 2 shown]
	s_waitcnt vmcnt(0)
	v_cmp_ne_u32_e64 s[4:5], 1, v26
	s_and_b64 s[4:5], vcc, s[4:5]
	s_and_saveexec_b64 s[20:21], s[4:5]
	s_xor_b64 s[20:21], exec, s[20:21]
	s_cbranch_execz .LBB289_17
; %bb.14:                               ;   in Loop: Header=BB289_5 Depth=1
	v_mul_f64 v[25:26], v[0:1], v[18:19]
	v_mul_f64 v[38:39], v[18:19], -v[2:3]
	v_fma_f64 v[33:34], v[6:7], v[8:9], v[33:34]
	v_fma_f64 v[31:32], v[4:5], v[8:9], v[31:32]
	v_add_u32_e32 v71, v65, v66
	v_mov_b32_e32 v36, s9
	v_mov_b32_e32 v63, s9
	;; [unrolled: 1-line block ×3, first 2 shown]
	v_fma_f64 v[25:26], v[2:3], v[16:17], v[25:26]
	v_fma_f64 v[38:39], v[0:1], v[16:17], v[38:39]
	v_mov_b32_e32 v75, s9
	v_mov_b32_e32 v76, s9
	v_add_f64 v[26:27], v[25:26], -v[33:34]
	v_add_f64 v[33:34], v[38:39], -v[31:32]
	v_mov_b32_e32 v25, s9
	v_mul_f64 v[31:32], v[26:27], v[26:27]
	v_fma_f64 v[59:60], v[33:34], 0, -v[26:27]
	v_fma_f64 v[26:27], v[26:27], 0, v[33:34]
	v_fma_f64 v[38:39], v[33:34], v[33:34], v[31:32]
	v_lshlrev_b64 v[31:32], 4, v[29:30]
	v_add_u32_e32 v29, s27, v71
	v_add_co_u32_e32 v57, vcc, s8, v31
	v_lshlrev_b64 v[45:46], 4, v[29:30]
	v_addc_co_u32_e32 v58, vcc, v25, v32, vcc
	v_div_scale_f64 v[49:50], s[4:5], v[38:39], v[38:39], 1.0
	v_add_co_u32_e32 v31, vcc, s8, v45
	v_addc_co_u32_e32 v32, vcc, v36, v46, vcc
	global_load_dwordx4 v[41:44], v[57:58], off
	global_load_dwordx4 v[45:48], v[31:32], off
	v_mov_b32_e32 v25, v30
	v_lshlrev_b64 v[24:25], 4, v[24:25]
	v_mov_b32_e32 v29, s9
	v_add_co_u32_e64 v81, s[4:5], s8, v24
	v_addc_co_u32_e64 v82, s[4:5], v29, v25, s[4:5]
	v_add_u32_e32 v29, s28, v71
	v_rcp_f64_e32 v[51:52], v[49:50]
	v_fma_f64 v[53:54], -v[49:50], v[51:52], 1.0
	v_fma_f64 v[51:52], v[51:52], v[53:54], v[51:52]
	v_div_scale_f64 v[53:54], vcc, 1.0, v[38:39], 1.0
	v_fma_f64 v[55:56], -v[49:50], v[51:52], 1.0
	v_fma_f64 v[51:52], v[51:52], v[55:56], v[51:52]
	v_mul_f64 v[55:56], v[53:54], v[51:52]
	v_fma_f64 v[49:50], -v[49:50], v[55:56], v[53:54]
	v_lshlrev_b64 v[53:54], 4, v[29:30]
	v_add_u32_e32 v29, s29, v71
	v_div_fmas_f64 v[24:25], v[49:50], v[51:52], v[55:56]
	global_load_dwordx4 v[49:52], v[81:82], off
	v_add_co_u32_e32 v83, vcc, s8, v53
	v_addc_co_u32_e32 v84, vcc, v36, v54, vcc
	global_load_dwordx4 v[53:56], v[83:84], off
	v_mov_b32_e32 v36, v30
	v_div_fixup_f64 v[39:40], v[24:25], v[38:39], 1.0
	v_mov_b32_e32 v38, v30
	v_mul_f64 v[24:25], v[59:60], v[39:40]
	v_mul_f64 v[26:27], v[26:27], v[39:40]
	s_waitcnt vmcnt(3)
	v_mul_f64 v[33:34], v[24:25], v[41:42]
	s_waitcnt vmcnt(2)
	v_mul_f64 v[39:40], v[24:25], v[45:46]
	v_mul_f64 v[59:60], v[24:25], -v[43:44]
	v_mul_f64 v[61:62], v[24:25], -v[47:48]
	v_fma_f64 v[33:34], v[43:44], v[26:27], v[33:34]
	v_fma_f64 v[39:40], v[47:48], v[26:27], v[39:40]
	v_lshlrev_b64 v[43:44], 4, v[37:38]
	v_lshlrev_b64 v[47:48], 4, v[35:36]
	v_fma_f64 v[37:38], v[41:42], v[26:27], v[59:60]
	v_fma_f64 v[35:36], v[45:46], v[26:27], v[61:62]
	v_add_co_u32_e32 v85, vcc, s8, v43
	v_mul_f64 v[45:46], v[16:17], v[33:34]
	v_mul_f64 v[59:60], v[39:40], -v[10:11]
	v_mul_f64 v[61:62], v[8:9], v[39:40]
	v_mul_f64 v[41:42], v[33:34], -v[18:19]
	v_add_co_u32_e64 v87, s[4:5], s8, v47
	v_addc_co_u32_e32 v86, vcc, v63, v44, vcc
	v_fma_f64 v[69:70], v[18:19], v[37:38], v[45:46]
	v_fma_f64 v[45:46], v[8:9], v[35:36], v[59:60]
	;; [unrolled: 1-line block ×3, first 2 shown]
	v_addc_co_u32_e64 v88, vcc, v72, v48, s[4:5]
	v_fma_f64 v[63:64], v[16:17], v[37:38], v[41:42]
	v_lshlrev_b64 v[61:62], 4, v[29:30]
	v_add_u32_e32 v29, s30, v71
	global_load_dwordx4 v[41:44], v[85:86], off
	v_lshlrev_b64 v[73:74], 4, v[29:30]
	v_add_f64 v[47:48], v[69:70], -v[59:60]
	global_load_dwordx4 v[69:72], v[87:88], off
	v_add_co_u32_e32 v89, vcc, s8, v61
	v_addc_co_u32_e32 v90, vcc, v75, v62, vcc
	v_add_f64 v[45:46], v[63:64], -v[45:46]
	v_add_co_u32_e32 v91, vcc, s8, v73
	v_addc_co_u32_e32 v92, vcc, v76, v74, vcc
	global_load_dwordx4 v[73:76], v[89:90], off
	global_load_dwordx4 v[77:80], v[91:92], off
	s_nop 0
	global_store_dwordx4 v[57:58], v[45:48], off
	s_waitcnt vmcnt(6)
	v_mul_f64 v[45:46], v[24:25], -v[51:52]
	v_fma_f64 v[57:58], v[49:50], v[26:27], v[45:46]
	v_mul_f64 v[45:46], v[24:25], v[49:50]
	v_fma_f64 v[61:62], v[51:52], v[26:27], v[45:46]
	s_waitcnt vmcnt(5)
	v_mul_f64 v[45:46], v[24:25], -v[55:56]
	v_mul_f64 v[47:48], v[16:17], v[61:62]
	v_fma_f64 v[59:60], v[53:54], v[26:27], v[45:46]
	v_mul_f64 v[45:46], v[24:25], v[53:54]
	v_fma_f64 v[47:48], v[18:19], v[57:58], v[47:48]
	v_fma_f64 v[63:64], v[55:56], v[26:27], v[45:46]
	v_mul_f64 v[45:46], v[61:62], -v[18:19]
	v_mul_f64 v[49:50], v[63:64], -v[10:11]
	v_mul_f64 v[51:52], v[8:9], v[63:64]
	v_fma_f64 v[45:46], v[16:17], v[57:58], v[45:46]
	v_fma_f64 v[49:50], v[8:9], v[59:60], v[49:50]
	v_fma_f64 v[51:52], v[10:11], v[59:60], v[51:52]
	v_add_f64 v[45:46], v[45:46], -v[49:50]
	v_add_f64 v[47:48], v[47:48], -v[51:52]
	s_waitcnt vmcnt(3)
	v_mul_f64 v[51:52], v[24:25], v[69:70]
	v_mul_f64 v[49:50], v[24:25], -v[71:72]
	global_store_dwordx4 v[81:82], v[45:48], off
	v_fma_f64 v[51:52], v[71:72], v[26:27], v[51:52]
	v_mul_f64 v[45:46], v[24:25], -v[43:44]
	v_mul_f64 v[47:48], v[24:25], v[41:42]
	v_fma_f64 v[49:50], v[69:70], v[26:27], v[49:50]
	s_waitcnt vmcnt(2)
	v_mul_f64 v[55:56], v[24:25], v[77:78]
	v_mul_f64 v[53:54], v[24:25], -v[79:80]
	v_fma_f64 v[41:42], v[41:42], v[26:27], v[45:46]
	v_fma_f64 v[45:46], v[43:44], v[26:27], v[47:48]
	v_mul_f64 v[43:44], v[24:25], -v[75:76]
	v_mul_f64 v[47:48], v[24:25], v[73:74]
	v_fma_f64 v[55:56], v[79:80], v[26:27], v[55:56]
	v_fma_f64 v[53:54], v[77:78], v[26:27], v[53:54]
	v_mul_f64 v[69:70], v[45:46], -v[18:19]
	v_fma_f64 v[43:44], v[73:74], v[26:27], v[43:44]
	v_mul_f64 v[73:74], v[51:52], -v[18:19]
	v_fma_f64 v[47:48], v[75:76], v[26:27], v[47:48]
	v_mul_f64 v[71:72], v[16:17], v[45:46]
	v_mul_f64 v[77:78], v[55:56], -v[10:11]
	v_fma_f64 v[69:70], v[16:17], v[41:42], v[69:70]
	v_fma_f64 v[73:74], v[16:17], v[49:50], v[73:74]
	v_mul_f64 v[16:17], v[16:17], v[51:52]
	v_fma_f64 v[71:72], v[18:19], v[41:42], v[71:72]
	v_mul_f64 v[75:76], v[8:9], v[47:48]
	v_fma_f64 v[77:78], v[8:9], v[53:54], v[77:78]
	v_fma_f64 v[18:19], v[18:19], v[49:50], v[16:17]
	v_mul_f64 v[16:17], v[47:48], -v[10:11]
	v_fma_f64 v[75:76], v[10:11], v[43:44], v[75:76]
	v_fma_f64 v[16:17], v[8:9], v[43:44], v[16:17]
	v_mul_f64 v[8:9], v[8:9], v[55:56]
	v_fma_f64 v[79:80], v[10:11], v[53:54], v[8:9]
	v_add_f64 v[8:9], v[69:70], -v[16:17]
	v_add_f64 v[10:11], v[71:72], -v[75:76]
	;; [unrolled: 1-line block ×3, first 2 shown]
	v_mul_f64 v[69:70], v[6:7], v[33:34]
	v_mul_f64 v[71:72], v[33:34], -v[4:5]
	v_mul_f64 v[73:74], v[6:7], v[61:62]
	v_mul_f64 v[75:76], v[0:1], v[63:64]
	v_add_f64 v[18:19], v[18:19], -v[79:80]
	v_mul_f64 v[79:80], v[0:1], v[55:56]
	global_store_dwordx4 v[85:86], v[8:11], off
	v_fma_f64 v[69:70], -v[4:5], v[37:38], v[69:70]
	v_mul_f64 v[8:9], v[39:40], -v[2:3]
	v_mul_f64 v[10:11], v[0:1], v[39:40]
	v_fma_f64 v[71:72], -v[6:7], v[37:38], v[71:72]
	global_store_dwordx4 v[87:88], v[16:19], off
	v_fma_f64 v[73:74], -v[4:5], v[57:58], v[73:74]
	v_mul_f64 v[16:17], v[61:62], -v[4:5]
	v_mul_f64 v[18:19], v[63:64], -v[2:3]
	v_fma_f64 v[79:80], v[2:3], v[53:54], v[79:80]
	v_fma_f64 v[8:9], v[0:1], v[35:36], v[8:9]
	;; [unrolled: 1-line block ×3, first 2 shown]
	v_fma_f64 v[77:78], -v[6:7], v[57:58], v[16:17]
	v_fma_f64 v[16:17], v[0:1], v[59:60], v[18:19]
	v_fma_f64 v[18:19], v[2:3], v[59:60], v[75:76]
	v_add_f64 v[8:9], v[69:70], v[8:9]
	v_add_f64 v[10:11], v[71:72], v[10:11]
	v_mul_f64 v[69:70], v[6:7], v[45:46]
	v_mul_f64 v[71:72], v[45:46], -v[4:5]
	v_mul_f64 v[75:76], v[0:1], v[47:48]
	v_add_f64 v[16:17], v[73:74], v[16:17]
	v_mul_f64 v[73:74], v[47:48], -v[2:3]
	v_add_f64 v[18:19], v[77:78], v[18:19]
	v_mul_f64 v[77:78], v[55:56], -v[2:3]
	v_fma_f64 v[69:70], -v[4:5], v[41:42], v[69:70]
	v_fma_f64 v[71:72], -v[6:7], v[41:42], v[71:72]
	v_fma_f64 v[75:76], v[2:3], v[43:44], v[75:76]
	v_fma_f64 v[73:74], v[0:1], v[43:44], v[73:74]
	;; [unrolled: 1-line block ×3, first 2 shown]
	v_add_f64 v[71:72], v[71:72], v[75:76]
	v_mul_f64 v[75:76], v[51:52], -v[4:5]
	v_add_f64 v[69:70], v[69:70], v[73:74]
	v_mul_f64 v[73:74], v[6:7], v[51:52]
	global_store_dwordx4 v[31:32], v[8:11], off
	global_store_dwordx4 v[83:84], v[16:19], off
	;; [unrolled: 1-line block ×3, first 2 shown]
	v_fma_f64 v[75:76], -v[6:7], v[49:50], v[75:76]
	v_mov_b32_e32 v8, 0
	v_fma_f64 v[73:74], -v[4:5], v[49:50], v[73:74]
	v_mov_b32_e32 v10, 0
	v_mov_b32_e32 v9, 0
	;; [unrolled: 1-line block ×3, first 2 shown]
	v_add_f64 v[75:76], v[75:76], v[79:80]
	v_add_f64 v[73:74], v[73:74], v[77:78]
	global_store_dwordx4 v[91:92], v[73:76], off
	s_and_saveexec_b64 s[4:5], s[2:3]
	s_cbranch_execz .LBB289_16
; %bb.15:                               ;   in Loop: Header=BB289_5 Depth=1
	v_add_u32_e32 v31, v67, v66
	v_add_u32_e32 v29, s27, v31
	v_lshlrev_b64 v[8:9], 4, v[29:30]
	v_add_u32_e32 v29, s28, v31
	v_mov_b32_e32 v10, s9
	v_add_co_u32_e32 v69, vcc, s8, v8
	v_lshlrev_b64 v[16:17], 4, v[29:30]
	v_addc_co_u32_e32 v70, vcc, v10, v9, vcc
	v_mov_b32_e32 v18, s9
	v_add_co_u32_e32 v71, vcc, s8, v16
	global_load_dwordx4 v[8:11], v[69:70], off
	v_addc_co_u32_e32 v72, vcc, v18, v17, vcc
	global_load_dwordx4 v[16:19], v[71:72], off
	v_mul_f64 v[73:74], v[22:23], -v[4:5]
	v_mul_f64 v[75:76], v[6:7], v[22:23]
	v_mul_f64 v[77:78], v[0:1], v[22:23]
	v_mul_f64 v[79:80], v[22:23], -v[2:3]
	v_add_u32_e32 v29, s29, v31
	v_mov_b32_e32 v85, s9
	v_fma_f64 v[73:74], -v[6:7], v[20:21], v[73:74]
	v_fma_f64 v[75:76], -v[4:5], v[20:21], v[75:76]
	v_fma_f64 v[77:78], v[2:3], v[20:21], v[77:78]
	v_fma_f64 v[79:80], v[0:1], v[20:21], v[79:80]
	v_mul_f64 v[4:5], v[73:74], v[33:34]
	v_mul_f64 v[6:7], v[33:34], -v[75:76]
	v_mul_f64 v[32:33], v[39:40], -v[77:78]
	v_mul_f64 v[39:40], v[79:80], v[39:40]
	v_mul_f64 v[81:82], v[73:74], v[61:62]
	v_mul_f64 v[61:62], v[61:62], -v[75:76]
	v_mul_f64 v[83:84], v[63:64], -v[77:78]
	v_mul_f64 v[63:64], v[79:80], v[63:64]
	v_fma_f64 v[4:5], -v[75:76], v[37:38], v[4:5]
	v_fma_f64 v[6:7], -v[73:74], v[37:38], v[6:7]
	v_fma_f64 v[33:34], v[79:80], v[35:36], v[32:33]
	v_fma_f64 v[35:36], v[77:78], v[35:36], v[39:40]
	v_fma_f64 v[37:38], -v[75:76], v[57:58], v[81:82]
	v_fma_f64 v[39:40], -v[73:74], v[57:58], v[61:62]
	v_fma_f64 v[57:58], v[79:80], v[59:60], v[83:84]
	v_fma_f64 v[59:60], v[77:78], v[59:60], v[63:64]
	v_ashrrev_i32_e32 v32, 31, v31
	v_lshlrev_b64 v[61:62], 4, v[31:32]
	v_add_f64 v[4:5], v[4:5], -v[33:34]
	v_add_f64 v[6:7], v[6:7], -v[35:36]
	v_mov_b32_e32 v63, s9
	v_mov_b32_e32 v64, s15
	v_add_f64 v[32:33], v[37:38], -v[57:58]
	v_add_f64 v[34:35], v[39:40], -v[59:60]
	v_lshlrev_b64 v[36:37], 4, v[29:30]
	v_add_u32_e32 v29, s30, v31
	v_lshlrev_b64 v[38:39], 4, v[29:30]
	v_add_co_u32_e32 v31, vcc, s8, v36
	s_waitcnt vmcnt(1)
	v_add_f64 v[4:5], v[4:5], v[8:9]
	v_add_f64 v[6:7], v[6:7], v[10:11]
	s_waitcnt vmcnt(0)
	v_add_f64 v[8:9], v[32:33], v[16:17]
	v_add_f64 v[10:11], v[34:35], v[18:19]
	v_addc_co_u32_e32 v32, vcc, v85, v37, vcc
	v_add_co_u32_e32 v33, vcc, s8, v38
	v_addc_co_u32_e32 v34, vcc, v63, v39, vcc
	v_add_co_u32_e32 v16, vcc, s14, v61
	global_store_dwordx4 v[69:70], v[4:7], off
	global_store_dwordx4 v[71:72], v[8:11], off
	v_addc_co_u32_e32 v17, vcc, v64, v62, vcc
	global_load_dwordx4 v[4:7], v[31:32], off
	global_load_dwordx4 v[8:11], v[33:34], off
	v_mul_f64 v[35:36], v[2:3], -v[22:23]
	global_load_dwordx4 v[16:19], v[16:17], off
	v_mul_f64 v[2:3], v[2:3], v[20:21]
	v_mul_f64 v[37:38], v[79:80], v[47:48]
	v_fma_f64 v[20:21], v[20:21], v[0:1], v[35:36]
	v_mul_f64 v[35:36], v[47:48], -v[77:78]
	v_fma_f64 v[0:1], v[22:23], v[0:1], v[2:3]
	v_mul_f64 v[2:3], v[73:74], v[45:46]
	v_mul_f64 v[22:23], v[45:46], -v[75:76]
	v_mul_f64 v[45:46], v[73:74], v[51:52]
	v_mul_f64 v[47:48], v[51:52], -v[75:76]
	v_mul_f64 v[51:52], v[55:56], -v[77:78]
	v_mul_f64 v[39:40], v[14:15], v[20:21]
	v_mul_f64 v[55:56], v[79:80], v[55:56]
	v_mul_f64 v[14:15], v[14:15], -v[0:1]
	v_fma_f64 v[2:3], -v[75:76], v[41:42], v[2:3]
	v_fma_f64 v[22:23], -v[73:74], v[41:42], v[22:23]
	v_fma_f64 v[0:1], v[0:1], v[12:13], v[39:40]
	v_fma_f64 v[39:40], v[79:80], v[53:54], v[51:52]
	v_fma_f64 v[12:13], v[20:21], v[12:13], v[14:15]
	v_fma_f64 v[14:15], v[79:80], v[43:44], v[35:36]
	v_fma_f64 v[20:21], v[77:78], v[43:44], v[37:38]
	v_fma_f64 v[35:36], -v[75:76], v[49:50], v[45:46]
	v_fma_f64 v[37:38], -v[73:74], v[49:50], v[47:48]
	v_fma_f64 v[41:42], v[77:78], v[53:54], v[55:56]
	v_mul_f64 v[43:44], v[24:25], -v[0:1]
	v_mul_f64 v[24:25], v[24:25], v[12:13]
	v_add_f64 v[2:3], v[2:3], -v[14:15]
	v_add_f64 v[14:15], v[22:23], -v[20:21]
	;; [unrolled: 1-line block ×4, first 2 shown]
	v_fma_f64 v[12:13], v[12:13], v[26:27], v[43:44]
	v_fma_f64 v[24:25], v[0:1], v[26:27], v[24:25]
	s_waitcnt vmcnt(2)
	v_add_f64 v[0:1], v[2:3], v[4:5]
	v_add_f64 v[2:3], v[14:15], v[6:7]
	s_waitcnt vmcnt(1)
	v_add_f64 v[4:5], v[20:21], v[8:9]
	v_add_f64 v[6:7], v[22:23], v[10:11]
	s_waitcnt vmcnt(0)
	v_add_f64 v[10:11], v[16:17], -v[12:13]
	v_add_f64 v[8:9], v[18:19], -v[24:25]
	global_store_dwordx4 v[31:32], v[0:3], off
	global_store_dwordx4 v[33:34], v[4:7], off
.LBB289_16:                             ;   in Loop: Header=BB289_5 Depth=1
	s_or_b64 exec, exec, s[4:5]
	v_mov_b32_e32 v2, v8
	v_mov_b32_e32 v0, v10
	;; [unrolled: 1-line block ×4, first 2 shown]
                                        ; implicit-def: $vgpr4_vgpr5
                                        ; implicit-def: $vgpr16_vgpr17
                                        ; implicit-def: $vgpr8_vgpr9
                                        ; implicit-def: $vgpr31_vgpr32
                                        ; implicit-def: $vgpr33_vgpr34
                                        ; implicit-def: $vgpr24
                                        ; implicit-def: $vgpr37
                                        ; implicit-def: $vgpr35
.LBB289_17:                             ;   in Loop: Header=BB289_5 Depth=1
	s_or_saveexec_b64 s[2:3], s[20:21]
	v_mov_b32_e32 v10, s26
	s_xor_b64 exec, exec, s[2:3]
	s_cbranch_execz .LBB289_4
; %bb.18:                               ;   in Loop: Header=BB289_5 Depth=1
	v_mul_f64 v[10:11], v[2:3], v[2:3]
	v_mov_b32_e32 v25, v30
	v_lshlrev_b64 v[12:13], 4, v[24:25]
	v_mov_b32_e32 v22, s9
	v_mov_b32_e32 v38, v30
	;; [unrolled: 1-line block ×3, first 2 shown]
	v_lshlrev_b64 v[20:21], 4, v[37:38]
	v_mov_b32_e32 v36, v30
	v_fma_f64 v[14:15], v[0:1], v[0:1], v[10:11]
	v_lshlrev_b64 v[10:11], 4, v[29:30]
	v_mov_b32_e32 v29, s9
	v_add_co_u32_e32 v45, vcc, s8, v10
	v_addc_co_u32_e32 v46, vcc, v22, v11, vcc
	v_add_co_u32_e32 v47, vcc, s8, v12
	v_div_scale_f64 v[26:27], s[4:5], v[14:15], v[14:15], 1.0
	v_addc_co_u32_e32 v48, vcc, v23, v13, vcc
	v_lshlrev_b64 v[35:36], 4, v[35:36]
	v_add_co_u32_e32 v49, vcc, s8, v20
	v_addc_co_u32_e32 v50, vcc, v29, v21, vcc
	v_mov_b32_e32 v41, s9
	v_add_co_u32_e32 v53, vcc, s8, v35
	v_addc_co_u32_e32 v54, vcc, v41, v36, vcc
	global_load_dwordx4 v[10:13], v[45:46], off
	global_load_dwordx4 v[20:23], v[47:48], off
	;; [unrolled: 1-line block ×4, first 2 shown]
	v_rcp_f64_e32 v[24:25], v[26:27]
	v_div_scale_f64 v[35:36], vcc, 1.0, v[14:15], 1.0
	v_fma_f64 v[51:52], -v[26:27], v[24:25], 1.0
	v_fma_f64 v[24:25], v[24:25], v[51:52], v[24:25]
	v_fma_f64 v[51:52], -v[26:27], v[24:25], 1.0
	v_fma_f64 v[24:25], v[24:25], v[51:52], v[24:25]
	v_mul_f64 v[51:52], v[35:36], v[24:25]
	v_fma_f64 v[26:27], -v[26:27], v[51:52], v[35:36]
	v_div_fmas_f64 v[24:25], v[26:27], v[24:25], v[51:52]
	v_fma_f64 v[26:27], v[0:1], 0, -v[2:3]
	v_fma_f64 v[0:1], v[2:3], 0, v[0:1]
	v_div_fixup_f64 v[14:15], v[24:25], v[14:15], 1.0
	v_mul_f64 v[35:36], v[26:27], v[14:15]
	v_mul_f64 v[14:15], v[0:1], v[14:15]
	s_waitcnt vmcnt(3)
	v_mul_f64 v[0:1], v[35:36], -v[12:13]
	v_mul_f64 v[2:3], v[35:36], v[10:11]
	s_waitcnt vmcnt(2)
	v_mul_f64 v[51:52], v[35:36], -v[22:23]
	;; [unrolled: 3-line block ×4, first 2 shown]
	v_mul_f64 v[63:64], v[35:36], v[41:42]
	v_fma_f64 v[24:25], v[10:11], v[14:15], v[0:1]
	v_fma_f64 v[26:27], v[12:13], v[14:15], v[2:3]
	;; [unrolled: 1-line block ×8, first 2 shown]
	global_store_dwordx4 v[45:46], v[24:27], off
	global_store_dwordx4 v[47:48], v[20:23], off
	;; [unrolled: 1-line block ×4, first 2 shown]
	s_and_saveexec_b64 s[4:5], s[0:1]
	s_cbranch_execz .LBB289_3
; %bb.19:                               ;   in Loop: Header=BB289_5 Depth=1
	v_add_u32_e32 v51, v65, v66
	v_add_u32_e32 v29, s27, v51
	v_lshlrev_b64 v[37:38], 4, v[29:30]
	v_mov_b32_e32 v29, s9
	v_add_co_u32_e32 v45, vcc, s8, v37
	v_addc_co_u32_e32 v46, vcc, v29, v38, vcc
	v_add_u32_e32 v29, s28, v51
	v_lshlrev_b64 v[41:42], 4, v[29:30]
	v_mov_b32_e32 v29, s9
	v_add_co_u32_e32 v47, vcc, s8, v41
	global_load_dwordx4 v[37:40], v[45:46], off
	v_addc_co_u32_e32 v48, vcc, v29, v42, vcc
	global_load_dwordx4 v[41:44], v[47:48], off
	v_add_u32_e32 v29, s29, v51
	v_lshlrev_b64 v[49:50], 4, v[29:30]
	v_add_u32_e32 v29, s30, v51
	v_mov_b32_e32 v53, s9
	v_lshlrev_b64 v[51:52], 4, v[29:30]
	v_mov_b32_e32 v54, s9
	s_waitcnt vmcnt(1)
	v_fma_f64 v[37:38], -v[4:5], v[24:25], v[37:38]
	v_fma_f64 v[39:40], -v[6:7], v[24:25], v[39:40]
	s_waitcnt vmcnt(0)
	v_fma_f64 v[41:42], -v[4:5], v[20:21], v[41:42]
	v_fma_f64 v[43:44], -v[6:7], v[20:21], v[43:44]
	v_fma_f64 v[24:25], v[6:7], v[26:27], v[37:38]
	v_fma_f64 v[26:27], -v[4:5], v[26:27], v[39:40]
	v_add_co_u32_e32 v37, vcc, s8, v49
	v_fma_f64 v[20:21], v[6:7], v[22:23], v[41:42]
	v_fma_f64 v[22:23], -v[4:5], v[22:23], v[43:44]
	v_addc_co_u32_e32 v38, vcc, v53, v50, vcc
	v_add_co_u32_e32 v39, vcc, s8, v51
	global_store_dwordx4 v[45:46], v[24:27], off
	v_addc_co_u32_e32 v40, vcc, v54, v52, vcc
	global_load_dwordx4 v[24:27], v[37:38], off
	s_nop 0
	global_store_dwordx4 v[47:48], v[20:23], off
	global_load_dwordx4 v[20:23], v[39:40], off
	s_waitcnt vmcnt(2)
	v_fma_f64 v[24:25], -v[4:5], v[10:11], v[24:25]
	v_fma_f64 v[26:27], -v[6:7], v[10:11], v[26:27]
	s_waitcnt vmcnt(0)
	v_fma_f64 v[20:21], -v[4:5], v[0:1], v[20:21]
	v_fma_f64 v[22:23], -v[6:7], v[0:1], v[22:23]
	v_fma_f64 v[10:11], v[6:7], v[12:13], v[24:25]
	v_fma_f64 v[12:13], -v[4:5], v[12:13], v[26:27]
	v_fma_f64 v[0:1], v[6:7], v[2:3], v[20:21]
	v_fma_f64 v[2:3], -v[4:5], v[2:3], v[22:23]
	global_store_dwordx4 v[37:38], v[10:13], off
	global_store_dwordx4 v[39:40], v[0:3], off
	s_branch .LBB289_3
.LBB289_20:
	s_or_b64 exec, exec, s[18:19]
	s_branch .LBB289_22
.LBB289_21:
	v_mov_b32_e32 v66, 0
.LBB289_22:
	v_subrev_u32_e32 v2, s22, v66
	v_add_u32_e32 v0, v2, v28
	v_ashrrev_i32_e32 v1, 31, v0
	v_lshlrev_b64 v[0:1], 2, v[0:1]
	s_waitcnt lgkmcnt(0)
	v_mov_b32_e32 v3, s17
	v_add_co_u32_e32 v0, vcc, s16, v0
	v_addc_co_u32_e32 v1, vcc, v3, v1, vcc
	s_waitcnt vmcnt(0)
	buffer_wbinvl1_vol
	global_load_dword v0, v[0:1], off
	s_waitcnt vmcnt(0)
	v_mul_lo_u32 v0, v0, s22
	v_sub_u32_e32 v8, v2, v0
	v_cmp_lt_i32_e32 vcc, -1, v8
	s_and_b64 exec, exec, vcc
	s_cbranch_execz .LBB289_29
; %bb.23:
	s_lshl_b32 s4, s24, 2
	s_add_i32 s5, s4, s23
	s_add_i32 s6, s5, s23
	;; [unrolled: 1-line block ×3, first 2 shown]
	s_lshl_b32 s12, s22, 1
	s_mov_b64 s[0:1], 0
	v_mov_b32_e32 v9, s17
	v_mov_b32_e32 v10, s11
	;; [unrolled: 1-line block ×3, first 2 shown]
	s_branch .LBB289_25
.LBB289_24:                             ;   in Loop: Header=BB289_25 Depth=1
	s_or_b64 exec, exec, s[2:3]
	v_sub_u32_e32 v8, v8, v4
	v_cmp_gt_i32_e32 vcc, 0, v8
	s_or_b64 s[0:1], vcc, s[0:1]
	s_andn2_b64 exec, exec, s[0:1]
	s_cbranch_execz .LBB289_29
.LBB289_25:                             ; =>This Inner Loop Header: Depth=1
	v_add_u32_e32 v6, v8, v28
	v_ashrrev_i32_e32 v7, 31, v6
	s_waitcnt vmcnt(0)
	v_lshlrev_b64 v[0:1], 2, v[6:7]
	v_add_co_u32_e32 v0, vcc, s16, v0
	v_addc_co_u32_e32 v1, vcc, v9, v1, vcc
	global_load_dword v4, v[0:1], off
	v_lshlrev_b64 v[0:1], 4, v[6:7]
	v_add_co_u32_e32 v0, vcc, s10, v0
	v_addc_co_u32_e32 v1, vcc, v10, v1, vcc
	global_load_dwordx4 v[0:3], v[0:1], off
	s_waitcnt vmcnt(1)
	v_cmp_ne_u32_e32 vcc, 1, v4
	s_and_saveexec_b64 s[2:3], vcc
	s_xor_b64 s[2:3], exec, s[2:3]
	s_cbranch_execz .LBB289_27
; %bb.26:                               ;   in Loop: Header=BB289_25 Depth=1
	v_add_u32_e32 v7, v65, v8
	v_add_u32_e32 v4, s4, v7
	v_lshlrev_b64 v[11:12], 4, v[4:5]
	v_mov_b32_e32 v4, s9
	v_add_co_u32_e32 v11, vcc, s8, v11
	v_addc_co_u32_e32 v12, vcc, v4, v12, vcc
	v_add_u32_e32 v4, s5, v7
	v_lshlrev_b64 v[19:20], 4, v[4:5]
	v_add_u32_e32 v4, s6, v7
	v_lshlrev_b64 v[23:24], 4, v[4:5]
	;; [unrolled: 2-line block ×4, first 2 shown]
	v_mov_b32_e32 v4, s9
	v_add_co_u32_e32 v33, vcc, s8, v15
	v_addc_co_u32_e32 v34, vcc, v4, v16, vcc
	global_load_dwordx4 v[11:14], v[11:12], off
	v_add_co_u32_e32 v19, vcc, s8, v19
	global_load_dwordx4 v[15:18], v[33:34], off
	v_addc_co_u32_e32 v20, vcc, v4, v20, vcc
	global_load_dwordx4 v[19:22], v[19:20], off
	v_mov_b32_e32 v7, s9
	v_add_co_u32_e32 v35, vcc, s8, v23
	v_addc_co_u32_e32 v36, vcc, v7, v24, vcc
	v_add_u32_e32 v4, s5, v6
	v_mov_b32_e32 v27, s9
	v_add_co_u32_e32 v37, vcc, s8, v25
	v_lshlrev_b64 v[39:40], 4, v[4:5]
	v_addc_co_u32_e32 v38, vcc, v27, v26, vcc
	v_mov_b32_e32 v41, s9
	global_load_dwordx4 v[23:26], v[35:36], off
	global_load_dwordx4 v[29:32], v[37:38], off
	v_add_co_u32_e32 v35, vcc, s8, v39
	v_addc_co_u32_e32 v36, vcc, v41, v40, vcc
	v_add_u32_e32 v4, s6, v6
	s_waitcnt vmcnt(3)
	v_fma_f64 v[15:16], -v[0:1], v[11:12], v[15:16]
	v_fma_f64 v[17:18], -v[2:3], v[11:12], v[17:18]
	v_fma_f64 v[15:16], v[2:3], v[13:14], v[15:16]
	v_fma_f64 v[17:18], -v[0:1], v[13:14], v[17:18]
	global_store_dwordx4 v[33:34], v[15:18], off
	global_load_dwordx4 v[15:18], v[35:36], off
	v_lshlrev_b64 v[33:34], 4, v[4:5]
	v_add_u32_e32 v4, s7, v6
	v_add_co_u32_e32 v33, vcc, s8, v33
	v_addc_co_u32_e32 v34, vcc, v7, v34, vcc
	v_lshlrev_b64 v[6:7], 4, v[4:5]
	v_subrev_u32_e32 v4, s22, v8
	v_add_co_u32_e32 v6, vcc, s8, v6
	v_addc_co_u32_e32 v7, vcc, v27, v7, vcc
	v_mov_b32_e32 v27, s11
	s_waitcnt vmcnt(0)
	v_fma_f64 v[15:16], -v[0:1], v[19:20], v[15:16]
	v_fma_f64 v[17:18], -v[2:3], v[19:20], v[17:18]
	v_fma_f64 v[15:16], v[2:3], v[21:22], v[15:16]
	v_fma_f64 v[17:18], -v[0:1], v[21:22], v[17:18]
	global_store_dwordx4 v[35:36], v[15:18], off
	global_load_dwordx4 v[15:18], v[33:34], off
	v_mov_b32_e32 v36, s9
	s_waitcnt vmcnt(0)
	v_fma_f64 v[15:16], -v[0:1], v[23:24], v[15:16]
	v_fma_f64 v[17:18], -v[2:3], v[23:24], v[17:18]
	v_fma_f64 v[15:16], v[2:3], v[25:26], v[15:16]
	v_fma_f64 v[17:18], -v[0:1], v[25:26], v[17:18]
	global_store_dwordx4 v[33:34], v[15:18], off
	global_load_dwordx4 v[15:18], v[6:7], off
	v_add_u32_e32 v33, v4, v28
	v_ashrrev_i32_e32 v34, 31, v33
	v_lshlrev_b64 v[34:35], 4, v[33:34]
	v_add_u32_e32 v4, s4, v33
	v_add_co_u32_e32 v34, vcc, s10, v34
	v_addc_co_u32_e32 v35, vcc, v27, v35, vcc
	s_waitcnt vmcnt(0)
	v_fma_f64 v[15:16], -v[0:1], v[29:30], v[15:16]
	v_fma_f64 v[17:18], -v[2:3], v[29:30], v[17:18]
	v_fma_f64 v[15:16], v[2:3], v[31:32], v[15:16]
	v_fma_f64 v[17:18], -v[0:1], v[31:32], v[17:18]
	global_load_dwordx4 v[0:3], v[34:35], off
	v_lshlrev_b64 v[34:35], 4, v[4:5]
	v_add_u32_e32 v4, s5, v33
	v_add_co_u32_e32 v34, vcc, s8, v34
	v_addc_co_u32_e32 v35, vcc, v36, v35, vcc
	global_store_dwordx4 v[6:7], v[15:18], off
	global_load_dwordx4 v[15:18], v[34:35], off
	s_waitcnt vmcnt(0)
	v_fma_f64 v[6:7], -v[0:1], v[11:12], v[15:16]
	v_fma_f64 v[15:16], -v[2:3], v[11:12], v[17:18]
	v_mov_b32_e32 v17, s9
	v_fma_f64 v[11:12], v[2:3], v[13:14], v[6:7]
	v_fma_f64 v[13:14], -v[0:1], v[13:14], v[15:16]
	v_lshlrev_b64 v[6:7], 4, v[4:5]
	v_mov_b32_e32 v15, s9
	v_add_co_u32_e32 v6, vcc, s8, v6
	v_addc_co_u32_e32 v7, vcc, v15, v7, vcc
	v_add_u32_e32 v4, s6, v33
	global_store_dwordx4 v[34:35], v[11:14], off
	global_load_dwordx4 v[11:14], v[6:7], off
	v_lshlrev_b64 v[15:16], 4, v[4:5]
	v_add_u32_e32 v4, s7, v33
	v_add_co_u32_e32 v15, vcc, s8, v15
	v_addc_co_u32_e32 v16, vcc, v17, v16, vcc
	s_waitcnt vmcnt(0)
	v_fma_f64 v[11:12], -v[0:1], v[19:20], v[11:12]
	v_fma_f64 v[13:14], -v[2:3], v[19:20], v[13:14]
	v_fma_f64 v[11:12], v[2:3], v[21:22], v[11:12]
	v_fma_f64 v[13:14], -v[0:1], v[21:22], v[13:14]
	global_store_dwordx4 v[6:7], v[11:14], off
	global_load_dwordx4 v[11:14], v[15:16], off
	s_waitcnt vmcnt(0)
	v_fma_f64 v[6:7], -v[0:1], v[23:24], v[11:12]
	v_fma_f64 v[13:14], -v[2:3], v[23:24], v[13:14]
	v_fma_f64 v[11:12], v[2:3], v[25:26], v[6:7]
	v_fma_f64 v[13:14], -v[0:1], v[25:26], v[13:14]
	v_lshlrev_b64 v[6:7], 4, v[4:5]
	v_add_co_u32_e32 v6, vcc, s8, v6
	v_addc_co_u32_e32 v7, vcc, v17, v7, vcc
	global_store_dwordx4 v[15:16], v[11:14], off
	global_load_dwordx4 v[11:14], v[6:7], off
	s_waitcnt vmcnt(0)
	v_fma_f64 v[11:12], -v[0:1], v[29:30], v[11:12]
	v_fma_f64 v[13:14], -v[2:3], v[29:30], v[13:14]
	v_fma_f64 v[11:12], v[2:3], v[31:32], v[11:12]
	v_fma_f64 v[13:14], -v[0:1], v[31:32], v[13:14]
                                        ; implicit-def: $vgpr0_vgpr1
	global_store_dwordx4 v[6:7], v[11:14], off
                                        ; implicit-def: $vgpr6
.LBB289_27:                             ;   in Loop: Header=BB289_25 Depth=1
	s_or_saveexec_b64 s[2:3], s[2:3]
	v_mov_b32_e32 v4, s12
	s_xor_b64 exec, exec, s[2:3]
	s_cbranch_execz .LBB289_24
; %bb.28:                               ;   in Loop: Header=BB289_25 Depth=1
	v_add_u32_e32 v7, v65, v8
	v_add_u32_e32 v4, s4, v7
	v_lshlrev_b64 v[11:12], 4, v[4:5]
	v_mov_b32_e32 v4, s9
	v_add_co_u32_e32 v19, vcc, s8, v11
	v_addc_co_u32_e32 v20, vcc, v4, v12, vcc
	v_add_u32_e32 v4, s4, v6
	v_lshlrev_b64 v[11:12], 4, v[4:5]
	v_mov_b32_e32 v4, s9
	v_add_co_u32_e32 v21, vcc, s8, v11
	v_addc_co_u32_e32 v22, vcc, v4, v12, vcc
	global_load_dwordx4 v[11:14], v[19:20], off
	global_load_dwordx4 v[15:18], v[21:22], off
	v_add_u32_e32 v4, s5, v7
	v_lshlrev_b64 v[19:20], 4, v[4:5]
	v_add_u32_e32 v4, s5, v6
	v_mov_b32_e32 v25, s9
	v_lshlrev_b64 v[23:24], 4, v[4:5]
	v_add_co_u32_e32 v19, vcc, s8, v19
	v_addc_co_u32_e32 v20, vcc, v25, v20, vcc
	v_mov_b32_e32 v26, s9
	v_add_co_u32_e32 v23, vcc, s8, v23
	v_addc_co_u32_e32 v24, vcc, v26, v24, vcc
	v_add_u32_e32 v4, s6, v7
	s_waitcnt vmcnt(0)
	v_fma_f64 v[15:16], -v[0:1], v[11:12], v[15:16]
	v_fma_f64 v[17:18], -v[2:3], v[11:12], v[17:18]
	v_fma_f64 v[11:12], v[2:3], v[13:14], v[15:16]
	v_fma_f64 v[13:14], -v[0:1], v[13:14], v[17:18]
	global_store_dwordx4 v[21:22], v[11:14], off
	global_load_dwordx4 v[11:14], v[19:20], off
	s_nop 0
	global_load_dwordx4 v[15:18], v[23:24], off
	v_lshlrev_b64 v[19:20], 4, v[4:5]
	v_add_u32_e32 v4, s6, v6
	v_lshlrev_b64 v[21:22], 4, v[4:5]
	v_add_co_u32_e32 v19, vcc, s8, v19
	v_addc_co_u32_e32 v20, vcc, v25, v20, vcc
	v_add_co_u32_e32 v21, vcc, s8, v21
	v_addc_co_u32_e32 v22, vcc, v26, v22, vcc
	v_add_u32_e32 v4, s7, v7
	s_waitcnt vmcnt(0)
	v_fma_f64 v[15:16], -v[0:1], v[11:12], v[15:16]
	v_fma_f64 v[17:18], -v[2:3], v[11:12], v[17:18]
	v_fma_f64 v[11:12], v[2:3], v[13:14], v[15:16]
	v_fma_f64 v[13:14], -v[0:1], v[13:14], v[17:18]
	global_store_dwordx4 v[23:24], v[11:14], off
	global_load_dwordx4 v[11:14], v[19:20], off
	s_nop 0
	global_load_dwordx4 v[15:18], v[21:22], off
	v_lshlrev_b64 v[19:20], 4, v[4:5]
	v_add_u32_e32 v4, s7, v6
	v_mov_b32_e32 v23, s9
	v_lshlrev_b64 v[6:7], 4, v[4:5]
	v_add_co_u32_e32 v19, vcc, s8, v19
	v_addc_co_u32_e32 v20, vcc, v23, v20, vcc
	v_mov_b32_e32 v24, s9
	v_add_co_u32_e32 v6, vcc, s8, v6
	v_addc_co_u32_e32 v7, vcc, v24, v7, vcc
	v_mov_b32_e32 v4, s22
	s_waitcnt vmcnt(0)
	v_fma_f64 v[15:16], -v[0:1], v[11:12], v[15:16]
	v_fma_f64 v[17:18], -v[2:3], v[11:12], v[17:18]
	v_fma_f64 v[11:12], v[2:3], v[13:14], v[15:16]
	v_fma_f64 v[13:14], -v[0:1], v[13:14], v[17:18]
	global_store_dwordx4 v[21:22], v[11:14], off
	global_load_dwordx4 v[11:14], v[19:20], off
	s_nop 0
	global_load_dwordx4 v[15:18], v[6:7], off
	s_waitcnt vmcnt(0)
	v_fma_f64 v[15:16], -v[0:1], v[11:12], v[15:16]
	v_fma_f64 v[17:18], -v[2:3], v[11:12], v[17:18]
	v_fma_f64 v[11:12], v[2:3], v[13:14], v[15:16]
	v_fma_f64 v[13:14], -v[0:1], v[13:14], v[17:18]
	global_store_dwordx4 v[6:7], v[11:14], off
	s_branch .LBB289_24
.LBB289_29:
	s_endpgm
	.section	.rodata,"a",@progbits
	.p2align	6, 0x0
	.amdhsa_kernel _ZN9rocsparseL19gtsv_LBM_rhs_kernelILj256ELj4ELj4E21rocsparse_complex_numIdEEEviiiPKT2_S5_S5_PS3_S5_PKi
		.amdhsa_group_segment_fixed_size 0
		.amdhsa_private_segment_fixed_size 0
		.amdhsa_kernarg_size 64
		.amdhsa_user_sgpr_count 6
		.amdhsa_user_sgpr_private_segment_buffer 1
		.amdhsa_user_sgpr_dispatch_ptr 0
		.amdhsa_user_sgpr_queue_ptr 0
		.amdhsa_user_sgpr_kernarg_segment_ptr 1
		.amdhsa_user_sgpr_dispatch_id 0
		.amdhsa_user_sgpr_flat_scratch_init 0
		.amdhsa_user_sgpr_private_segment_size 0
		.amdhsa_uses_dynamic_stack 0
		.amdhsa_system_sgpr_private_segment_wavefront_offset 0
		.amdhsa_system_sgpr_workgroup_id_x 1
		.amdhsa_system_sgpr_workgroup_id_y 1
		.amdhsa_system_sgpr_workgroup_id_z 0
		.amdhsa_system_sgpr_workgroup_info 0
		.amdhsa_system_vgpr_workitem_id 0
		.amdhsa_next_free_vgpr 93
		.amdhsa_next_free_sgpr 31
		.amdhsa_reserve_vcc 1
		.amdhsa_reserve_flat_scratch 0
		.amdhsa_float_round_mode_32 0
		.amdhsa_float_round_mode_16_64 0
		.amdhsa_float_denorm_mode_32 3
		.amdhsa_float_denorm_mode_16_64 3
		.amdhsa_dx10_clamp 1
		.amdhsa_ieee_mode 1
		.amdhsa_fp16_overflow 0
		.amdhsa_exception_fp_ieee_invalid_op 0
		.amdhsa_exception_fp_denorm_src 0
		.amdhsa_exception_fp_ieee_div_zero 0
		.amdhsa_exception_fp_ieee_overflow 0
		.amdhsa_exception_fp_ieee_underflow 0
		.amdhsa_exception_fp_ieee_inexact 0
		.amdhsa_exception_int_div_zero 0
	.end_amdhsa_kernel
	.section	.text._ZN9rocsparseL19gtsv_LBM_rhs_kernelILj256ELj4ELj4E21rocsparse_complex_numIdEEEviiiPKT2_S5_S5_PS3_S5_PKi,"axG",@progbits,_ZN9rocsparseL19gtsv_LBM_rhs_kernelILj256ELj4ELj4E21rocsparse_complex_numIdEEEviiiPKT2_S5_S5_PS3_S5_PKi,comdat
.Lfunc_end289:
	.size	_ZN9rocsparseL19gtsv_LBM_rhs_kernelILj256ELj4ELj4E21rocsparse_complex_numIdEEEviiiPKT2_S5_S5_PS3_S5_PKi, .Lfunc_end289-_ZN9rocsparseL19gtsv_LBM_rhs_kernelILj256ELj4ELj4E21rocsparse_complex_numIdEEEviiiPKT2_S5_S5_PS3_S5_PKi
                                        ; -- End function
	.set _ZN9rocsparseL19gtsv_LBM_rhs_kernelILj256ELj4ELj4E21rocsparse_complex_numIdEEEviiiPKT2_S5_S5_PS3_S5_PKi.num_vgpr, 93
	.set _ZN9rocsparseL19gtsv_LBM_rhs_kernelILj256ELj4ELj4E21rocsparse_complex_numIdEEEviiiPKT2_S5_S5_PS3_S5_PKi.num_agpr, 0
	.set _ZN9rocsparseL19gtsv_LBM_rhs_kernelILj256ELj4ELj4E21rocsparse_complex_numIdEEEviiiPKT2_S5_S5_PS3_S5_PKi.numbered_sgpr, 31
	.set _ZN9rocsparseL19gtsv_LBM_rhs_kernelILj256ELj4ELj4E21rocsparse_complex_numIdEEEviiiPKT2_S5_S5_PS3_S5_PKi.num_named_barrier, 0
	.set _ZN9rocsparseL19gtsv_LBM_rhs_kernelILj256ELj4ELj4E21rocsparse_complex_numIdEEEviiiPKT2_S5_S5_PS3_S5_PKi.private_seg_size, 0
	.set _ZN9rocsparseL19gtsv_LBM_rhs_kernelILj256ELj4ELj4E21rocsparse_complex_numIdEEEviiiPKT2_S5_S5_PS3_S5_PKi.uses_vcc, 1
	.set _ZN9rocsparseL19gtsv_LBM_rhs_kernelILj256ELj4ELj4E21rocsparse_complex_numIdEEEviiiPKT2_S5_S5_PS3_S5_PKi.uses_flat_scratch, 0
	.set _ZN9rocsparseL19gtsv_LBM_rhs_kernelILj256ELj4ELj4E21rocsparse_complex_numIdEEEviiiPKT2_S5_S5_PS3_S5_PKi.has_dyn_sized_stack, 0
	.set _ZN9rocsparseL19gtsv_LBM_rhs_kernelILj256ELj4ELj4E21rocsparse_complex_numIdEEEviiiPKT2_S5_S5_PS3_S5_PKi.has_recursion, 0
	.set _ZN9rocsparseL19gtsv_LBM_rhs_kernelILj256ELj4ELj4E21rocsparse_complex_numIdEEEviiiPKT2_S5_S5_PS3_S5_PKi.has_indirect_call, 0
	.section	.AMDGPU.csdata,"",@progbits
; Kernel info:
; codeLenInByte = 5180
; TotalNumSgprs: 35
; NumVgprs: 93
; ScratchSize: 0
; MemoryBound: 1
; FloatMode: 240
; IeeeMode: 1
; LDSByteSize: 0 bytes/workgroup (compile time only)
; SGPRBlocks: 4
; VGPRBlocks: 23
; NumSGPRsForWavesPerEU: 35
; NumVGPRsForWavesPerEU: 93
; Occupancy: 2
; WaveLimiterHint : 0
; COMPUTE_PGM_RSRC2:SCRATCH_EN: 0
; COMPUTE_PGM_RSRC2:USER_SGPR: 6
; COMPUTE_PGM_RSRC2:TRAP_HANDLER: 0
; COMPUTE_PGM_RSRC2:TGID_X_EN: 1
; COMPUTE_PGM_RSRC2:TGID_Y_EN: 1
; COMPUTE_PGM_RSRC2:TGID_Z_EN: 0
; COMPUTE_PGM_RSRC2:TIDIG_COMP_CNT: 0
	.section	.text._ZN9rocsparseL19gtsv_LBM_rhs_kernelILj256ELj4ELj2E21rocsparse_complex_numIdEEEviiiPKT2_S5_S5_PS3_S5_PKi,"axG",@progbits,_ZN9rocsparseL19gtsv_LBM_rhs_kernelILj256ELj4ELj2E21rocsparse_complex_numIdEEEviiiPKT2_S5_S5_PS3_S5_PKi,comdat
	.globl	_ZN9rocsparseL19gtsv_LBM_rhs_kernelILj256ELj4ELj2E21rocsparse_complex_numIdEEEviiiPKT2_S5_S5_PS3_S5_PKi ; -- Begin function _ZN9rocsparseL19gtsv_LBM_rhs_kernelILj256ELj4ELj2E21rocsparse_complex_numIdEEEviiiPKT2_S5_S5_PS3_S5_PKi
	.p2align	8
	.type	_ZN9rocsparseL19gtsv_LBM_rhs_kernelILj256ELj4ELj2E21rocsparse_complex_numIdEEEviiiPKT2_S5_S5_PS3_S5_PKi,@function
_ZN9rocsparseL19gtsv_LBM_rhs_kernelILj256ELj4ELj2E21rocsparse_complex_numIdEEEviiiPKT2_S5_S5_PS3_S5_PKi: ; @_ZN9rocsparseL19gtsv_LBM_rhs_kernelILj256ELj4ELj2E21rocsparse_complex_numIdEEEviiiPKT2_S5_S5_PS3_S5_PKi
; %bb.0:
	s_load_dword s25, s[4:5], 0x0
	v_lshl_or_b32 v24, s6, 8, v0
	s_waitcnt lgkmcnt(0)
	s_lshr_b32 s24, s25, 2
	v_cmp_gt_i32_e32 vcc, s24, v24
	s_and_saveexec_b64 s[0:1], vcc
	s_cbranch_execz .LBB290_29
; %bb.1:
	s_load_dwordx4 s[8:11], s[4:5], 0x28
	s_load_dwordx2 s[16:17], s[4:5], 0x38
	s_cmp_lt_i32 s25, 1
	v_add_u32_e32 v47, s24, v24
	s_mul_i32 s26, s7, s25
	s_cbranch_scc1 .LBB290_21
; %bb.2:
	s_load_dwordx4 s[12:15], s[4:5], 0x10
	s_load_dwordx2 s[18:19], s[4:5], 0x20
	v_ashrrev_i32_e32 v25, 31, v24
	v_lshlrev_b64 v[0:1], 4, v[24:25]
	s_lshl_b32 s29, s26, 1
	s_waitcnt lgkmcnt(0)
	v_mov_b32_e32 v2, s15
	v_add_co_u32_e32 v0, vcc, s14, v0
	v_addc_co_u32_e32 v1, vcc, v2, v1, vcc
	global_load_dwordx4 v[4:7], v[0:1], off
	s_mul_i32 s27, s24, 3
	s_lshl_b32 s28, s24, 1
	v_add_u32_e32 v49, s24, v47
	s_add_i32 s30, s29, s25
	v_mov_b32_e32 v26, 0
	s_mov_b64 s[20:21], 0
	v_mov_b32_e32 v50, s19
	v_mov_b32_e32 v48, 0
	s_branch .LBB290_5
.LBB290_3:                              ;   in Loop: Header=BB290_5 Depth=1
	s_or_b64 exec, exec, s[4:5]
	v_fma_f64 v[2:3], v[2:3], v[8:9], v[29:30]
	v_fma_f64 v[0:1], v[0:1], v[8:9], v[27:28]
	v_mul_f64 v[4:5], v[20:21], -v[2:3]
	v_mul_f64 v[6:7], v[20:21], v[0:1]
	v_fma_f64 v[0:1], v[0:1], v[10:11], v[4:5]
	v_fma_f64 v[2:3], v[2:3], v[10:11], v[6:7]
	v_mov_b32_e32 v10, s24
	v_add_f64 v[4:5], v[12:13], -v[0:1]
	v_add_f64 v[6:7], v[14:15], -v[2:3]
.LBB290_4:                              ;   in Loop: Header=BB290_5 Depth=1
	s_or_b64 exec, exec, s[2:3]
	v_add_u32_e32 v48, v10, v48
	v_cmp_le_i32_e32 vcc, s25, v48
	s_or_b64 s[20:21], vcc, s[20:21]
	s_andn2_b64 exec, exec, s[20:21]
	s_cbranch_execz .LBB290_20
.LBB290_5:                              ; =>This Inner Loop Header: Depth=1
	v_add_u32_e32 v31, v48, v24
	v_ashrrev_i32_e32 v32, 31, v31
	v_lshlrev_b64 v[0:1], 4, v[31:32]
	v_mov_b32_e32 v12, 0
	v_add_co_u32_e32 v0, vcc, s18, v0
	v_addc_co_u32_e32 v1, vcc, v50, v1, vcc
	global_load_dwordx4 v[8:11], v[0:1], off
	v_mov_b32_e32 v0, 0
	v_mov_b32_e32 v2, 0
	;; [unrolled: 1-line block ×5, first 2 shown]
	v_cmp_gt_u32_e64 s[0:1], s27, v48
	s_and_saveexec_b64 s[2:3], s[0:1]
	s_cbranch_execz .LBB290_7
; %bb.6:                                ;   in Loop: Header=BB290_5 Depth=1
	v_add_u32_e32 v0, v47, v48
	v_ashrrev_i32_e32 v1, 31, v0
	v_lshlrev_b64 v[0:1], 4, v[0:1]
	v_mov_b32_e32 v2, s13
	v_add_co_u32_e32 v0, vcc, s12, v0
	v_addc_co_u32_e32 v1, vcc, v2, v1, vcc
	global_load_dwordx4 v[0:3], v[0:1], off
.LBB290_7:                              ;   in Loop: Header=BB290_5 Depth=1
	s_or_b64 exec, exec, s[2:3]
	v_mov_b32_e32 v14, 0
	v_mov_b32_e32 v15, 0
	s_and_saveexec_b64 s[2:3], s[0:1]
	s_cbranch_execz .LBB290_9
; %bb.8:                                ;   in Loop: Header=BB290_5 Depth=1
	v_add_u32_e32 v12, v47, v48
	v_ashrrev_i32_e32 v13, 31, v12
	v_lshlrev_b64 v[12:13], 4, v[12:13]
	v_mov_b32_e32 v14, s15
	v_add_co_u32_e32 v12, vcc, s14, v12
	v_addc_co_u32_e32 v13, vcc, v14, v13, vcc
	global_load_dwordx4 v[12:15], v[12:13], off
.LBB290_9:                              ;   in Loop: Header=BB290_5 Depth=1
	s_or_b64 exec, exec, s[2:3]
	v_mov_b32_e32 v20, 0
	v_mov_b32_e32 v16, 0
	;; [unrolled: 1-line block ×6, first 2 shown]
	s_and_saveexec_b64 s[2:3], s[0:1]
	s_cbranch_execz .LBB290_11
; %bb.10:                               ;   in Loop: Header=BB290_5 Depth=1
	v_add_u32_e32 v16, v47, v48
	v_ashrrev_i32_e32 v17, 31, v16
	v_lshlrev_b64 v[16:17], 4, v[16:17]
	v_mov_b32_e32 v18, s19
	v_add_co_u32_e32 v16, vcc, s18, v16
	v_addc_co_u32_e32 v17, vcc, v18, v17, vcc
	global_load_dwordx4 v[16:19], v[16:17], off
.LBB290_11:                             ;   in Loop: Header=BB290_5 Depth=1
	s_or_b64 exec, exec, s[2:3]
	v_mov_b32_e32 v22, 0
	v_mov_b32_e32 v23, 0
	v_cmp_gt_u32_e64 s[2:3], s28, v48
	s_and_saveexec_b64 s[4:5], s[2:3]
	s_cbranch_execz .LBB290_13
; %bb.12:                               ;   in Loop: Header=BB290_5 Depth=1
	v_add_u32_e32 v20, v49, v48
	v_ashrrev_i32_e32 v21, 31, v20
	v_lshlrev_b64 v[20:21], 4, v[20:21]
	v_mov_b32_e32 v22, s13
	v_add_co_u32_e32 v20, vcc, s12, v20
	v_addc_co_u32_e32 v21, vcc, v22, v21, vcc
	global_load_dwordx4 v[20:23], v[20:21], off
.LBB290_13:                             ;   in Loop: Header=BB290_5 Depth=1
	s_or_b64 exec, exec, s[4:5]
	v_lshlrev_b64 v[27:28], 2, v[31:32]
	v_mov_b32_e32 v25, s17
	v_add_co_u32_e32 v27, vcc, s16, v27
	v_addc_co_u32_e32 v28, vcc, v25, v28, vcc
	global_load_dword v32, v[27:28], off
	s_waitcnt vmcnt(1)
	v_mul_f64 v[27:28], v[10:11], -v[2:3]
	v_mul_f64 v[29:30], v[10:11], v[0:1]
	v_cmp_ne_u32_e32 vcc, s27, v48
	v_add_u32_e32 v25, s29, v31
	v_add_u32_e32 v31, s30, v31
	s_waitcnt vmcnt(0)
	v_cmp_ne_u32_e64 s[4:5], 1, v32
	s_and_b64 s[4:5], vcc, s[4:5]
	s_and_saveexec_b64 s[6:7], s[4:5]
	s_xor_b64 s[22:23], exec, s[6:7]
	s_cbranch_execz .LBB290_17
; %bb.14:                               ;   in Loop: Header=BB290_5 Depth=1
	v_mul_f64 v[32:33], v[4:5], v[14:15]
	v_mul_f64 v[34:35], v[14:15], -v[6:7]
	v_fma_f64 v[29:30], v[2:3], v[8:9], v[29:30]
	v_fma_f64 v[27:28], v[0:1], v[8:9], v[27:28]
	v_lshlrev_b64 v[39:40], 4, v[25:26]
	v_mov_b32_e32 v53, s9
	v_add_u32_e32 v54, v47, v48
	v_add_u32_e32 v25, s29, v54
	v_fma_f64 v[32:33], v[6:7], v[12:13], v[32:33]
	v_fma_f64 v[34:35], v[4:5], v[12:13], v[34:35]
	v_mov_b32_e32 v58, s9
	v_mov_b32_e32 v57, s9
	;; [unrolled: 1-line block ×3, first 2 shown]
	v_add_f64 v[29:30], v[32:33], -v[29:30]
	v_add_f64 v[27:28], v[34:35], -v[27:28]
	v_mul_f64 v[32:33], v[29:30], v[29:30]
	v_fma_f64 v[35:36], v[27:28], v[27:28], v[32:33]
	v_mov_b32_e32 v32, v26
	v_lshlrev_b64 v[43:44], 4, v[31:32]
	v_div_scale_f64 v[41:42], s[4:5], v[35:36], v[35:36], 1.0
	v_div_scale_f64 v[45:46], vcc, 1.0, v[35:36], 1.0
	v_add_co_u32_e64 v55, s[4:5], s8, v39
	v_addc_co_u32_e64 v56, s[4:5], v53, v40, s[4:5]
	v_lshlrev_b64 v[39:40], 4, v[25:26]
	v_add_u32_e32 v25, s30, v54
	v_add_co_u32_e64 v61, s[6:7], s8, v39
	v_addc_co_u32_e64 v62, s[6:7], v58, v40, s[6:7]
	v_add_co_u32_e64 v59, s[4:5], s8, v43
	v_rcp_f64_e32 v[33:34], v[41:42]
	v_addc_co_u32_e64 v60, s[4:5], v57, v44, s[4:5]
	v_lshlrev_b64 v[43:44], 4, v[25:26]
	v_add_co_u32_e64 v63, s[4:5], s8, v43
	v_addc_co_u32_e64 v64, s[4:5], v64, v44, s[4:5]
	v_fma_f64 v[37:38], -v[41:42], v[33:34], 1.0
	v_fma_f64 v[37:38], v[33:34], v[37:38], v[33:34]
	global_load_dwordx4 v[31:34], v[55:56], off
	v_fma_f64 v[51:52], -v[41:42], v[37:38], 1.0
	v_fma_f64 v[51:52], v[37:38], v[51:52], v[37:38]
	global_load_dwordx4 v[37:40], v[61:62], off
	v_mul_f64 v[53:54], v[45:46], v[51:52]
	v_fma_f64 v[45:46], -v[41:42], v[53:54], v[45:46]
	global_load_dwordx4 v[41:44], v[59:60], off
	v_div_fmas_f64 v[45:46], v[45:46], v[51:52], v[53:54]
	global_load_dwordx4 v[51:54], v[63:64], off
	v_div_fixup_f64 v[35:36], v[45:46], v[35:36], 1.0
	v_fma_f64 v[45:46], v[27:28], 0, -v[29:30]
	v_fma_f64 v[27:28], v[29:30], 0, v[27:28]
	v_mul_f64 v[29:30], v[45:46], v[35:36]
	v_mul_f64 v[27:28], v[27:28], v[35:36]
	s_waitcnt vmcnt(3)
	v_mul_f64 v[35:36], v[29:30], -v[33:34]
	v_mul_f64 v[45:46], v[29:30], v[31:32]
	v_fma_f64 v[31:32], v[31:32], v[27:28], v[35:36]
	v_fma_f64 v[35:36], v[33:34], v[27:28], v[45:46]
	s_waitcnt vmcnt(2)
	v_mul_f64 v[33:34], v[29:30], -v[39:40]
	v_mul_f64 v[45:46], v[29:30], v[37:38]
	v_fma_f64 v[33:34], v[37:38], v[27:28], v[33:34]
	v_fma_f64 v[37:38], v[39:40], v[27:28], v[45:46]
	;; [unrolled: 5-line block ×3, first 2 shown]
	s_waitcnt vmcnt(0)
	v_mul_f64 v[41:42], v[29:30], -v[53:54]
	v_mul_f64 v[45:46], v[29:30], v[51:52]
	v_mul_f64 v[57:58], v[43:44], -v[14:15]
	v_fma_f64 v[41:42], v[51:52], v[27:28], v[41:42]
	v_mul_f64 v[51:52], v[35:36], -v[14:15]
	v_fma_f64 v[45:46], v[53:54], v[27:28], v[45:46]
	v_mul_f64 v[53:54], v[12:13], v[35:36]
	v_fma_f64 v[57:58], v[12:13], v[39:40], v[57:58]
	v_fma_f64 v[51:52], v[12:13], v[31:32], v[51:52]
	v_mul_f64 v[12:13], v[12:13], v[43:44]
	v_fma_f64 v[53:54], v[14:15], v[31:32], v[53:54]
	v_fma_f64 v[65:66], v[14:15], v[39:40], v[12:13]
	v_mul_f64 v[12:13], v[37:38], -v[10:11]
	v_mul_f64 v[14:15], v[8:9], v[37:38]
	v_fma_f64 v[12:13], v[8:9], v[33:34], v[12:13]
	v_fma_f64 v[14:15], v[10:11], v[33:34], v[14:15]
	v_add_f64 v[12:13], v[51:52], -v[12:13]
	v_mul_f64 v[51:52], v[45:46], -v[10:11]
	v_add_f64 v[14:15], v[53:54], -v[14:15]
	v_mul_f64 v[53:54], v[35:36], -v[0:1]
	v_fma_f64 v[51:52], v[8:9], v[41:42], v[51:52]
	v_mul_f64 v[8:9], v[8:9], v[45:46]
	global_store_dwordx4 v[55:56], v[12:15], off
	v_mul_f64 v[55:56], v[37:38], -v[6:7]
	v_mul_f64 v[14:15], v[2:3], v[35:36]
	v_fma_f64 v[53:54], -v[2:3], v[31:32], v[53:54]
	v_fma_f64 v[8:9], v[10:11], v[41:42], v[8:9]
	v_add_f64 v[10:11], v[57:58], -v[51:52]
	v_fma_f64 v[51:52], v[4:5], v[33:34], v[55:56]
	v_fma_f64 v[14:15], -v[0:1], v[31:32], v[14:15]
	v_mul_f64 v[55:56], v[2:3], v[43:44]
	v_mul_f64 v[57:58], v[4:5], v[45:46]
	v_add_f64 v[12:13], v[65:66], -v[8:9]
	v_mul_f64 v[8:9], v[4:5], v[37:38]
	v_add_f64 v[51:52], v[14:15], v[51:52]
	v_mul_f64 v[14:15], v[45:46], -v[6:7]
	v_fma_f64 v[55:56], -v[0:1], v[39:40], v[55:56]
	v_fma_f64 v[57:58], v[6:7], v[41:42], v[57:58]
	global_store_dwordx4 v[59:60], v[10:13], off
	v_fma_f64 v[8:9], v[6:7], v[33:34], v[8:9]
	v_mov_b32_e32 v10, 0
	v_mov_b32_e32 v11, 0
	v_fma_f64 v[14:15], v[4:5], v[41:42], v[14:15]
	v_add_f64 v[53:54], v[53:54], v[8:9]
	v_mul_f64 v[8:9], v[43:44], -v[0:1]
	v_add_f64 v[55:56], v[55:56], v[14:15]
	v_fma_f64 v[8:9], -v[2:3], v[39:40], v[8:9]
	v_add_f64 v[57:58], v[8:9], v[57:58]
	v_mov_b32_e32 v8, 0
	v_mov_b32_e32 v9, 0
	global_store_dwordx4 v[61:62], v[51:54], off
	global_store_dwordx4 v[63:64], v[55:58], off
	s_and_saveexec_b64 s[4:5], s[2:3]
	s_cbranch_execz .LBB290_16
; %bb.15:                               ;   in Loop: Header=BB290_5 Depth=1
	v_add_u32_e32 v51, v49, v48
	v_add_u32_e32 v25, s29, v51
	v_lshlrev_b64 v[8:9], 4, v[25:26]
	v_mov_b32_e32 v10, s9
	v_add_co_u32_e32 v55, vcc, s8, v8
	v_add_u32_e32 v25, s30, v51
	v_addc_co_u32_e32 v56, vcc, v10, v9, vcc
	v_lshlrev_b64 v[8:9], 4, v[25:26]
	v_ashrrev_i32_e32 v52, 31, v51
	v_add_co_u32_e32 v57, vcc, s8, v8
	v_lshlrev_b64 v[51:52], 4, v[51:52]
	v_addc_co_u32_e32 v58, vcc, v10, v9, vcc
	v_mov_b32_e32 v25, s15
	v_add_co_u32_e32 v51, vcc, s14, v51
	v_addc_co_u32_e32 v52, vcc, v25, v52, vcc
	global_load_dwordx4 v[8:11], v[55:56], off
	global_load_dwordx4 v[12:15], v[57:58], off
	v_mul_f64 v[59:60], v[22:23], -v[0:1]
	global_load_dwordx4 v[51:54], v[51:52], off
	v_mul_f64 v[61:62], v[2:3], v[22:23]
	v_mul_f64 v[63:64], v[4:5], v[22:23]
	v_mul_f64 v[65:66], v[22:23], -v[6:7]
	v_mul_f64 v[67:68], v[6:7], -v[22:23]
	v_mul_f64 v[69:70], v[6:7], v[20:21]
	v_fma_f64 v[2:3], -v[2:3], v[20:21], v[59:60]
	v_fma_f64 v[0:1], -v[0:1], v[20:21], v[61:62]
	v_fma_f64 v[6:7], v[6:7], v[20:21], v[63:64]
	v_fma_f64 v[59:60], v[4:5], v[20:21], v[65:66]
	v_fma_f64 v[20:21], v[20:21], v[4:5], v[67:68]
	v_fma_f64 v[4:5], v[22:23], v[4:5], v[69:70]
	v_mul_f64 v[22:23], v[2:3], v[35:36]
	v_mul_f64 v[65:66], v[2:3], v[43:44]
	v_mul_f64 v[35:36], v[35:36], -v[0:1]
	v_mul_f64 v[61:62], v[37:38], -v[6:7]
	v_mul_f64 v[37:38], v[59:60], v[37:38]
	v_mul_f64 v[63:64], v[18:19], v[20:21]
	v_mul_f64 v[18:19], v[18:19], -v[4:5]
	v_mul_f64 v[43:44], v[43:44], -v[0:1]
	;; [unrolled: 1-line block ×3, first 2 shown]
	v_mul_f64 v[45:46], v[59:60], v[45:46]
	v_fma_f64 v[22:23], -v[0:1], v[31:32], v[22:23]
	v_fma_f64 v[31:32], -v[2:3], v[31:32], v[35:36]
	;; [unrolled: 1-line block ×3, first 2 shown]
	v_fma_f64 v[4:5], v[4:5], v[16:17], v[63:64]
	v_fma_f64 v[16:17], v[20:21], v[16:17], v[18:19]
	;; [unrolled: 1-line block ×4, first 2 shown]
	v_fma_f64 v[2:3], -v[2:3], v[39:40], v[43:44]
	v_fma_f64 v[33:34], v[59:60], v[41:42], v[67:68]
	v_fma_f64 v[6:7], v[6:7], v[41:42], v[45:46]
	v_mul_f64 v[35:36], v[29:30], -v[4:5]
	v_mul_f64 v[29:30], v[29:30], v[16:17]
	v_add_f64 v[18:19], v[22:23], -v[18:19]
	v_add_f64 v[20:21], v[31:32], -v[20:21]
	;; [unrolled: 1-line block ×4, first 2 shown]
	v_fma_f64 v[16:17], v[16:17], v[27:28], v[35:36]
	v_fma_f64 v[27:28], v[4:5], v[27:28], v[29:30]
	s_waitcnt vmcnt(2)
	v_add_f64 v[0:1], v[18:19], v[8:9]
	v_add_f64 v[2:3], v[20:21], v[10:11]
	s_waitcnt vmcnt(1)
	v_add_f64 v[4:5], v[22:23], v[12:13]
	s_waitcnt vmcnt(0)
	v_add_f64 v[10:11], v[51:52], -v[16:17]
	v_add_f64 v[8:9], v[53:54], -v[27:28]
	v_add_f64 v[6:7], v[6:7], v[14:15]
	global_store_dwordx4 v[55:56], v[0:3], off
	global_store_dwordx4 v[57:58], v[4:7], off
.LBB290_16:                             ;   in Loop: Header=BB290_5 Depth=1
	s_or_b64 exec, exec, s[4:5]
	v_mov_b32_e32 v6, v8
	v_mov_b32_e32 v4, v10
	;; [unrolled: 1-line block ×4, first 2 shown]
                                        ; implicit-def: $vgpr0_vgpr1
                                        ; implicit-def: $vgpr12_vgpr13
                                        ; implicit-def: $vgpr8_vgpr9
                                        ; implicit-def: $vgpr27_vgpr28
                                        ; implicit-def: $vgpr29_vgpr30
                                        ; implicit-def: $vgpr31
.LBB290_17:                             ;   in Loop: Header=BB290_5 Depth=1
	s_or_saveexec_b64 s[2:3], s[22:23]
	v_mov_b32_e32 v10, s28
	s_xor_b64 exec, exec, s[2:3]
	s_cbranch_execz .LBB290_4
; %bb.18:                               ;   in Loop: Header=BB290_5 Depth=1
	v_mul_f64 v[10:11], v[6:7], v[6:7]
	v_lshlrev_b64 v[16:17], 4, v[25:26]
	v_mov_b32_e32 v32, v26
	v_mov_b32_e32 v18, s9
	v_lshlrev_b64 v[31:32], 4, v[31:32]
	v_add_co_u32_e32 v35, vcc, s8, v16
	v_addc_co_u32_e32 v36, vcc, v18, v17, vcc
	v_fma_f64 v[10:11], v[4:5], v[4:5], v[10:11]
	v_mov_b32_e32 v25, s9
	v_add_co_u32_e32 v39, vcc, s8, v31
	v_addc_co_u32_e32 v40, vcc, v25, v32, vcc
	global_load_dwordx4 v[16:19], v[35:36], off
	global_load_dwordx4 v[31:34], v[39:40], off
	v_div_scale_f64 v[20:21], s[4:5], v[10:11], v[10:11], 1.0
	v_rcp_f64_e32 v[22:23], v[20:21]
	v_fma_f64 v[37:38], -v[20:21], v[22:23], 1.0
	v_fma_f64 v[22:23], v[22:23], v[37:38], v[22:23]
	v_div_scale_f64 v[37:38], vcc, 1.0, v[10:11], 1.0
	v_fma_f64 v[41:42], -v[20:21], v[22:23], 1.0
	v_fma_f64 v[22:23], v[22:23], v[41:42], v[22:23]
	v_mul_f64 v[41:42], v[37:38], v[22:23]
	v_fma_f64 v[20:21], -v[20:21], v[41:42], v[37:38]
	v_div_fmas_f64 v[20:21], v[20:21], v[22:23], v[41:42]
	v_fma_f64 v[22:23], v[4:5], 0, -v[6:7]
	v_fma_f64 v[4:5], v[6:7], 0, v[4:5]
	v_div_fixup_f64 v[10:11], v[20:21], v[10:11], 1.0
	v_mul_f64 v[20:21], v[22:23], v[10:11]
	v_mul_f64 v[10:11], v[4:5], v[10:11]
	s_waitcnt vmcnt(1)
	v_mul_f64 v[4:5], v[20:21], -v[18:19]
	v_mul_f64 v[6:7], v[20:21], v[16:17]
	s_waitcnt vmcnt(0)
	v_mul_f64 v[22:23], v[20:21], -v[33:34]
	v_mul_f64 v[37:38], v[20:21], v[31:32]
	v_fma_f64 v[16:17], v[16:17], v[10:11], v[4:5]
	v_fma_f64 v[18:19], v[18:19], v[10:11], v[6:7]
	;; [unrolled: 1-line block ×4, first 2 shown]
	global_store_dwordx4 v[35:36], v[16:19], off
	global_store_dwordx4 v[39:40], v[4:7], off
	s_and_saveexec_b64 s[4:5], s[0:1]
	s_cbranch_execz .LBB290_3
; %bb.19:                               ;   in Loop: Header=BB290_5 Depth=1
	v_add_u32_e32 v35, v47, v48
	v_add_u32_e32 v25, s29, v35
	v_lshlrev_b64 v[22:23], 4, v[25:26]
	v_mov_b32_e32 v25, s9
	v_add_co_u32_e32 v22, vcc, s8, v22
	v_addc_co_u32_e32 v23, vcc, v25, v23, vcc
	v_add_u32_e32 v25, s30, v35
	v_lshlrev_b64 v[35:36], 4, v[25:26]
	v_mov_b32_e32 v25, s9
	v_add_co_u32_e32 v39, vcc, s8, v35
	global_load_dwordx4 v[31:34], v[22:23], off
	v_addc_co_u32_e32 v40, vcc, v25, v36, vcc
	global_load_dwordx4 v[35:38], v[39:40], off
	s_waitcnt vmcnt(1)
	v_fma_f64 v[31:32], -v[0:1], v[16:17], v[31:32]
	v_fma_f64 v[33:34], -v[2:3], v[16:17], v[33:34]
	s_waitcnt vmcnt(0)
	v_fma_f64 v[35:36], -v[0:1], v[4:5], v[35:36]
	v_fma_f64 v[37:38], -v[2:3], v[4:5], v[37:38]
	v_fma_f64 v[16:17], v[2:3], v[18:19], v[31:32]
	v_fma_f64 v[18:19], -v[0:1], v[18:19], v[33:34]
	v_fma_f64 v[4:5], v[2:3], v[6:7], v[35:36]
	v_fma_f64 v[6:7], -v[0:1], v[6:7], v[37:38]
	global_store_dwordx4 v[22:23], v[16:19], off
	global_store_dwordx4 v[39:40], v[4:7], off
	s_branch .LBB290_3
.LBB290_20:
	s_or_b64 exec, exec, s[20:21]
	s_branch .LBB290_22
.LBB290_21:
	v_mov_b32_e32 v48, 0
.LBB290_22:
	v_subrev_u32_e32 v2, s24, v48
	v_add_u32_e32 v0, v2, v24
	v_ashrrev_i32_e32 v1, 31, v0
	v_lshlrev_b64 v[0:1], 2, v[0:1]
	s_waitcnt lgkmcnt(0)
	v_mov_b32_e32 v3, s17
	v_add_co_u32_e32 v0, vcc, s16, v0
	v_addc_co_u32_e32 v1, vcc, v3, v1, vcc
	s_waitcnt vmcnt(0)
	buffer_wbinvl1_vol
	global_load_dword v0, v[0:1], off
	s_waitcnt vmcnt(0)
	v_mul_lo_u32 v0, v0, s24
	v_sub_u32_e32 v8, v2, v0
	v_cmp_lt_i32_e32 vcc, -1, v8
	s_and_b64 exec, exec, vcc
	s_cbranch_execz .LBB290_29
; %bb.23:
	s_lshl_b32 s4, s26, 1
	s_add_i32 s5, s4, s25
	s_lshl_b32 s6, s24, 1
	s_mov_b64 s[0:1], 0
	v_mov_b32_e32 v9, s17
	v_mov_b32_e32 v10, s11
	;; [unrolled: 1-line block ×3, first 2 shown]
	s_branch .LBB290_25
.LBB290_24:                             ;   in Loop: Header=BB290_25 Depth=1
	s_or_b64 exec, exec, s[2:3]
	v_sub_u32_e32 v8, v8, v4
	v_cmp_gt_i32_e32 vcc, 0, v8
	s_or_b64 s[0:1], vcc, s[0:1]
	s_andn2_b64 exec, exec, s[0:1]
	s_cbranch_execz .LBB290_29
.LBB290_25:                             ; =>This Inner Loop Header: Depth=1
	v_add_u32_e32 v6, v8, v24
	v_ashrrev_i32_e32 v7, 31, v6
	s_waitcnt vmcnt(0)
	v_lshlrev_b64 v[0:1], 2, v[6:7]
	v_add_co_u32_e32 v0, vcc, s16, v0
	v_addc_co_u32_e32 v1, vcc, v9, v1, vcc
	global_load_dword v4, v[0:1], off
	v_lshlrev_b64 v[0:1], 4, v[6:7]
	v_add_co_u32_e32 v0, vcc, s10, v0
	v_addc_co_u32_e32 v1, vcc, v10, v1, vcc
	global_load_dwordx4 v[0:3], v[0:1], off
	s_waitcnt vmcnt(1)
	v_cmp_ne_u32_e32 vcc, 1, v4
	s_and_saveexec_b64 s[2:3], vcc
	s_xor_b64 s[2:3], exec, s[2:3]
	s_cbranch_execz .LBB290_27
; %bb.26:                               ;   in Loop: Header=BB290_25 Depth=1
	v_add_u32_e32 v7, v47, v8
	v_add_u32_e32 v4, s4, v7
	v_lshlrev_b64 v[11:12], 4, v[4:5]
	v_mov_b32_e32 v4, s9
	v_add_co_u32_e32 v11, vcc, s8, v11
	v_addc_co_u32_e32 v12, vcc, v4, v12, vcc
	v_add_u32_e32 v4, s5, v7
	v_lshlrev_b64 v[19:20], 4, v[4:5]
	v_add_u32_e32 v4, s4, v6
	v_lshlrev_b64 v[15:16], 4, v[4:5]
	v_mov_b32_e32 v4, s9
	v_add_co_u32_e32 v25, vcc, s8, v15
	v_addc_co_u32_e32 v26, vcc, v4, v16, vcc
	global_load_dwordx4 v[11:14], v[11:12], off
	v_add_co_u32_e32 v19, vcc, s8, v19
	global_load_dwordx4 v[15:18], v[25:26], off
	v_addc_co_u32_e32 v20, vcc, v4, v20, vcc
	global_load_dwordx4 v[19:22], v[19:20], off
	v_add_u32_e32 v4, s5, v6
	v_lshlrev_b64 v[6:7], 4, v[4:5]
	v_mov_b32_e32 v23, s9
	v_add_co_u32_e32 v6, vcc, s8, v6
	v_addc_co_u32_e32 v7, vcc, v23, v7, vcc
	v_subrev_u32_e32 v4, s24, v8
	v_mov_b32_e32 v23, s11
	v_mov_b32_e32 v28, s9
	s_waitcnt vmcnt(1)
	v_fma_f64 v[15:16], -v[0:1], v[11:12], v[15:16]
	v_fma_f64 v[17:18], -v[2:3], v[11:12], v[17:18]
	v_fma_f64 v[15:16], v[2:3], v[13:14], v[15:16]
	v_fma_f64 v[17:18], -v[0:1], v[13:14], v[17:18]
	global_store_dwordx4 v[25:26], v[15:18], off
	global_load_dwordx4 v[15:18], v[6:7], off
	v_add_u32_e32 v25, v4, v24
	v_ashrrev_i32_e32 v26, 31, v25
	v_lshlrev_b64 v[26:27], 4, v[25:26]
	v_add_u32_e32 v4, s4, v25
	v_add_co_u32_e32 v26, vcc, s10, v26
	v_addc_co_u32_e32 v27, vcc, v23, v27, vcc
	s_waitcnt vmcnt(0)
	v_fma_f64 v[15:16], -v[0:1], v[19:20], v[15:16]
	v_fma_f64 v[17:18], -v[2:3], v[19:20], v[17:18]
	v_fma_f64 v[15:16], v[2:3], v[21:22], v[15:16]
	v_fma_f64 v[17:18], -v[0:1], v[21:22], v[17:18]
	global_load_dwordx4 v[0:3], v[26:27], off
	v_lshlrev_b64 v[26:27], 4, v[4:5]
	v_add_u32_e32 v4, s5, v25
	v_add_co_u32_e32 v26, vcc, s8, v26
	v_addc_co_u32_e32 v27, vcc, v28, v27, vcc
	global_store_dwordx4 v[6:7], v[15:18], off
	global_load_dwordx4 v[15:18], v[26:27], off
	s_waitcnt vmcnt(0)
	v_fma_f64 v[6:7], -v[0:1], v[11:12], v[15:16]
	v_fma_f64 v[15:16], -v[2:3], v[11:12], v[17:18]
	v_fma_f64 v[11:12], v[2:3], v[13:14], v[6:7]
	v_fma_f64 v[13:14], -v[0:1], v[13:14], v[15:16]
	v_lshlrev_b64 v[6:7], 4, v[4:5]
	v_mov_b32_e32 v15, s9
	v_add_co_u32_e32 v6, vcc, s8, v6
	v_addc_co_u32_e32 v7, vcc, v15, v7, vcc
	global_store_dwordx4 v[26:27], v[11:14], off
	global_load_dwordx4 v[11:14], v[6:7], off
	s_waitcnt vmcnt(0)
	v_fma_f64 v[11:12], -v[0:1], v[19:20], v[11:12]
	v_fma_f64 v[13:14], -v[2:3], v[19:20], v[13:14]
	v_fma_f64 v[11:12], v[2:3], v[21:22], v[11:12]
	v_fma_f64 v[13:14], -v[0:1], v[21:22], v[13:14]
                                        ; implicit-def: $vgpr0_vgpr1
	global_store_dwordx4 v[6:7], v[11:14], off
                                        ; implicit-def: $vgpr6
.LBB290_27:                             ;   in Loop: Header=BB290_25 Depth=1
	s_or_saveexec_b64 s[2:3], s[2:3]
	v_mov_b32_e32 v4, s6
	s_xor_b64 exec, exec, s[2:3]
	s_cbranch_execz .LBB290_24
; %bb.28:                               ;   in Loop: Header=BB290_25 Depth=1
	v_add_u32_e32 v7, v47, v8
	v_add_u32_e32 v4, s4, v7
	v_lshlrev_b64 v[11:12], 4, v[4:5]
	v_mov_b32_e32 v4, s9
	v_add_co_u32_e32 v19, vcc, s8, v11
	v_addc_co_u32_e32 v20, vcc, v4, v12, vcc
	v_add_u32_e32 v4, s4, v6
	v_lshlrev_b64 v[11:12], 4, v[4:5]
	v_mov_b32_e32 v4, s9
	v_add_co_u32_e32 v21, vcc, s8, v11
	v_addc_co_u32_e32 v22, vcc, v4, v12, vcc
	global_load_dwordx4 v[11:14], v[19:20], off
	global_load_dwordx4 v[15:18], v[21:22], off
	v_add_u32_e32 v4, s5, v7
	v_lshlrev_b64 v[19:20], 4, v[4:5]
	v_add_u32_e32 v4, s5, v6
	v_mov_b32_e32 v23, s9
	v_lshlrev_b64 v[6:7], 4, v[4:5]
	v_add_co_u32_e32 v19, vcc, s8, v19
	v_addc_co_u32_e32 v20, vcc, v23, v20, vcc
	v_mov_b32_e32 v25, s9
	v_add_co_u32_e32 v6, vcc, s8, v6
	v_addc_co_u32_e32 v7, vcc, v25, v7, vcc
	v_mov_b32_e32 v4, s24
	s_waitcnt vmcnt(0)
	v_fma_f64 v[15:16], -v[0:1], v[11:12], v[15:16]
	v_fma_f64 v[17:18], -v[2:3], v[11:12], v[17:18]
	v_fma_f64 v[11:12], v[2:3], v[13:14], v[15:16]
	v_fma_f64 v[13:14], -v[0:1], v[13:14], v[17:18]
	global_store_dwordx4 v[21:22], v[11:14], off
	global_load_dwordx4 v[11:14], v[19:20], off
	s_nop 0
	global_load_dwordx4 v[15:18], v[6:7], off
	s_waitcnt vmcnt(0)
	v_fma_f64 v[15:16], -v[0:1], v[11:12], v[15:16]
	v_fma_f64 v[17:18], -v[2:3], v[11:12], v[17:18]
	v_fma_f64 v[11:12], v[2:3], v[13:14], v[15:16]
	v_fma_f64 v[13:14], -v[0:1], v[13:14], v[17:18]
	global_store_dwordx4 v[6:7], v[11:14], off
	s_branch .LBB290_24
.LBB290_29:
	s_endpgm
	.section	.rodata,"a",@progbits
	.p2align	6, 0x0
	.amdhsa_kernel _ZN9rocsparseL19gtsv_LBM_rhs_kernelILj256ELj4ELj2E21rocsparse_complex_numIdEEEviiiPKT2_S5_S5_PS3_S5_PKi
		.amdhsa_group_segment_fixed_size 0
		.amdhsa_private_segment_fixed_size 0
		.amdhsa_kernarg_size 64
		.amdhsa_user_sgpr_count 6
		.amdhsa_user_sgpr_private_segment_buffer 1
		.amdhsa_user_sgpr_dispatch_ptr 0
		.amdhsa_user_sgpr_queue_ptr 0
		.amdhsa_user_sgpr_kernarg_segment_ptr 1
		.amdhsa_user_sgpr_dispatch_id 0
		.amdhsa_user_sgpr_flat_scratch_init 0
		.amdhsa_user_sgpr_private_segment_size 0
		.amdhsa_uses_dynamic_stack 0
		.amdhsa_system_sgpr_private_segment_wavefront_offset 0
		.amdhsa_system_sgpr_workgroup_id_x 1
		.amdhsa_system_sgpr_workgroup_id_y 1
		.amdhsa_system_sgpr_workgroup_id_z 0
		.amdhsa_system_sgpr_workgroup_info 0
		.amdhsa_system_vgpr_workitem_id 0
		.amdhsa_next_free_vgpr 71
		.amdhsa_next_free_sgpr 31
		.amdhsa_reserve_vcc 1
		.amdhsa_reserve_flat_scratch 0
		.amdhsa_float_round_mode_32 0
		.amdhsa_float_round_mode_16_64 0
		.amdhsa_float_denorm_mode_32 3
		.amdhsa_float_denorm_mode_16_64 3
		.amdhsa_dx10_clamp 1
		.amdhsa_ieee_mode 1
		.amdhsa_fp16_overflow 0
		.amdhsa_exception_fp_ieee_invalid_op 0
		.amdhsa_exception_fp_denorm_src 0
		.amdhsa_exception_fp_ieee_div_zero 0
		.amdhsa_exception_fp_ieee_overflow 0
		.amdhsa_exception_fp_ieee_underflow 0
		.amdhsa_exception_fp_ieee_inexact 0
		.amdhsa_exception_int_div_zero 0
	.end_amdhsa_kernel
	.section	.text._ZN9rocsparseL19gtsv_LBM_rhs_kernelILj256ELj4ELj2E21rocsparse_complex_numIdEEEviiiPKT2_S5_S5_PS3_S5_PKi,"axG",@progbits,_ZN9rocsparseL19gtsv_LBM_rhs_kernelILj256ELj4ELj2E21rocsparse_complex_numIdEEEviiiPKT2_S5_S5_PS3_S5_PKi,comdat
.Lfunc_end290:
	.size	_ZN9rocsparseL19gtsv_LBM_rhs_kernelILj256ELj4ELj2E21rocsparse_complex_numIdEEEviiiPKT2_S5_S5_PS3_S5_PKi, .Lfunc_end290-_ZN9rocsparseL19gtsv_LBM_rhs_kernelILj256ELj4ELj2E21rocsparse_complex_numIdEEEviiiPKT2_S5_S5_PS3_S5_PKi
                                        ; -- End function
	.set _ZN9rocsparseL19gtsv_LBM_rhs_kernelILj256ELj4ELj2E21rocsparse_complex_numIdEEEviiiPKT2_S5_S5_PS3_S5_PKi.num_vgpr, 71
	.set _ZN9rocsparseL19gtsv_LBM_rhs_kernelILj256ELj4ELj2E21rocsparse_complex_numIdEEEviiiPKT2_S5_S5_PS3_S5_PKi.num_agpr, 0
	.set _ZN9rocsparseL19gtsv_LBM_rhs_kernelILj256ELj4ELj2E21rocsparse_complex_numIdEEEviiiPKT2_S5_S5_PS3_S5_PKi.numbered_sgpr, 31
	.set _ZN9rocsparseL19gtsv_LBM_rhs_kernelILj256ELj4ELj2E21rocsparse_complex_numIdEEEviiiPKT2_S5_S5_PS3_S5_PKi.num_named_barrier, 0
	.set _ZN9rocsparseL19gtsv_LBM_rhs_kernelILj256ELj4ELj2E21rocsparse_complex_numIdEEEviiiPKT2_S5_S5_PS3_S5_PKi.private_seg_size, 0
	.set _ZN9rocsparseL19gtsv_LBM_rhs_kernelILj256ELj4ELj2E21rocsparse_complex_numIdEEEviiiPKT2_S5_S5_PS3_S5_PKi.uses_vcc, 1
	.set _ZN9rocsparseL19gtsv_LBM_rhs_kernelILj256ELj4ELj2E21rocsparse_complex_numIdEEEviiiPKT2_S5_S5_PS3_S5_PKi.uses_flat_scratch, 0
	.set _ZN9rocsparseL19gtsv_LBM_rhs_kernelILj256ELj4ELj2E21rocsparse_complex_numIdEEEviiiPKT2_S5_S5_PS3_S5_PKi.has_dyn_sized_stack, 0
	.set _ZN9rocsparseL19gtsv_LBM_rhs_kernelILj256ELj4ELj2E21rocsparse_complex_numIdEEEviiiPKT2_S5_S5_PS3_S5_PKi.has_recursion, 0
	.set _ZN9rocsparseL19gtsv_LBM_rhs_kernelILj256ELj4ELj2E21rocsparse_complex_numIdEEEviiiPKT2_S5_S5_PS3_S5_PKi.has_indirect_call, 0
	.section	.AMDGPU.csdata,"",@progbits
; Kernel info:
; codeLenInByte = 3392
; TotalNumSgprs: 35
; NumVgprs: 71
; ScratchSize: 0
; MemoryBound: 1
; FloatMode: 240
; IeeeMode: 1
; LDSByteSize: 0 bytes/workgroup (compile time only)
; SGPRBlocks: 4
; VGPRBlocks: 17
; NumSGPRsForWavesPerEU: 35
; NumVGPRsForWavesPerEU: 71
; Occupancy: 3
; WaveLimiterHint : 0
; COMPUTE_PGM_RSRC2:SCRATCH_EN: 0
; COMPUTE_PGM_RSRC2:USER_SGPR: 6
; COMPUTE_PGM_RSRC2:TRAP_HANDLER: 0
; COMPUTE_PGM_RSRC2:TGID_X_EN: 1
; COMPUTE_PGM_RSRC2:TGID_Y_EN: 1
; COMPUTE_PGM_RSRC2:TGID_Z_EN: 0
; COMPUTE_PGM_RSRC2:TIDIG_COMP_CNT: 0
	.section	.text._ZN9rocsparseL19gtsv_LBM_rhs_kernelILj256ELj4ELj1E21rocsparse_complex_numIdEEEviiiPKT2_S5_S5_PS3_S5_PKi,"axG",@progbits,_ZN9rocsparseL19gtsv_LBM_rhs_kernelILj256ELj4ELj1E21rocsparse_complex_numIdEEEviiiPKT2_S5_S5_PS3_S5_PKi,comdat
	.globl	_ZN9rocsparseL19gtsv_LBM_rhs_kernelILj256ELj4ELj1E21rocsparse_complex_numIdEEEviiiPKT2_S5_S5_PS3_S5_PKi ; -- Begin function _ZN9rocsparseL19gtsv_LBM_rhs_kernelILj256ELj4ELj1E21rocsparse_complex_numIdEEEviiiPKT2_S5_S5_PS3_S5_PKi
	.p2align	8
	.type	_ZN9rocsparseL19gtsv_LBM_rhs_kernelILj256ELj4ELj1E21rocsparse_complex_numIdEEEviiiPKT2_S5_S5_PS3_S5_PKi,@function
_ZN9rocsparseL19gtsv_LBM_rhs_kernelILj256ELj4ELj1E21rocsparse_complex_numIdEEEviiiPKT2_S5_S5_PS3_S5_PKi: ; @_ZN9rocsparseL19gtsv_LBM_rhs_kernelILj256ELj4ELj1E21rocsparse_complex_numIdEEEviiiPKT2_S5_S5_PS3_S5_PKi
; %bb.0:
	s_load_dword s24, s[4:5], 0x0
	v_lshl_or_b32 v24, s6, 8, v0
	s_waitcnt lgkmcnt(0)
	s_lshr_b32 s22, s24, 2
	v_cmp_gt_i32_e32 vcc, s22, v24
	s_and_saveexec_b64 s[0:1], vcc
	s_cbranch_execz .LBB291_29
; %bb.1:
	s_load_dwordx4 s[8:11], s[4:5], 0x28
	s_load_dwordx2 s[16:17], s[4:5], 0x38
	s_cmp_lt_i32 s24, 1
	s_mul_i32 s23, s24, s7
	s_cbranch_scc1 .LBB291_21
; %bb.2:
	s_load_dwordx4 s[12:15], s[4:5], 0x10
	s_load_dwordx2 s[6:7], s[4:5], 0x20
	v_ashrrev_i32_e32 v25, 31, v24
	v_lshlrev_b64 v[0:1], 4, v[24:25]
	v_add_u32_e32 v40, s22, v24
	s_waitcnt lgkmcnt(0)
	v_mov_b32_e32 v2, s15
	v_add_co_u32_e32 v0, vcc, s14, v0
	v_addc_co_u32_e32 v1, vcc, v2, v1, vcc
	global_load_dwordx4 v[0:3], v[0:1], off
	s_mul_i32 s25, s22, 3
	s_lshl_b32 s26, s22, 1
	v_add_u32_e32 v41, s22, v40
	v_add_u32_e32 v42, s23, v40
	v_mov_b32_e32 v26, 0
	s_mov_b64 s[18:19], 0
	v_mov_b32_e32 v43, s7
	v_mov_b32_e32 v39, 0
	s_branch .LBB291_5
.LBB291_3:                              ;   in Loop: Header=BB291_5 Depth=1
	s_or_b64 exec, exec, s[4:5]
	v_fma_f64 v[0:1], v[6:7], v[8:9], v[30:31]
	v_fma_f64 v[2:3], v[4:5], v[8:9], v[28:29]
	v_mul_f64 v[4:5], v[16:17], -v[0:1]
	v_mul_f64 v[6:7], v[16:17], v[2:3]
	v_fma_f64 v[2:3], v[2:3], v[10:11], v[4:5]
	v_fma_f64 v[4:5], v[0:1], v[10:11], v[6:7]
	v_mov_b32_e32 v10, s22
	v_add_f64 v[0:1], v[12:13], -v[2:3]
	v_add_f64 v[2:3], v[14:15], -v[4:5]
.LBB291_4:                              ;   in Loop: Header=BB291_5 Depth=1
	s_or_b64 exec, exec, s[2:3]
	v_add_u32_e32 v39, v10, v39
	v_cmp_le_i32_e32 vcc, s24, v39
	s_or_b64 s[18:19], vcc, s[18:19]
	s_andn2_b64 exec, exec, s[18:19]
	s_cbranch_execz .LBB291_20
.LBB291_5:                              ; =>This Inner Loop Header: Depth=1
	v_add_u32_e32 v27, v39, v24
	v_ashrrev_i32_e32 v28, 31, v27
	v_lshlrev_b64 v[4:5], 4, v[27:28]
	v_mov_b32_e32 v12, 0
	v_add_co_u32_e32 v4, vcc, s6, v4
	v_addc_co_u32_e32 v5, vcc, v43, v5, vcc
	global_load_dwordx4 v[8:11], v[4:5], off
	v_mov_b32_e32 v4, 0
	v_mov_b32_e32 v6, 0
	v_cmp_gt_u32_e64 s[0:1], s25, v39
	v_mov_b32_e32 v13, 0
	v_mov_b32_e32 v5, 0
	;; [unrolled: 1-line block ×3, first 2 shown]
	v_add_u32_e32 v22, v40, v39
	s_and_saveexec_b64 s[2:3], s[0:1]
	s_cbranch_execz .LBB291_7
; %bb.6:                                ;   in Loop: Header=BB291_5 Depth=1
	v_ashrrev_i32_e32 v23, 31, v22
	v_lshlrev_b64 v[4:5], 4, v[22:23]
	v_mov_b32_e32 v6, s13
	v_add_co_u32_e32 v4, vcc, s12, v4
	v_addc_co_u32_e32 v5, vcc, v6, v5, vcc
	global_load_dwordx4 v[4:7], v[4:5], off
.LBB291_7:                              ;   in Loop: Header=BB291_5 Depth=1
	s_or_b64 exec, exec, s[2:3]
	v_mov_b32_e32 v14, 0
	v_mov_b32_e32 v15, 0
	s_and_saveexec_b64 s[2:3], s[0:1]
	s_cbranch_execz .LBB291_9
; %bb.8:                                ;   in Loop: Header=BB291_5 Depth=1
	v_ashrrev_i32_e32 v23, 31, v22
	v_lshlrev_b64 v[12:13], 4, v[22:23]
	v_mov_b32_e32 v14, s15
	v_add_co_u32_e32 v12, vcc, s14, v12
	v_addc_co_u32_e32 v13, vcc, v14, v13, vcc
	global_load_dwordx4 v[12:15], v[12:13], off
.LBB291_9:                              ;   in Loop: Header=BB291_5 Depth=1
	s_or_b64 exec, exec, s[2:3]
	v_mov_b32_e32 v20, 0
	v_mov_b32_e32 v16, 0
	;; [unrolled: 1-line block ×6, first 2 shown]
	s_and_saveexec_b64 s[2:3], s[0:1]
	s_cbranch_execz .LBB291_11
; %bb.10:                               ;   in Loop: Header=BB291_5 Depth=1
	v_ashrrev_i32_e32 v23, 31, v22
	v_lshlrev_b64 v[16:17], 4, v[22:23]
	v_mov_b32_e32 v18, s7
	v_add_co_u32_e32 v16, vcc, s6, v16
	v_addc_co_u32_e32 v17, vcc, v18, v17, vcc
	global_load_dwordx4 v[16:19], v[16:17], off
.LBB291_11:                             ;   in Loop: Header=BB291_5 Depth=1
	s_or_b64 exec, exec, s[2:3]
	v_mov_b32_e32 v22, 0
	v_mov_b32_e32 v23, 0
	v_cmp_gt_u32_e64 s[2:3], s26, v39
	s_and_saveexec_b64 s[4:5], s[2:3]
	s_cbranch_execz .LBB291_13
; %bb.12:                               ;   in Loop: Header=BB291_5 Depth=1
	v_add_u32_e32 v20, v41, v39
	v_ashrrev_i32_e32 v21, 31, v20
	v_lshlrev_b64 v[20:21], 4, v[20:21]
	v_mov_b32_e32 v22, s13
	v_add_co_u32_e32 v20, vcc, s12, v20
	v_addc_co_u32_e32 v21, vcc, v22, v21, vcc
	global_load_dwordx4 v[20:23], v[20:21], off
.LBB291_13:                             ;   in Loop: Header=BB291_5 Depth=1
	s_or_b64 exec, exec, s[4:5]
	v_lshlrev_b64 v[28:29], 2, v[27:28]
	v_mov_b32_e32 v25, s17
	v_add_co_u32_e32 v28, vcc, s16, v28
	v_addc_co_u32_e32 v29, vcc, v25, v29, vcc
	global_load_dword v25, v[28:29], off
	s_waitcnt vmcnt(1)
	v_mul_f64 v[28:29], v[10:11], -v[6:7]
	v_mul_f64 v[30:31], v[10:11], v[4:5]
	v_cmp_ne_u32_e32 vcc, s25, v39
	s_waitcnt vmcnt(0)
	v_cmp_ne_u32_e64 s[4:5], 1, v25
	s_and_b64 s[4:5], vcc, s[4:5]
	v_add_u32_e32 v25, s23, v27
	s_and_saveexec_b64 s[20:21], s[4:5]
	s_xor_b64 s[20:21], exec, s[20:21]
	s_cbranch_execz .LBB291_17
; %bb.14:                               ;   in Loop: Header=BB291_5 Depth=1
	v_mul_f64 v[32:33], v[0:1], v[14:15]
	v_mul_f64 v[34:35], v[14:15], -v[2:3]
	v_fma_f64 v[30:31], v[6:7], v[8:9], v[30:31]
	v_fma_f64 v[27:28], v[4:5], v[8:9], v[28:29]
	v_lshlrev_b64 v[46:47], 4, v[25:26]
	v_add_u32_e32 v25, v42, v39
	v_mov_b32_e32 v51, s9
	v_fma_f64 v[32:33], v[2:3], v[12:13], v[32:33]
	v_fma_f64 v[34:35], v[0:1], v[12:13], v[34:35]
	v_add_f64 v[29:30], v[32:33], -v[30:31]
	v_add_f64 v[27:28], v[34:35], -v[27:28]
	v_mul_f64 v[31:32], v[29:30], v[29:30]
	v_fma_f64 v[31:32], v[27:28], v[27:28], v[31:32]
	v_div_scale_f64 v[37:38], s[4:5], v[31:32], v[31:32], 1.0
	v_div_scale_f64 v[44:45], vcc, 1.0, v[31:32], 1.0
	v_add_co_u32_e64 v50, s[4:5], s8, v46
	v_addc_co_u32_e64 v51, s[4:5], v51, v47, s[4:5]
	v_rcp_f64_e32 v[33:34], v[37:38]
	v_fma_f64 v[35:36], -v[37:38], v[33:34], 1.0
	v_fma_f64 v[33:34], v[33:34], v[35:36], v[33:34]
	v_fma_f64 v[35:36], -v[37:38], v[33:34], 1.0
	v_fma_f64 v[48:49], v[33:34], v[35:36], v[33:34]
	v_lshlrev_b64 v[33:34], 4, v[25:26]
	v_mov_b32_e32 v35, s9
	v_add_co_u32_e64 v54, s[4:5], s8, v33
	v_addc_co_u32_e64 v55, s[4:5], v35, v34, s[4:5]
	global_load_dwordx4 v[33:36], v[50:51], off
	v_mul_f64 v[52:53], v[44:45], v[48:49]
	v_fma_f64 v[37:38], -v[37:38], v[52:53], v[44:45]
	global_load_dwordx4 v[44:47], v[54:55], off
	v_div_fmas_f64 v[37:38], v[37:38], v[48:49], v[52:53]
	v_fma_f64 v[48:49], v[27:28], 0, -v[29:30]
	v_fma_f64 v[29:30], v[29:30], 0, v[27:28]
	v_div_fixup_f64 v[31:32], v[37:38], v[31:32], 1.0
	v_mul_f64 v[27:28], v[48:49], v[31:32]
	v_mul_f64 v[29:30], v[29:30], v[31:32]
	s_waitcnt vmcnt(1)
	v_mul_f64 v[31:32], v[27:28], v[33:34]
	v_mul_f64 v[48:49], v[27:28], -v[35:36]
	v_fma_f64 v[31:32], v[35:36], v[29:30], v[31:32]
	v_fma_f64 v[33:34], v[33:34], v[29:30], v[48:49]
	s_waitcnt vmcnt(0)
	v_mul_f64 v[37:38], v[27:28], v[44:45]
	v_mul_f64 v[52:53], v[27:28], -v[46:47]
	v_mul_f64 v[48:49], v[12:13], v[31:32]
	v_fma_f64 v[35:36], v[46:47], v[29:30], v[37:38]
	v_mul_f64 v[46:47], v[31:32], -v[14:15]
	v_fma_f64 v[37:38], v[44:45], v[29:30], v[52:53]
	v_fma_f64 v[14:15], v[14:15], v[33:34], v[48:49]
	v_mul_f64 v[48:49], v[31:32], -v[4:5]
	v_mul_f64 v[44:45], v[35:36], -v[10:11]
	v_mul_f64 v[52:53], v[8:9], v[35:36]
	v_fma_f64 v[12:13], v[12:13], v[33:34], v[46:47]
	v_mul_f64 v[46:47], v[6:7], v[31:32]
	v_fma_f64 v[48:49], -v[6:7], v[33:34], v[48:49]
	v_fma_f64 v[8:9], v[8:9], v[37:38], v[44:45]
	v_fma_f64 v[10:11], v[10:11], v[37:38], v[52:53]
	v_mul_f64 v[44:45], v[35:36], -v[2:3]
	v_mul_f64 v[52:53], v[0:1], v[35:36]
	v_fma_f64 v[46:47], -v[4:5], v[33:34], v[46:47]
	v_add_f64 v[12:13], v[12:13], -v[8:9]
	v_add_f64 v[14:15], v[14:15], -v[10:11]
	v_fma_f64 v[44:45], v[0:1], v[37:38], v[44:45]
	v_fma_f64 v[52:53], v[2:3], v[37:38], v[52:53]
	v_mov_b32_e32 v10, 0
	v_mov_b32_e32 v8, 0
	;; [unrolled: 1-line block ×4, first 2 shown]
	v_add_f64 v[44:45], v[46:47], v[44:45]
	v_add_f64 v[46:47], v[48:49], v[52:53]
	global_store_dwordx4 v[50:51], v[12:15], off
	global_store_dwordx4 v[54:55], v[44:47], off
	s_and_saveexec_b64 s[4:5], s[2:3]
	s_cbranch_execz .LBB291_16
; %bb.15:                               ;   in Loop: Header=BB291_5 Depth=1
	v_add_u32_e32 v12, v41, v39
	v_add_u32_e32 v25, s23, v12
	v_lshlrev_b64 v[8:9], 4, v[25:26]
	v_ashrrev_i32_e32 v13, 31, v12
	v_mov_b32_e32 v10, s9
	v_add_co_u32_e32 v44, vcc, s8, v8
	v_lshlrev_b64 v[12:13], 4, v[12:13]
	v_addc_co_u32_e32 v45, vcc, v10, v9, vcc
	v_mov_b32_e32 v14, s15
	v_add_co_u32_e32 v12, vcc, s14, v12
	v_addc_co_u32_e32 v13, vcc, v14, v13, vcc
	global_load_dwordx4 v[8:11], v[44:45], off
	v_mul_f64 v[46:47], v[2:3], -v[22:23]
	global_load_dwordx4 v[12:15], v[12:13], off
	v_mul_f64 v[48:49], v[2:3], v[20:21]
	v_mul_f64 v[50:51], v[22:23], -v[4:5]
	v_mul_f64 v[52:53], v[6:7], v[22:23]
	v_mul_f64 v[54:55], v[0:1], v[22:23]
	v_mul_f64 v[56:57], v[22:23], -v[2:3]
	v_fma_f64 v[46:47], v[20:21], v[0:1], v[46:47]
	v_fma_f64 v[22:23], v[22:23], v[0:1], v[48:49]
	v_fma_f64 v[6:7], -v[6:7], v[20:21], v[50:51]
	v_fma_f64 v[4:5], -v[4:5], v[20:21], v[52:53]
	v_fma_f64 v[2:3], v[2:3], v[20:21], v[54:55]
	v_fma_f64 v[0:1], v[0:1], v[20:21], v[56:57]
	v_mul_f64 v[20:21], v[18:19], v[46:47]
	v_mul_f64 v[18:19], v[18:19], -v[22:23]
	v_mul_f64 v[48:49], v[6:7], v[31:32]
	v_mul_f64 v[31:32], v[31:32], -v[4:5]
	v_mul_f64 v[50:51], v[35:36], -v[2:3]
	v_mul_f64 v[35:36], v[0:1], v[35:36]
	v_fma_f64 v[20:21], v[22:23], v[16:17], v[20:21]
	v_fma_f64 v[16:17], v[46:47], v[16:17], v[18:19]
	v_fma_f64 v[4:5], -v[4:5], v[33:34], v[48:49]
	v_fma_f64 v[6:7], -v[6:7], v[33:34], v[31:32]
	v_fma_f64 v[0:1], v[0:1], v[37:38], v[50:51]
	v_fma_f64 v[2:3], v[2:3], v[37:38], v[35:36]
	v_mul_f64 v[18:19], v[27:28], -v[20:21]
	v_mul_f64 v[22:23], v[27:28], v[16:17]
	v_add_f64 v[0:1], v[4:5], -v[0:1]
	v_add_f64 v[2:3], v[6:7], -v[2:3]
	v_fma_f64 v[4:5], v[16:17], v[29:30], v[18:19]
	v_fma_f64 v[6:7], v[20:21], v[29:30], v[22:23]
	s_waitcnt vmcnt(1)
	v_add_f64 v[0:1], v[0:1], v[8:9]
	v_add_f64 v[2:3], v[2:3], v[10:11]
	s_waitcnt vmcnt(0)
	v_add_f64 v[8:9], v[12:13], -v[4:5]
	v_add_f64 v[10:11], v[14:15], -v[6:7]
	global_store_dwordx4 v[44:45], v[0:3], off
.LBB291_16:                             ;   in Loop: Header=BB291_5 Depth=1
	s_or_b64 exec, exec, s[4:5]
	v_mov_b32_e32 v2, v10
	v_mov_b32_e32 v0, v8
	;; [unrolled: 1-line block ×4, first 2 shown]
                                        ; implicit-def: $vgpr4_vgpr5
                                        ; implicit-def: $vgpr12_vgpr13
                                        ; implicit-def: $vgpr8_vgpr9
                                        ; implicit-def: $vgpr28_vgpr29
                                        ; implicit-def: $vgpr30_vgpr31
.LBB291_17:                             ;   in Loop: Header=BB291_5 Depth=1
	s_or_saveexec_b64 s[2:3], s[20:21]
	v_mov_b32_e32 v10, s26
	s_xor_b64 exec, exec, s[2:3]
	s_cbranch_execz .LBB291_4
; %bb.18:                               ;   in Loop: Header=BB291_5 Depth=1
	v_mul_f64 v[10:11], v[2:3], v[2:3]
	v_lshlrev_b64 v[18:19], 4, v[25:26]
	v_mov_b32_e32 v20, s9
	v_add_co_u32_e32 v32, vcc, s8, v18
	v_addc_co_u32_e32 v33, vcc, v20, v19, vcc
	global_load_dwordx4 v[18:21], v[32:33], off
	v_fma_f64 v[10:11], v[0:1], v[0:1], v[10:11]
	v_div_scale_f64 v[16:17], s[4:5], v[10:11], v[10:11], 1.0
	v_rcp_f64_e32 v[22:23], v[16:17]
	v_fma_f64 v[34:35], -v[16:17], v[22:23], 1.0
	v_fma_f64 v[22:23], v[22:23], v[34:35], v[22:23]
	v_div_scale_f64 v[34:35], vcc, 1.0, v[10:11], 1.0
	v_fma_f64 v[36:37], -v[16:17], v[22:23], 1.0
	v_fma_f64 v[22:23], v[22:23], v[36:37], v[22:23]
	v_mul_f64 v[36:37], v[34:35], v[22:23]
	v_fma_f64 v[16:17], -v[16:17], v[36:37], v[34:35]
	v_div_fmas_f64 v[16:17], v[16:17], v[22:23], v[36:37]
	v_fma_f64 v[22:23], v[0:1], 0, -v[2:3]
	v_fma_f64 v[0:1], v[2:3], 0, v[0:1]
	v_div_fixup_f64 v[10:11], v[16:17], v[10:11], 1.0
	v_mul_f64 v[16:17], v[22:23], v[10:11]
	v_mul_f64 v[10:11], v[0:1], v[10:11]
	s_waitcnt vmcnt(0)
	v_mul_f64 v[0:1], v[16:17], -v[20:21]
	v_mul_f64 v[2:3], v[16:17], v[18:19]
	v_fma_f64 v[0:1], v[18:19], v[10:11], v[0:1]
	v_fma_f64 v[2:3], v[20:21], v[10:11], v[2:3]
	global_store_dwordx4 v[32:33], v[0:3], off
	s_and_saveexec_b64 s[4:5], s[0:1]
	s_cbranch_execz .LBB291_3
; %bb.19:                               ;   in Loop: Header=BB291_5 Depth=1
	v_add_u32_e32 v25, v42, v39
	v_lshlrev_b64 v[18:19], 4, v[25:26]
	v_mov_b32_e32 v20, s9
	v_add_co_u32_e32 v22, vcc, s8, v18
	v_addc_co_u32_e32 v23, vcc, v20, v19, vcc
	global_load_dwordx4 v[18:21], v[22:23], off
	s_waitcnt vmcnt(0)
	v_fma_f64 v[18:19], -v[4:5], v[0:1], v[18:19]
	v_fma_f64 v[20:21], -v[6:7], v[0:1], v[20:21]
	v_fma_f64 v[0:1], v[6:7], v[2:3], v[18:19]
	v_fma_f64 v[2:3], -v[4:5], v[2:3], v[20:21]
	global_store_dwordx4 v[22:23], v[0:3], off
	s_branch .LBB291_3
.LBB291_20:
	s_or_b64 exec, exec, s[18:19]
	s_branch .LBB291_22
.LBB291_21:
	v_mov_b32_e32 v39, 0
.LBB291_22:
	v_subrev_u32_e32 v2, s22, v39
	v_add_u32_e32 v0, v2, v24
	v_ashrrev_i32_e32 v1, 31, v0
	v_lshlrev_b64 v[0:1], 2, v[0:1]
	s_waitcnt lgkmcnt(0)
	v_mov_b32_e32 v3, s17
	v_add_co_u32_e32 v0, vcc, s16, v0
	v_addc_co_u32_e32 v1, vcc, v3, v1, vcc
	s_waitcnt vmcnt(0)
	buffer_wbinvl1_vol
	global_load_dword v0, v[0:1], off
	s_waitcnt vmcnt(0)
	v_mul_lo_u32 v0, v0, s22
	v_sub_u32_e32 v8, v2, v0
	v_cmp_lt_i32_e32 vcc, -1, v8
	s_and_b64 exec, exec, vcc
	s_cbranch_execz .LBB291_29
; %bb.23:
	s_add_i32 s0, s23, s22
	v_add_u32_e32 v9, s0, v24
	s_lshl_b32 s4, s22, 1
	s_mov_b64 s[0:1], 0
	v_mov_b32_e32 v10, s17
	v_mov_b32_e32 v11, s11
	;; [unrolled: 1-line block ×3, first 2 shown]
	s_branch .LBB291_25
.LBB291_24:                             ;   in Loop: Header=BB291_25 Depth=1
	s_or_b64 exec, exec, s[2:3]
	v_sub_u32_e32 v8, v8, v4
	v_cmp_gt_i32_e32 vcc, 0, v8
	s_or_b64 s[0:1], vcc, s[0:1]
	s_andn2_b64 exec, exec, s[0:1]
	s_cbranch_execz .LBB291_29
.LBB291_25:                             ; =>This Inner Loop Header: Depth=1
	v_add_u32_e32 v6, v8, v24
	v_ashrrev_i32_e32 v7, 31, v6
	s_waitcnt vmcnt(0)
	v_lshlrev_b64 v[0:1], 2, v[6:7]
	v_add_co_u32_e32 v0, vcc, s16, v0
	v_addc_co_u32_e32 v1, vcc, v10, v1, vcc
	global_load_dword v4, v[0:1], off
	v_lshlrev_b64 v[0:1], 4, v[6:7]
	v_add_co_u32_e32 v0, vcc, s10, v0
	v_addc_co_u32_e32 v1, vcc, v11, v1, vcc
	global_load_dwordx4 v[0:3], v[0:1], off
	s_waitcnt vmcnt(1)
	v_cmp_ne_u32_e32 vcc, 1, v4
	s_and_saveexec_b64 s[2:3], vcc
	s_xor_b64 s[2:3], exec, s[2:3]
	s_cbranch_execz .LBB291_27
; %bb.26:                               ;   in Loop: Header=BB291_25 Depth=1
	v_add_u32_e32 v4, v9, v8
	v_lshlrev_b64 v[12:13], 4, v[4:5]
	v_mov_b32_e32 v4, s9
	v_add_co_u32_e32 v20, vcc, s8, v12
	v_addc_co_u32_e32 v21, vcc, v4, v13, vcc
	v_add_u32_e32 v4, s23, v6
	v_lshlrev_b64 v[6:7], 4, v[4:5]
	v_mov_b32_e32 v4, s9
	v_add_co_u32_e32 v6, vcc, s8, v6
	v_addc_co_u32_e32 v7, vcc, v4, v7, vcc
	global_load_dwordx4 v[12:15], v[20:21], off
	global_load_dwordx4 v[16:19], v[6:7], off
	v_subrev_u32_e32 v4, s22, v8
	v_add_u32_e32 v20, v4, v24
	v_ashrrev_i32_e32 v21, 31, v20
	v_add_u32_e32 v4, s23, v20
	v_lshlrev_b64 v[20:21], 4, v[20:21]
	v_mov_b32_e32 v25, s11
	v_lshlrev_b64 v[22:23], 4, v[4:5]
	v_mov_b32_e32 v26, s9
	s_waitcnt vmcnt(0)
	v_fma_f64 v[16:17], -v[0:1], v[12:13], v[16:17]
	v_fma_f64 v[18:19], -v[2:3], v[12:13], v[18:19]
	v_fma_f64 v[16:17], v[2:3], v[14:15], v[16:17]
	v_fma_f64 v[18:19], -v[0:1], v[14:15], v[18:19]
	v_add_co_u32_e32 v0, vcc, s10, v20
	v_addc_co_u32_e32 v1, vcc, v25, v21, vcc
	v_add_co_u32_e32 v20, vcc, s8, v22
	v_addc_co_u32_e32 v21, vcc, v26, v23, vcc
	global_store_dwordx4 v[6:7], v[16:19], off
	global_load_dwordx4 v[0:3], v[0:1], off
	s_nop 0
	global_load_dwordx4 v[16:19], v[20:21], off
	s_waitcnt vmcnt(0)
	v_fma_f64 v[6:7], -v[0:1], v[12:13], v[16:17]
	v_fma_f64 v[16:17], -v[2:3], v[12:13], v[18:19]
	v_fma_f64 v[12:13], v[2:3], v[14:15], v[6:7]
	v_fma_f64 v[14:15], -v[0:1], v[14:15], v[16:17]
                                        ; implicit-def: $vgpr6
                                        ; implicit-def: $vgpr0_vgpr1
	global_store_dwordx4 v[20:21], v[12:15], off
.LBB291_27:                             ;   in Loop: Header=BB291_25 Depth=1
	s_or_saveexec_b64 s[2:3], s[2:3]
	v_mov_b32_e32 v4, s4
	s_xor_b64 exec, exec, s[2:3]
	s_cbranch_execz .LBB291_24
; %bb.28:                               ;   in Loop: Header=BB291_25 Depth=1
	v_add_u32_e32 v4, v9, v8
	v_lshlrev_b64 v[12:13], 4, v[4:5]
	v_mov_b32_e32 v4, s9
	v_add_co_u32_e32 v20, vcc, s8, v12
	v_addc_co_u32_e32 v21, vcc, v4, v13, vcc
	v_add_u32_e32 v4, s23, v6
	v_lshlrev_b64 v[6:7], 4, v[4:5]
	v_mov_b32_e32 v4, s9
	v_add_co_u32_e32 v6, vcc, s8, v6
	v_addc_co_u32_e32 v7, vcc, v4, v7, vcc
	global_load_dwordx4 v[12:15], v[20:21], off
	global_load_dwordx4 v[16:19], v[6:7], off
	v_mov_b32_e32 v4, s22
	s_waitcnt vmcnt(0)
	v_fma_f64 v[16:17], -v[0:1], v[12:13], v[16:17]
	v_fma_f64 v[18:19], -v[2:3], v[12:13], v[18:19]
	v_fma_f64 v[12:13], v[2:3], v[14:15], v[16:17]
	v_fma_f64 v[14:15], -v[0:1], v[14:15], v[18:19]
	global_store_dwordx4 v[6:7], v[12:15], off
	s_branch .LBB291_24
.LBB291_29:
	s_endpgm
	.section	.rodata,"a",@progbits
	.p2align	6, 0x0
	.amdhsa_kernel _ZN9rocsparseL19gtsv_LBM_rhs_kernelILj256ELj4ELj1E21rocsparse_complex_numIdEEEviiiPKT2_S5_S5_PS3_S5_PKi
		.amdhsa_group_segment_fixed_size 0
		.amdhsa_private_segment_fixed_size 0
		.amdhsa_kernarg_size 64
		.amdhsa_user_sgpr_count 6
		.amdhsa_user_sgpr_private_segment_buffer 1
		.amdhsa_user_sgpr_dispatch_ptr 0
		.amdhsa_user_sgpr_queue_ptr 0
		.amdhsa_user_sgpr_kernarg_segment_ptr 1
		.amdhsa_user_sgpr_dispatch_id 0
		.amdhsa_user_sgpr_flat_scratch_init 0
		.amdhsa_user_sgpr_private_segment_size 0
		.amdhsa_uses_dynamic_stack 0
		.amdhsa_system_sgpr_private_segment_wavefront_offset 0
		.amdhsa_system_sgpr_workgroup_id_x 1
		.amdhsa_system_sgpr_workgroup_id_y 1
		.amdhsa_system_sgpr_workgroup_id_z 0
		.amdhsa_system_sgpr_workgroup_info 0
		.amdhsa_system_vgpr_workitem_id 0
		.amdhsa_next_free_vgpr 58
		.amdhsa_next_free_sgpr 27
		.amdhsa_reserve_vcc 1
		.amdhsa_reserve_flat_scratch 0
		.amdhsa_float_round_mode_32 0
		.amdhsa_float_round_mode_16_64 0
		.amdhsa_float_denorm_mode_32 3
		.amdhsa_float_denorm_mode_16_64 3
		.amdhsa_dx10_clamp 1
		.amdhsa_ieee_mode 1
		.amdhsa_fp16_overflow 0
		.amdhsa_exception_fp_ieee_invalid_op 0
		.amdhsa_exception_fp_denorm_src 0
		.amdhsa_exception_fp_ieee_div_zero 0
		.amdhsa_exception_fp_ieee_overflow 0
		.amdhsa_exception_fp_ieee_underflow 0
		.amdhsa_exception_fp_ieee_inexact 0
		.amdhsa_exception_int_div_zero 0
	.end_amdhsa_kernel
	.section	.text._ZN9rocsparseL19gtsv_LBM_rhs_kernelILj256ELj4ELj1E21rocsparse_complex_numIdEEEviiiPKT2_S5_S5_PS3_S5_PKi,"axG",@progbits,_ZN9rocsparseL19gtsv_LBM_rhs_kernelILj256ELj4ELj1E21rocsparse_complex_numIdEEEviiiPKT2_S5_S5_PS3_S5_PKi,comdat
.Lfunc_end291:
	.size	_ZN9rocsparseL19gtsv_LBM_rhs_kernelILj256ELj4ELj1E21rocsparse_complex_numIdEEEviiiPKT2_S5_S5_PS3_S5_PKi, .Lfunc_end291-_ZN9rocsparseL19gtsv_LBM_rhs_kernelILj256ELj4ELj1E21rocsparse_complex_numIdEEEviiiPKT2_S5_S5_PS3_S5_PKi
                                        ; -- End function
	.set _ZN9rocsparseL19gtsv_LBM_rhs_kernelILj256ELj4ELj1E21rocsparse_complex_numIdEEEviiiPKT2_S5_S5_PS3_S5_PKi.num_vgpr, 58
	.set _ZN9rocsparseL19gtsv_LBM_rhs_kernelILj256ELj4ELj1E21rocsparse_complex_numIdEEEviiiPKT2_S5_S5_PS3_S5_PKi.num_agpr, 0
	.set _ZN9rocsparseL19gtsv_LBM_rhs_kernelILj256ELj4ELj1E21rocsparse_complex_numIdEEEviiiPKT2_S5_S5_PS3_S5_PKi.numbered_sgpr, 27
	.set _ZN9rocsparseL19gtsv_LBM_rhs_kernelILj256ELj4ELj1E21rocsparse_complex_numIdEEEviiiPKT2_S5_S5_PS3_S5_PKi.num_named_barrier, 0
	.set _ZN9rocsparseL19gtsv_LBM_rhs_kernelILj256ELj4ELj1E21rocsparse_complex_numIdEEEviiiPKT2_S5_S5_PS3_S5_PKi.private_seg_size, 0
	.set _ZN9rocsparseL19gtsv_LBM_rhs_kernelILj256ELj4ELj1E21rocsparse_complex_numIdEEEviiiPKT2_S5_S5_PS3_S5_PKi.uses_vcc, 1
	.set _ZN9rocsparseL19gtsv_LBM_rhs_kernelILj256ELj4ELj1E21rocsparse_complex_numIdEEEviiiPKT2_S5_S5_PS3_S5_PKi.uses_flat_scratch, 0
	.set _ZN9rocsparseL19gtsv_LBM_rhs_kernelILj256ELj4ELj1E21rocsparse_complex_numIdEEEviiiPKT2_S5_S5_PS3_S5_PKi.has_dyn_sized_stack, 0
	.set _ZN9rocsparseL19gtsv_LBM_rhs_kernelILj256ELj4ELj1E21rocsparse_complex_numIdEEEviiiPKT2_S5_S5_PS3_S5_PKi.has_recursion, 0
	.set _ZN9rocsparseL19gtsv_LBM_rhs_kernelILj256ELj4ELj1E21rocsparse_complex_numIdEEEviiiPKT2_S5_S5_PS3_S5_PKi.has_indirect_call, 0
	.section	.AMDGPU.csdata,"",@progbits
; Kernel info:
; codeLenInByte = 2456
; TotalNumSgprs: 31
; NumVgprs: 58
; ScratchSize: 0
; MemoryBound: 1
; FloatMode: 240
; IeeeMode: 1
; LDSByteSize: 0 bytes/workgroup (compile time only)
; SGPRBlocks: 3
; VGPRBlocks: 14
; NumSGPRsForWavesPerEU: 31
; NumVGPRsForWavesPerEU: 58
; Occupancy: 4
; WaveLimiterHint : 0
; COMPUTE_PGM_RSRC2:SCRATCH_EN: 0
; COMPUTE_PGM_RSRC2:USER_SGPR: 6
; COMPUTE_PGM_RSRC2:TRAP_HANDLER: 0
; COMPUTE_PGM_RSRC2:TGID_X_EN: 1
; COMPUTE_PGM_RSRC2:TGID_Y_EN: 1
; COMPUTE_PGM_RSRC2:TGID_Z_EN: 0
; COMPUTE_PGM_RSRC2:TIDIG_COMP_CNT: 0
	.section	.text._ZN9rocsparseL29gtsv_spike_block_level_kernelILj256ELj4E21rocsparse_complex_numIdEEEviiiPT1_PKS3_S6_S4_S4_S4_S4_S4_,"axG",@progbits,_ZN9rocsparseL29gtsv_spike_block_level_kernelILj256ELj4E21rocsparse_complex_numIdEEEviiiPT1_PKS3_S6_S4_S4_S4_S4_S4_,comdat
	.globl	_ZN9rocsparseL29gtsv_spike_block_level_kernelILj256ELj4E21rocsparse_complex_numIdEEEviiiPT1_PKS3_S6_S4_S4_S4_S4_S4_ ; -- Begin function _ZN9rocsparseL29gtsv_spike_block_level_kernelILj256ELj4E21rocsparse_complex_numIdEEEviiiPT1_PKS3_S6_S4_S4_S4_S4_S4_
	.p2align	8
	.type	_ZN9rocsparseL29gtsv_spike_block_level_kernelILj256ELj4E21rocsparse_complex_numIdEEEviiiPT1_PKS3_S6_S4_S4_S4_S4_S4_,@function
_ZN9rocsparseL29gtsv_spike_block_level_kernelILj256ELj4E21rocsparse_complex_numIdEEEviiiPT1_PKS3_S6_S4_S4_S4_S4_S4_: ; @_ZN9rocsparseL29gtsv_spike_block_level_kernelILj256ELj4E21rocsparse_complex_numIdEEEviiiPT1_PKS3_S6_S4_S4_S4_S4_S4_
; %bb.0:
	s_load_dword s12, s[4:5], 0x0
	s_load_dwordx2 s[8:9], s[4:5], 0x18
	v_lshl_or_b32 v13, s6, 8, v0
	v_mov_b32_e32 v1, 0
	v_mov_b32_e32 v5, 0
	s_waitcnt lgkmcnt(0)
	s_lshr_b32 s20, s12, 2
	v_mov_b32_e32 v7, 0
	v_mov_b32_e32 v2, 0
	;; [unrolled: 1-line block ×4, first 2 shown]
	v_cmp_gt_i32_e64 s[0:1], s20, v13
	s_and_saveexec_b64 s[2:3], s[0:1]
	s_cbranch_execz .LBB292_2
; %bb.1:
	v_ashrrev_i32_e32 v14, 31, v13
	v_lshlrev_b64 v[3:4], 4, v[13:14]
	v_mov_b32_e32 v5, s9
	v_add_co_u32_e32 v3, vcc, s8, v3
	v_addc_co_u32_e32 v4, vcc, v5, v4, vcc
	global_load_dwordx4 v[5:8], v[3:4], off
.LBB292_2:
	s_or_b64 exec, exec, s[2:3]
	s_load_dwordx2 s[2:3], s[4:5], 0x20
	v_lshlrev_b32_e32 v15, 4, v0
	v_mov_b32_e32 v3, 0
	v_or_b32_e32 v16, 0x2000, v15
	v_mov_b32_e32 v4, 0
	s_waitcnt vmcnt(0)
	ds_write_b128 v15, v[5:8] offset:8192
	s_and_saveexec_b64 s[10:11], s[0:1]
	s_cbranch_execz .LBB292_4
; %bb.3:
	v_mad_u64_u32 v[1:2], s[14:15], s20, 3, v[13:14]
	v_mov_b32_e32 v2, 0
	v_mov_b32_e32 v3, s9
	v_lshlrev_b64 v[1:2], 4, v[1:2]
	v_add_co_u32_e32 v1, vcc, s8, v1
	v_addc_co_u32_e32 v2, vcc, v3, v2, vcc
	global_load_dwordx4 v[1:4], v[1:2], off
.LBB292_4:
	s_or_b64 exec, exec, s[10:11]
	v_mov_b32_e32 v5, 0
	v_mov_b32_e32 v9, 0
	;; [unrolled: 1-line block ×6, first 2 shown]
	s_waitcnt vmcnt(0)
	ds_write_b128 v16, v[1:4] offset:4096
	s_and_saveexec_b64 s[8:9], s[0:1]
	s_cbranch_execz .LBB292_6
; %bb.5:
	v_ashrrev_i32_e32 v14, 31, v13
	v_lshlrev_b64 v[1:2], 4, v[13:14]
	s_waitcnt lgkmcnt(0)
	v_mov_b32_e32 v3, s3
	v_add_co_u32_e32 v1, vcc, s2, v1
	v_addc_co_u32_e32 v2, vcc, v3, v2, vcc
	global_load_dwordx4 v[9:12], v[1:2], off
.LBB292_6:
	s_or_b64 exec, exec, s[8:9]
	s_load_dwordx2 s[16:17], s[4:5], 0x10
	v_mov_b32_e32 v7, 0
	v_mov_b32_e32 v8, 0
	s_waitcnt vmcnt(0)
	ds_write_b128 v15, v[9:12]
	s_and_saveexec_b64 s[8:9], s[0:1]
	s_cbranch_execz .LBB292_8
; %bb.7:
	v_mad_u64_u32 v[1:2], s[10:11], s20, 3, v[13:14]
	v_mov_b32_e32 v2, 0
	s_waitcnt lgkmcnt(0)
	v_mov_b32_e32 v3, s3
	v_lshlrev_b64 v[1:2], 4, v[1:2]
	v_add_co_u32_e32 v1, vcc, s2, v1
	v_addc_co_u32_e32 v2, vcc, v3, v2, vcc
	global_load_dwordx4 v[5:8], v[1:2], off
.LBB292_8:
	s_or_b64 exec, exec, s[8:9]
	s_waitcnt vmcnt(0)
	ds_write_b128 v15, v[5:8] offset:4096
	v_mov_b32_e32 v1, 0
	s_mul_i32 s22, s12, s7
	v_mov_b32_e32 v3, 0
	v_mov_b32_e32 v5, 0
	;; [unrolled: 1-line block ×5, first 2 shown]
	v_add_u32_e32 v7, s22, v13
	s_waitcnt lgkmcnt(0)
	s_and_saveexec_b64 s[2:3], s[0:1]
	s_cbranch_execz .LBB292_10
; %bb.9:
	v_ashrrev_i32_e32 v8, 31, v7
	v_lshlrev_b64 v[3:4], 4, v[7:8]
	v_mov_b32_e32 v5, s17
	v_add_co_u32_e32 v3, vcc, s16, v3
	v_addc_co_u32_e32 v4, vcc, v5, v4, vcc
	global_load_dwordx4 v[3:6], v[3:4], off
.LBB292_10:
	s_or_b64 exec, exec, s[2:3]
	s_load_dwordx2 s[2:3], s[4:5], 0x48
	s_load_dwordx8 s[8:15], s[4:5], 0x28
	s_waitcnt vmcnt(0)
	ds_write_b128 v15, v[3:6] offset:16384
	v_mov_b32_e32 v3, 0
	v_or_b32_e32 v9, 0x4000, v15
	v_mov_b32_e32 v4, 0
	s_mul_i32 s21, s20, 3
	s_and_saveexec_b64 s[18:19], s[0:1]
	s_cbranch_execz .LBB292_12
; %bb.11:
	s_mul_i32 s23, s20, 3
	s_add_i32 s23, s23, s22
	v_add_u32_e32 v1, s23, v13
	v_mov_b32_e32 v2, 0
	v_lshlrev_b64 v[1:2], 4, v[1:2]
	v_mov_b32_e32 v3, s17
	v_add_co_u32_e32 v1, vcc, s16, v1
	v_addc_co_u32_e32 v2, vcc, v3, v2, vcc
	global_load_dwordx4 v[1:4], v[1:2], off
.LBB292_12:
	s_or_b64 exec, exec, s[18:19]
	v_add_u32_e32 v8, 0x1000, v16
	v_or_b32_e32 v6, 0x1000, v15
	v_add_u32_e32 v5, 0x1000, v9
	s_mov_b32 s22, 2
	s_waitcnt vmcnt(0)
	ds_write_b128 v9, v[1:4] offset:4096
	s_waitcnt lgkmcnt(0)
	s_barrier
	s_branch .LBB292_14
.LBB292_13:                             ;   in Loop: Header=BB292_14 Depth=1
	s_or_b64 exec, exec, s[18:19]
	s_lshl_b32 s18, s22, 1
	s_cmpk_lt_u32 s22, 0x81
	s_mov_b32 s22, s18
	s_waitcnt lgkmcnt(0)
	s_barrier
	s_cbranch_scc0 .LBB292_16
.LBB292_14:                             ; =>This Inner Loop Header: Depth=1
	s_ff1_i32_b32 s18, s22
	s_lshr_b32 s18, 0x100, s18
	v_cmp_gt_u32_e32 vcc, s18, v0
	s_and_saveexec_b64 s[18:19], vcc
	s_cbranch_execz .LBB292_13
; %bb.15:                               ;   in Loop: Header=BB292_14 Depth=1
	v_mul_lo_u32 v12, s22, v0
	s_lshr_b32 s23, s22, 1
	v_add_u32_e32 v14, s23, v12
	v_lshlrev_b32_e32 v63, 4, v14
	ds_read_b128 v[1:4], v63 offset:8192
	ds_read_b128 v[17:20], v63 offset:4080
	ds_read_b128 v[21:24], v63
	ds_read_b128 v[25:28], v63 offset:12272
	v_add_lshl_u32 v14, v14, s23, 4
	v_lshlrev_b32_e32 v12, 4, v12
	s_waitcnt lgkmcnt(2)
	v_mul_f64 v[10:11], v[19:20], v[1:2]
	v_mul_f64 v[29:30], v[19:20], -v[3:4]
	s_waitcnt lgkmcnt(1)
	v_mul_f64 v[55:56], v[23:24], -v[19:20]
	v_mul_f64 v[57:58], v[17:18], v[23:24]
	s_waitcnt lgkmcnt(0)
	v_mul_f64 v[59:60], v[3:4], -v[27:28]
	v_fma_f64 v[10:11], v[3:4], v[17:18], v[10:11]
	v_fma_f64 v[29:30], v[1:2], v[17:18], v[29:30]
	v_add_f64 v[10:11], -v[10:11], 0
	v_add_f64 v[41:42], -v[29:30], 1.0
	v_mul_f64 v[29:30], v[10:11], v[10:11]
	v_fma_f64 v[61:62], v[41:42], 0, -v[10:11]
	v_fma_f64 v[10:11], v[10:11], 0, v[41:42]
	v_fma_f64 v[43:44], v[41:42], v[41:42], v[29:30]
	;; [unrolled: 1-line block ×3, first 2 shown]
	v_div_scale_f64 v[29:30], s[24:25], v[43:44], v[43:44], 1.0
	v_rcp_f64_e32 v[31:32], v[29:30]
	v_fma_f64 v[33:34], -v[29:30], v[31:32], 1.0
	v_fma_f64 v[31:32], v[31:32], v[33:34], v[31:32]
	v_div_scale_f64 v[33:34], vcc, 1.0, v[43:44], 1.0
	v_fma_f64 v[35:36], -v[29:30], v[31:32], 1.0
	v_fma_f64 v[31:32], v[31:32], v[35:36], v[31:32]
	v_mul_f64 v[35:36], v[33:34], v[31:32]
	v_fma_f64 v[29:30], -v[29:30], v[35:36], v[33:34]
	v_div_fmas_f64 v[45:46], v[29:30], v[31:32], v[35:36]
	ds_read_b128 v[29:32], v63 offset:16384
	ds_read_b128 v[33:36], v63 offset:20464
	;; [unrolled: 1-line block ×3, first 2 shown]
	s_waitcnt lgkmcnt(2)
	v_mul_f64 v[47:48], v[17:18], v[31:32]
	v_mul_f64 v[49:50], v[31:32], -v[19:20]
	s_waitcnt lgkmcnt(1)
	v_mul_f64 v[51:52], v[3:4], -v[35:36]
	v_mul_f64 v[53:54], v[3:4], v[33:34]
	v_mul_f64 v[3:4], v[3:4], v[25:26]
	v_fma_f64 v[47:48], v[19:20], v[29:30], v[47:48]
	v_fma_f64 v[19:20], v[19:20], v[21:22], v[57:58]
	;; [unrolled: 1-line block ×3, first 2 shown]
	v_div_fixup_f64 v[43:44], v[45:46], v[43:44], 1.0
	v_fma_f64 v[45:46], v[17:18], v[29:30], v[49:50]
	v_fma_f64 v[49:50], v[35:36], v[1:2], v[53:54]
	;; [unrolled: 1-line block ×3, first 2 shown]
	v_add_f64 v[17:18], v[35:36], -v[47:48]
	v_add_f64 v[47:48], v[29:30], -v[51:52]
	v_mul_f64 v[35:36], v[61:62], v[43:44]
	v_add_f64 v[33:34], v[33:34], -v[45:46]
	v_mul_f64 v[10:11], v[10:11], v[43:44]
	v_add_f64 v[45:46], v[31:32], -v[49:50]
	v_fma_f64 v[29:30], v[25:26], v[1:2], v[59:60]
	v_mul_f64 v[51:52], v[35:36], v[19:20]
	v_mul_f64 v[31:32], v[35:36], v[33:34]
	v_mul_f64 v[53:54], v[19:20], -v[10:11]
	v_mul_f64 v[19:20], v[35:36], v[3:4]
	v_mul_f64 v[55:56], v[3:4], -v[10:11]
	v_mul_f64 v[57:58], v[27:28], -v[35:36]
	v_mul_f64 v[27:28], v[10:11], v[27:28]
	v_mul_f64 v[1:2], v[35:36], -v[17:18]
	;; [unrolled: 3-line block ×3, first 2 shown]
	v_mul_f64 v[49:50], v[47:48], v[35:36]
	v_fma_f64 v[3:4], v[17:18], v[10:11], v[31:32]
	v_fma_f64 v[17:18], -v[10:11], v[29:30], v[19:20]
	v_fma_f64 v[19:20], -v[35:36], v[29:30], v[55:56]
	v_fma_f64 v[23:24], v[10:11], v[25:26], v[57:58]
	v_fma_f64 v[25:26], v[35:36], v[25:26], v[27:28]
	v_fma_f64 v[27:28], -v[10:11], v[41:42], v[51:52]
	v_fma_f64 v[29:30], -v[35:36], v[41:42], v[53:54]
	v_fma_f64 v[1:2], v[33:34], v[10:11], v[1:2]
	v_fma_f64 v[31:32], v[10:11], v[21:22], v[59:60]
	;; [unrolled: 1-line block ×5, first 2 shown]
	ds_write_b128 v63, v[17:20] offset:8192
	ds_write_b128 v63, v[23:26] offset:12272
	ds_read_b128 v[21:24], v12
	ds_read_b128 v[45:48], v12 offset:8192
	ds_write_b128 v63, v[27:30] offset:4080
	ds_write_b128 v63, v[31:34]
	ds_read_b128 v[25:28], v12
	ds_write_b128 v63, v[1:4] offset:20464
	ds_write_b128 v63, v[41:44] offset:16384
	s_waitcnt lgkmcnt(6)
	v_mul_f64 v[10:11], v[43:44], -v[23:24]
	v_mul_f64 v[29:30], v[43:44], v[21:22]
	ds_read_b128 v[1:4], v12 offset:16384
	s_waitcnt lgkmcnt(3)
	v_mul_f64 v[35:36], v[19:20], -v[27:28]
	v_mul_f64 v[19:20], v[19:20], v[25:26]
	v_mul_f64 v[43:44], v[33:34], v[27:28]
	v_mul_f64 v[33:34], v[33:34], -v[25:26]
	v_fma_f64 v[10:11], v[21:22], v[41:42], v[10:11]
	v_fma_f64 v[21:22], v[23:24], v[41:42], v[29:30]
	;; [unrolled: 1-line block ×4, first 2 shown]
	v_fma_f64 v[17:18], -v[25:26], v[31:32], v[43:44]
	v_fma_f64 v[19:20], -v[27:28], v[31:32], v[33:34]
	s_waitcnt lgkmcnt(0)
	v_add_f64 v[1:2], v[1:2], -v[10:11]
	v_add_f64 v[3:4], v[3:4], -v[21:22]
	ds_write_b128 v12, v[17:20]
	ds_write_b128 v12, v[1:4] offset:16384
	v_add_f64 v[21:22], v[45:46], -v[23:24]
	v_add_f64 v[23:24], v[47:48], -v[29:30]
	ds_read_b128 v[1:4], v63 offset:20464
	ds_read_b128 v[17:20], v63 offset:4080
	s_waitcnt lgkmcnt(1)
	v_mul_f64 v[10:11], v[3:4], -v[39:40]
	v_mul_f64 v[3:4], v[3:4], v[37:38]
	ds_write_b128 v12, v[21:24] offset:8192
	ds_read_b128 v[21:24], v14 offset:12272
	ds_read_b128 v[25:28], v14 offset:4080
	;; [unrolled: 1-line block ×4, first 2 shown]
	s_waitcnt lgkmcnt(3)
	v_mul_f64 v[41:42], v[23:24], -v[19:20]
	v_mul_f64 v[43:44], v[23:24], v[17:18]
	v_fma_f64 v[10:11], v[37:38], v[1:2], v[10:11]
	v_fma_f64 v[3:4], v[39:40], v[1:2], v[3:4]
	s_waitcnt lgkmcnt(1)
	v_mul_f64 v[45:46], v[23:24], v[31:32]
	v_mul_f64 v[31:32], v[31:32], -v[21:22]
	v_fma_f64 v[37:38], v[17:18], v[21:22], v[41:42]
	v_fma_f64 v[39:40], v[19:20], v[21:22], v[43:44]
	s_waitcnt lgkmcnt(0)
	v_add_f64 v[17:18], v[33:34], -v[10:11]
	v_add_f64 v[19:20], v[35:36], -v[3:4]
	v_fma_f64 v[1:2], -v[21:22], v[29:30], v[45:46]
	v_fma_f64 v[3:4], -v[23:24], v[29:30], v[31:32]
	v_add_f64 v[25:26], v[25:26], -v[37:38]
	v_add_f64 v[27:28], v[27:28], -v[39:40]
	ds_write_b128 v14, v[17:20] offset:20464
	ds_write_b128 v14, v[25:28] offset:4080
	;; [unrolled: 1-line block ×3, first 2 shown]
	s_branch .LBB292_13
.LBB292_16:
	s_and_saveexec_b64 s[18:19], s[0:1]
	s_cbranch_execnz .LBB292_19
; %bb.17:
	s_or_b64 exec, exec, s[18:19]
	v_cmp_eq_u32_e32 vcc, 0, v0
	s_and_saveexec_b64 s[0:1], vcc
	s_cbranch_execnz .LBB292_23
.LBB292_18:
	s_endpgm
.LBB292_19:
	s_cmp_eq_u32 s7, 0
	s_cbranch_scc1 .LBB292_27
; %bb.20:
	s_mul_i32 s20, s20, 3
	s_cbranch_execnz .LBB292_22
.LBB292_21:
	v_ashrrev_i32_e32 v14, 31, v13
	ds_read2_b64 v[1:4], v16 offset1:1
	v_lshlrev_b64 v[10:11], 4, v[13:14]
	v_mov_b32_e32 v12, s9
	v_add_co_u32_e32 v20, vcc, s8, v10
	v_addc_co_u32_e32 v21, vcc, v12, v11, vcc
	ds_read2_b64 v[16:19], v8 offset1:1
	s_waitcnt lgkmcnt(1)
	global_store_dwordx4 v[20:21], v[1:4], off
	v_mov_b32_e32 v8, s11
	v_add_u32_e32 v1, s21, v13
	v_mov_b32_e32 v2, 0
	v_lshlrev_b64 v[20:21], 4, v[1:2]
	v_mov_b32_e32 v2, s9
	v_add_co_u32_e32 v1, vcc, s8, v20
	v_addc_co_u32_e32 v2, vcc, v2, v21, vcc
	s_waitcnt lgkmcnt(0)
	global_store_dwordx4 v[1:2], v[16:19], off
	ds_read2_b64 v[1:4], v15 offset1:1
	v_add_co_u32_e32 v14, vcc, s10, v10
	v_addc_co_u32_e32 v15, vcc, v8, v11, vcc
	ds_read2_b64 v[10:13], v6 offset1:1
	s_waitcnt lgkmcnt(1)
	global_store_dwordx4 v[14:15], v[1:4], off
	s_mov_b32 s20, s21
	v_mov_b32_e32 v2, s11
	v_add_co_u32_e32 v1, vcc, s10, v20
	v_addc_co_u32_e32 v2, vcc, v2, v21, vcc
	s_waitcnt lgkmcnt(0)
	global_store_dwordx4 v[1:2], v[10:13], off
.LBB292_22:
	v_ashrrev_i32_e32 v8, 31, v7
	ds_read2_b64 v[1:4], v9 offset1:1
	v_lshlrev_b64 v[10:11], 4, v[7:8]
	v_mov_b32_e32 v6, s17
	v_add_co_u32_e32 v12, vcc, s16, v10
	v_addc_co_u32_e32 v13, vcc, v6, v11, vcc
	ds_read2_b64 v[8:11], v5 offset1:1
	s_waitcnt lgkmcnt(1)
	global_store_dwordx4 v[12:13], v[1:4], off
	s_nop 0
	v_add_u32_e32 v1, s20, v7
	v_mov_b32_e32 v2, 0
	v_lshlrev_b64 v[1:2], 4, v[1:2]
	v_mov_b32_e32 v3, s17
	v_add_co_u32_e32 v1, vcc, s16, v1
	v_addc_co_u32_e32 v2, vcc, v3, v2, vcc
	s_waitcnt lgkmcnt(0)
	global_store_dwordx4 v[1:2], v[8:11], off
	s_or_b64 exec, exec, s[18:19]
	v_cmp_eq_u32_e32 vcc, 0, v0
	s_and_saveexec_b64 s[0:1], vcc
	s_cbranch_execz .LBB292_18
.LBB292_23:
	s_cmp_eq_u32 s7, 0
	s_cbranch_scc1 .LBB292_28
; %bb.24:
	s_load_dword s8, s[4:5], 0x50
	s_cbranch_execnz .LBB292_26
.LBB292_25:
	v_mov_b32_e32 v8, 0
	ds_read_b128 v[0:3], v8 offset:8192
	ds_read_b128 v[4:7], v8 offset:16368
	s_waitcnt lgkmcnt(0)
	s_load_dword s8, s[4:5], 0x50
	s_mov_b32 s0, s7
	s_ashr_i32 s7, s6, 31
	s_lshl_b64 s[10:11], s[6:7], 4
	s_mov_b32 s7, s0
	s_add_u32 s0, s14, s10
	s_addc_u32 s1, s15, s11
	global_store_dwordx4 v8, v[0:3], s[0:1]
	s_waitcnt lgkmcnt(0)
	s_add_i32 s0, s8, s6
	s_mov_b32 s1, 0
	s_lshl_b64 s[0:1], s[0:1], 4
	s_add_u32 s4, s14, s0
	s_addc_u32 s5, s15, s1
	ds_read_b128 v[0:3], v8
	global_store_dwordx4 v8, v[4:7], s[4:5]
	ds_read_b128 v[4:7], v8 offset:8176
	s_add_u32 s4, s2, s10
	s_addc_u32 s5, s3, s11
	s_add_u32 s0, s2, s0
	s_addc_u32 s1, s3, s1
	s_waitcnt lgkmcnt(1)
	global_store_dwordx4 v8, v[0:3], s[4:5]
	s_waitcnt lgkmcnt(0)
	global_store_dwordx4 v8, v[4:7], s[0:1]
.LBB292_26:
	s_waitcnt lgkmcnt(0)
	s_mul_i32 s0, s8, s7
	s_lshl_b32 s0, s0, 1
	s_add_i32 s0, s0, s6
	s_mov_b32 s1, 0
	v_mov_b32_e32 v8, 0
	s_lshl_b64 s[2:3], s[0:1], 4
	ds_read_b128 v[0:3], v8 offset:16384
	ds_read_b128 v[4:7], v8 offset:24560
	s_add_u32 s2, s12, s2
	s_addc_u32 s3, s13, s3
	s_add_i32 s0, s0, s8
	s_lshl_b64 s[0:1], s[0:1], 4
	s_add_u32 s0, s12, s0
	s_addc_u32 s1, s13, s1
	s_waitcnt lgkmcnt(1)
	global_store_dwordx4 v8, v[0:3], s[2:3]
	s_waitcnt lgkmcnt(0)
	global_store_dwordx4 v8, v[4:7], s[0:1]
	s_endpgm
.LBB292_27:
                                        ; implicit-def: $sgpr20
	s_branch .LBB292_21
.LBB292_28:
                                        ; implicit-def: $sgpr8
	s_branch .LBB292_25
	.section	.rodata,"a",@progbits
	.p2align	6, 0x0
	.amdhsa_kernel _ZN9rocsparseL29gtsv_spike_block_level_kernelILj256ELj4E21rocsparse_complex_numIdEEEviiiPT1_PKS3_S6_S4_S4_S4_S4_S4_
		.amdhsa_group_segment_fixed_size 24576
		.amdhsa_private_segment_fixed_size 0
		.amdhsa_kernarg_size 336
		.amdhsa_user_sgpr_count 6
		.amdhsa_user_sgpr_private_segment_buffer 1
		.amdhsa_user_sgpr_dispatch_ptr 0
		.amdhsa_user_sgpr_queue_ptr 0
		.amdhsa_user_sgpr_kernarg_segment_ptr 1
		.amdhsa_user_sgpr_dispatch_id 0
		.amdhsa_user_sgpr_flat_scratch_init 0
		.amdhsa_user_sgpr_private_segment_size 0
		.amdhsa_uses_dynamic_stack 0
		.amdhsa_system_sgpr_private_segment_wavefront_offset 0
		.amdhsa_system_sgpr_workgroup_id_x 1
		.amdhsa_system_sgpr_workgroup_id_y 1
		.amdhsa_system_sgpr_workgroup_id_z 0
		.amdhsa_system_sgpr_workgroup_info 0
		.amdhsa_system_vgpr_workitem_id 0
		.amdhsa_next_free_vgpr 85
		.amdhsa_next_free_sgpr 98
		.amdhsa_reserve_vcc 1
		.amdhsa_reserve_flat_scratch 0
		.amdhsa_float_round_mode_32 0
		.amdhsa_float_round_mode_16_64 0
		.amdhsa_float_denorm_mode_32 3
		.amdhsa_float_denorm_mode_16_64 3
		.amdhsa_dx10_clamp 1
		.amdhsa_ieee_mode 1
		.amdhsa_fp16_overflow 0
		.amdhsa_exception_fp_ieee_invalid_op 0
		.amdhsa_exception_fp_denorm_src 0
		.amdhsa_exception_fp_ieee_div_zero 0
		.amdhsa_exception_fp_ieee_overflow 0
		.amdhsa_exception_fp_ieee_underflow 0
		.amdhsa_exception_fp_ieee_inexact 0
		.amdhsa_exception_int_div_zero 0
	.end_amdhsa_kernel
	.section	.text._ZN9rocsparseL29gtsv_spike_block_level_kernelILj256ELj4E21rocsparse_complex_numIdEEEviiiPT1_PKS3_S6_S4_S4_S4_S4_S4_,"axG",@progbits,_ZN9rocsparseL29gtsv_spike_block_level_kernelILj256ELj4E21rocsparse_complex_numIdEEEviiiPT1_PKS3_S6_S4_S4_S4_S4_S4_,comdat
.Lfunc_end292:
	.size	_ZN9rocsparseL29gtsv_spike_block_level_kernelILj256ELj4E21rocsparse_complex_numIdEEEviiiPT1_PKS3_S6_S4_S4_S4_S4_S4_, .Lfunc_end292-_ZN9rocsparseL29gtsv_spike_block_level_kernelILj256ELj4E21rocsparse_complex_numIdEEEviiiPT1_PKS3_S6_S4_S4_S4_S4_S4_
                                        ; -- End function
	.set _ZN9rocsparseL29gtsv_spike_block_level_kernelILj256ELj4E21rocsparse_complex_numIdEEEviiiPT1_PKS3_S6_S4_S4_S4_S4_S4_.num_vgpr, 64
	.set _ZN9rocsparseL29gtsv_spike_block_level_kernelILj256ELj4E21rocsparse_complex_numIdEEEviiiPT1_PKS3_S6_S4_S4_S4_S4_S4_.num_agpr, 0
	.set _ZN9rocsparseL29gtsv_spike_block_level_kernelILj256ELj4E21rocsparse_complex_numIdEEEviiiPT1_PKS3_S6_S4_S4_S4_S4_S4_.numbered_sgpr, 26
	.set _ZN9rocsparseL29gtsv_spike_block_level_kernelILj256ELj4E21rocsparse_complex_numIdEEEviiiPT1_PKS3_S6_S4_S4_S4_S4_S4_.num_named_barrier, 0
	.set _ZN9rocsparseL29gtsv_spike_block_level_kernelILj256ELj4E21rocsparse_complex_numIdEEEviiiPT1_PKS3_S6_S4_S4_S4_S4_S4_.private_seg_size, 0
	.set _ZN9rocsparseL29gtsv_spike_block_level_kernelILj256ELj4E21rocsparse_complex_numIdEEEviiiPT1_PKS3_S6_S4_S4_S4_S4_S4_.uses_vcc, 1
	.set _ZN9rocsparseL29gtsv_spike_block_level_kernelILj256ELj4E21rocsparse_complex_numIdEEEviiiPT1_PKS3_S6_S4_S4_S4_S4_S4_.uses_flat_scratch, 0
	.set _ZN9rocsparseL29gtsv_spike_block_level_kernelILj256ELj4E21rocsparse_complex_numIdEEEviiiPT1_PKS3_S6_S4_S4_S4_S4_S4_.has_dyn_sized_stack, 0
	.set _ZN9rocsparseL29gtsv_spike_block_level_kernelILj256ELj4E21rocsparse_complex_numIdEEEviiiPT1_PKS3_S6_S4_S4_S4_S4_S4_.has_recursion, 0
	.set _ZN9rocsparseL29gtsv_spike_block_level_kernelILj256ELj4E21rocsparse_complex_numIdEEEviiiPT1_PKS3_S6_S4_S4_S4_S4_S4_.has_indirect_call, 0
	.section	.AMDGPU.csdata,"",@progbits
; Kernel info:
; codeLenInByte = 2364
; TotalNumSgprs: 30
; NumVgprs: 64
; ScratchSize: 0
; MemoryBound: 1
; FloatMode: 240
; IeeeMode: 1
; LDSByteSize: 24576 bytes/workgroup (compile time only)
; SGPRBlocks: 12
; VGPRBlocks: 21
; NumSGPRsForWavesPerEU: 102
; NumVGPRsForWavesPerEU: 85
; Occupancy: 2
; WaveLimiterHint : 0
; COMPUTE_PGM_RSRC2:SCRATCH_EN: 0
; COMPUTE_PGM_RSRC2:USER_SGPR: 6
; COMPUTE_PGM_RSRC2:TRAP_HANDLER: 0
; COMPUTE_PGM_RSRC2:TGID_X_EN: 1
; COMPUTE_PGM_RSRC2:TGID_Y_EN: 1
; COMPUTE_PGM_RSRC2:TGID_Z_EN: 0
; COMPUTE_PGM_RSRC2:TIDIG_COMP_CNT: 0
	.section	.text._ZN9rocsparseL33gtsv_solve_spike_propagate_kernelILj256ELj4E21rocsparse_complex_numIdEEEviiiPT1_PKS3_S6_S6_,"axG",@progbits,_ZN9rocsparseL33gtsv_solve_spike_propagate_kernelILj256ELj4E21rocsparse_complex_numIdEEEviiiPT1_PKS3_S6_S6_,comdat
	.globl	_ZN9rocsparseL33gtsv_solve_spike_propagate_kernelILj256ELj4E21rocsparse_complex_numIdEEEviiiPT1_PKS3_S6_S6_ ; -- Begin function _ZN9rocsparseL33gtsv_solve_spike_propagate_kernelILj256ELj4E21rocsparse_complex_numIdEEEviiiPT1_PKS3_S6_S6_
	.p2align	8
	.type	_ZN9rocsparseL33gtsv_solve_spike_propagate_kernelILj256ELj4E21rocsparse_complex_numIdEEEviiiPT1_PKS3_S6_S6_,@function
_ZN9rocsparseL33gtsv_solve_spike_propagate_kernelILj256ELj4E21rocsparse_complex_numIdEEEviiiPT1_PKS3_S6_S6_: ; @_ZN9rocsparseL33gtsv_solve_spike_propagate_kernelILj256ELj4E21rocsparse_complex_numIdEEEviiiPT1_PKS3_S6_S6_
; %bb.0:
	s_load_dword s10, s[4:5], 0x0
	v_lshl_or_b32 v9, s6, 8, v0
	v_lshlrev_b32_e32 v11, 4, v0
	s_waitcnt lgkmcnt(0)
	s_lshr_b32 s20, s10, 2
	v_cmp_gt_i32_e32 vcc, s20, v9
	v_cmp_le_i32_e64 s[0:1], s20, v9
	s_and_saveexec_b64 s[2:3], s[0:1]
	s_xor_b64 s[2:3], exec, s[2:3]
; %bb.1:
	v_mov_b32_e32 v1, 0
	v_mov_b32_e32 v2, v1
	;; [unrolled: 1-line block ×4, first 2 shown]
	ds_write_b128 v11, v[1:4] offset:16416
; %bb.2:
	s_or_saveexec_b64 s[8:9], s[2:3]
	v_mov_b32_e32 v1, 0
	v_mov_b32_e32 v3, 0
	;; [unrolled: 1-line block ×4, first 2 shown]
	v_ashrrev_i32_e32 v10, 31, v9
	s_xor_b64 exec, exec, s[8:9]
	s_cbranch_execz .LBB293_4
; %bb.3:
	s_load_dwordx2 s[12:13], s[4:5], 0x18
	v_lshlrev_b64 v[1:2], 4, v[9:10]
	v_mad_u64_u32 v[3:4], s[2:3], s20, 3, v[9:10]
	s_waitcnt lgkmcnt(0)
	v_mov_b32_e32 v4, s13
	v_add_co_u32_e64 v12, s[2:3], s12, v1
	v_addc_co_u32_e64 v13, s[2:3], v4, v2, s[2:3]
	v_mov_b32_e32 v4, 0
	v_lshlrev_b64 v[1:2], 4, v[3:4]
	v_mov_b32_e32 v3, s13
	v_add_co_u32_e64 v14, s[2:3], s12, v1
	v_addc_co_u32_e64 v15, s[2:3], v3, v2, s[2:3]
	global_load_dwordx4 v[5:8], v[12:13], off
	global_load_dwordx4 v[1:4], v[14:15], off
	s_waitcnt vmcnt(1)
	ds_write_b128 v11, v[5:8] offset:16416
.LBB293_4:
	s_or_b64 exec, exec, s[8:9]
	s_waitcnt vmcnt(0)
	ds_write_b128 v11, v[1:4] offset:20512
	s_and_saveexec_b64 s[2:3], s[0:1]
	s_xor_b64 s[0:1], exec, s[2:3]
; %bb.5:
	v_mov_b32_e32 v1, 0
	v_mov_b32_e32 v2, v1
	;; [unrolled: 1-line block ×4, first 2 shown]
	ds_write_b128 v11, v[1:4] offset:8224
; %bb.6:
	s_or_saveexec_b64 s[8:9], s[0:1]
	s_load_dwordx2 s[2:3], s[4:5], 0x10
	v_mov_b32_e32 v3, 0
	v_mov_b32_e32 v5, 0
	;; [unrolled: 1-line block ×6, first 2 shown]
	s_xor_b64 exec, exec, s[8:9]
	s_cbranch_execz .LBB293_8
; %bb.7:
	s_load_dwordx2 s[12:13], s[4:5], 0x20
	v_lshlrev_b64 v[1:2], 4, v[9:10]
	v_mad_u64_u32 v[5:6], s[0:1], s20, 3, v[9:10]
	s_waitcnt lgkmcnt(0)
	v_mov_b32_e32 v6, s13
	v_add_co_u32_e64 v1, s[0:1], s12, v1
	v_addc_co_u32_e64 v2, s[0:1], v6, v2, s[0:1]
	v_mov_b32_e32 v6, 0
	v_lshlrev_b64 v[5:6], 4, v[5:6]
	v_mov_b32_e32 v7, s13
	v_add_co_u32_e64 v16, s[0:1], s12, v5
	v_addc_co_u32_e64 v17, s[0:1], v7, v6, s[0:1]
	global_load_dwordx4 v[12:15], v[1:2], off
	global_load_dwordx4 v[5:8], v[16:17], off
	s_waitcnt vmcnt(1)
	ds_write_b128 v11, v[12:15] offset:8224
.LBB293_8:
	s_or_b64 exec, exec, s[8:9]
	v_mov_b32_e32 v1, 0
	v_mov_b32_e32 v2, 0
	s_mul_i32 s10, s10, s7
	s_waitcnt vmcnt(0)
	ds_write_b128 v11, v[5:8] offset:12320
	s_and_saveexec_b64 s[8:9], vcc
	s_cbranch_execz .LBB293_10
; %bb.9:
	s_mul_i32 s0, s20, 3
	s_add_i32 s0, s0, s10
	v_add_u32_e32 v1, s0, v9
	v_mov_b32_e32 v2, 0
	v_lshlrev_b64 v[1:2], 4, v[1:2]
	s_waitcnt lgkmcnt(0)
	v_mov_b32_e32 v3, s3
	v_add_co_u32_e64 v1, s[0:1], s2, v1
	v_addc_co_u32_e64 v2, s[0:1], v3, v2, s[0:1]
	global_load_dwordx4 v[1:4], v[1:2], off
.LBB293_10:
	s_or_b64 exec, exec, s[8:9]
	s_waitcnt vmcnt(0)
	ds_write_b128 v11, v[1:4] offset:16
	v_mov_b32_e32 v3, 0
	v_mov_b32_e32 v1, 0
	;; [unrolled: 1-line block ×4, first 2 shown]
	v_add_u32_e32 v5, s10, v9
	s_and_saveexec_b64 s[8:9], vcc
	s_cbranch_execz .LBB293_12
; %bb.11:
	v_ashrrev_i32_e32 v6, 31, v5
	v_lshlrev_b64 v[1:2], 4, v[5:6]
	s_waitcnt lgkmcnt(0)
	v_mov_b32_e32 v3, s3
	v_add_co_u32_e64 v1, s[0:1], s2, v1
	v_addc_co_u32_e64 v2, s[0:1], v3, v2, s[0:1]
	global_load_dwordx4 v[1:4], v[1:2], off
.LBB293_12:
	s_or_b64 exec, exec, s[8:9]
	v_cmp_eq_u32_e64 s[0:1], 0, v0
	s_waitcnt vmcnt(0)
	ds_write_b128 v11, v[1:4] offset:4112
	s_waitcnt lgkmcnt(0)
	s_barrier
	s_and_saveexec_b64 s[16:17], s[0:1]
	s_cbranch_execz .LBB293_18
; %bb.13:
	s_load_dword s21, s[4:5], 0x30
	s_load_dwordx2 s[18:19], s[4:5], 0x28
	s_cmp_lt_i32 s6, 1
	s_mov_b64 s[10:11], 0
	s_mov_b64 s[14:15], 0
	s_waitcnt lgkmcnt(0)
	s_mul_i32 s7, s7, s21
	s_mov_b64 s[12:13], 0
	s_cbranch_scc1 .LBB293_15
; %bb.14:
	s_lshl_b32 s4, s7, 1
	s_add_i32 s5, s6, s21
	s_add_i32 s4, s5, s4
	s_add_i32 s4, s4, -1
	s_mov_b32 s5, 0
	s_lshl_b64 s[4:5], s[4:5], 4
	s_add_u32 s4, s18, s4
	s_addc_u32 s5, s19, s5
	s_load_dwordx4 s[12:15], s[4:5], 0x0
.LBB293_15:
	s_add_i32 s4, s21, -1
	s_waitcnt lgkmcnt(0)
	v_mov_b32_e32 v6, s12
	v_mov_b32_e32 v7, s13
	;; [unrolled: 1-line block ×5, first 2 shown]
	s_cmp_ge_u32 s6, s4
	s_mov_b64 s[8:9], 0
	ds_write_b128 v1, v[6:9]
	s_cbranch_scc1 .LBB293_17
; %bb.16:
	s_lshl_b32 s4, s7, 1
	s_add_i32 s4, s6, s4
	s_add_i32 s4, s4, 1
	s_mov_b32 s5, 0
	s_lshl_b64 s[4:5], s[4:5], 4
	s_add_u32 s4, s18, s4
	s_addc_u32 s5, s19, s5
	s_load_dwordx4 s[8:11], s[4:5], 0x0
.LBB293_17:
	s_lshl_b32 s4, s7, 1
	s_add_i32 s4, s4, s6
	s_mov_b32 s5, 0
	s_lshl_b64 s[6:7], s[4:5], 4
	s_add_u32 s6, s18, s6
	s_addc_u32 s7, s19, s7
	s_add_i32 s4, s4, s21
	s_lshl_b64 s[4:5], s[4:5], 4
	s_add_u32 s4, s18, s4
	s_addc_u32 s5, s19, s5
	global_load_dwordx4 v[6:9], v1, s[6:7]
	global_load_dwordx4 v[12:15], v1, s[4:5]
	s_waitcnt lgkmcnt(0)
	v_mov_b32_e32 v16, s8
	v_mov_b32_e32 v17, s9
	;; [unrolled: 1-line block ×4, first 2 shown]
	ds_write_b128 v1, v[16:19] offset:8208
	s_waitcnt vmcnt(1)
	ds_write_b128 v1, v[6:9] offset:4112
	s_waitcnt vmcnt(0)
	ds_write_b128 v1, v[12:15] offset:4096
.LBB293_18:
	s_or_b64 exec, exec, s[16:17]
	v_add_u32_e32 v1, 16, v11
	v_add_u32_e32 v2, 0x1010, v11
	s_waitcnt lgkmcnt(0)
	s_barrier
	s_and_saveexec_b64 s[4:5], s[0:1]
	s_cbranch_execz .LBB293_20
; %bb.19:
	v_mov_b32_e32 v42, 0
	ds_read_b128 v[6:9], v42 offset:8208
	ds_read_b128 v[10:13], v42 offset:14352
	;; [unrolled: 1-line block ×5, first 2 shown]
	ds_read_b128 v[26:29], v42
	ds_read_b128 v[30:33], v42 offset:22544
	ds_read_b128 v[34:37], v42 offset:18464
	s_waitcnt lgkmcnt(6)
	v_mul_f64 v[3:4], v[8:9], -v[12:13]
	v_mul_f64 v[38:39], v[8:9], v[10:11]
	s_waitcnt lgkmcnt(5)
	v_mul_f64 v[40:41], v[8:9], -v[16:17]
	v_mul_f64 v[8:9], v[8:9], v[14:15]
	v_fma_f64 v[3:4], v[10:11], v[6:7], v[3:4]
	v_fma_f64 v[10:11], v[12:13], v[6:7], v[38:39]
	s_waitcnt lgkmcnt(1)
	v_mul_f64 v[12:13], v[28:29], -v[32:33]
	v_mul_f64 v[38:39], v[28:29], v[30:31]
	v_fma_f64 v[14:15], v[14:15], v[6:7], v[40:41]
	s_waitcnt lgkmcnt(0)
	v_mul_f64 v[40:41], v[28:29], -v[36:37]
	v_mul_f64 v[28:29], v[28:29], v[34:35]
	v_fma_f64 v[6:7], v[16:17], v[6:7], v[8:9]
	v_add_f64 v[3:4], v[22:23], -v[3:4]
	v_add_f64 v[8:9], v[24:25], -v[10:11]
	v_fma_f64 v[10:11], v[30:31], v[26:27], v[12:13]
	v_fma_f64 v[12:13], v[32:33], v[26:27], v[38:39]
	v_add_f64 v[14:15], v[18:19], -v[14:15]
	v_fma_f64 v[16:17], v[34:35], v[26:27], v[40:41]
	v_fma_f64 v[18:19], v[36:37], v[26:27], v[28:29]
	v_add_f64 v[20:21], v[20:21], -v[6:7]
	v_add_f64 v[6:7], v[3:4], -v[10:11]
	;; [unrolled: 1-line block ×5, first 2 shown]
	ds_write_b128 v42, v[6:9] offset:2048
	ds_write_b128 v42, v[10:13] offset:6160
.LBB293_20:
	s_or_b64 exec, exec, s[4:5]
	v_cmp_gt_u32_e64 s[0:1], 2, v0
	s_waitcnt lgkmcnt(0)
	s_barrier
	s_and_saveexec_b64 s[4:5], s[0:1]
	s_cbranch_execz .LBB293_22
; %bb.21:
	v_lshlrev_b32_e32 v42, 11, v0
	ds_read_b128 v[6:9], v42 offset:6160
	ds_read_b128 v[10:13], v42 offset:13328
	ds_read_b128 v[14:17], v42 offset:9248
	ds_read_b128 v[18:21], v42 offset:5136
	ds_read_b128 v[22:25], v42 offset:1024
	ds_read_b128 v[26:29], v42
	ds_read_b128 v[30:33], v42 offset:21520
	ds_read_b128 v[34:37], v42 offset:17440
	s_waitcnt lgkmcnt(6)
	v_mul_f64 v[3:4], v[8:9], -v[12:13]
	v_mul_f64 v[38:39], v[8:9], v[10:11]
	s_waitcnt lgkmcnt(5)
	v_mul_f64 v[40:41], v[8:9], -v[16:17]
	v_mul_f64 v[8:9], v[8:9], v[14:15]
	v_fma_f64 v[3:4], v[10:11], v[6:7], v[3:4]
	v_fma_f64 v[10:11], v[12:13], v[6:7], v[38:39]
	s_waitcnt lgkmcnt(1)
	v_mul_f64 v[12:13], v[28:29], -v[32:33]
	v_mul_f64 v[38:39], v[28:29], v[30:31]
	v_fma_f64 v[14:15], v[14:15], v[6:7], v[40:41]
	s_waitcnt lgkmcnt(0)
	v_mul_f64 v[40:41], v[28:29], -v[36:37]
	v_mul_f64 v[28:29], v[28:29], v[34:35]
	v_fma_f64 v[6:7], v[16:17], v[6:7], v[8:9]
	v_add_f64 v[3:4], v[22:23], -v[3:4]
	v_add_f64 v[8:9], v[24:25], -v[10:11]
	v_fma_f64 v[10:11], v[30:31], v[26:27], v[12:13]
	v_fma_f64 v[12:13], v[32:33], v[26:27], v[38:39]
	v_add_f64 v[14:15], v[18:19], -v[14:15]
	v_fma_f64 v[16:17], v[34:35], v[26:27], v[40:41]
	v_fma_f64 v[18:19], v[36:37], v[26:27], v[28:29]
	v_add_f64 v[20:21], v[20:21], -v[6:7]
	v_add_f64 v[6:7], v[3:4], -v[10:11]
	v_add_f64 v[8:9], v[8:9], -v[12:13]
	v_add_f64 v[10:11], v[14:15], -v[16:17]
	v_add_f64 v[12:13], v[20:21], -v[18:19]
	ds_write_b128 v42, v[6:9] offset:1024
	ds_write_b128 v42, v[10:13] offset:5136
.LBB293_22:
	s_or_b64 exec, exec, s[4:5]
	v_cmp_gt_u32_e64 s[0:1], 4, v0
	s_waitcnt lgkmcnt(0)
	s_barrier
	s_and_saveexec_b64 s[4:5], s[0:1]
	s_cbranch_execz .LBB293_24
; %bb.23:
	v_lshlrev_b32_e32 v42, 10, v0
	ds_read_b128 v[6:9], v42 offset:5136
	ds_read_b128 v[10:13], v42 offset:12816
	ds_read_b128 v[14:17], v42 offset:8736
	ds_read_b128 v[18:21], v42 offset:4624
	ds_read_b128 v[22:25], v42 offset:512
	ds_read_b128 v[26:29], v42
	ds_read_b128 v[30:33], v42 offset:21008
	ds_read_b128 v[34:37], v42 offset:16928
	s_waitcnt lgkmcnt(6)
	v_mul_f64 v[3:4], v[8:9], -v[12:13]
	v_mul_f64 v[38:39], v[8:9], v[10:11]
	s_waitcnt lgkmcnt(5)
	v_mul_f64 v[40:41], v[8:9], -v[16:17]
	v_mul_f64 v[8:9], v[8:9], v[14:15]
	v_fma_f64 v[3:4], v[10:11], v[6:7], v[3:4]
	v_fma_f64 v[10:11], v[12:13], v[6:7], v[38:39]
	s_waitcnt lgkmcnt(1)
	v_mul_f64 v[12:13], v[28:29], -v[32:33]
	v_mul_f64 v[38:39], v[28:29], v[30:31]
	v_fma_f64 v[14:15], v[14:15], v[6:7], v[40:41]
	s_waitcnt lgkmcnt(0)
	v_mul_f64 v[40:41], v[28:29], -v[36:37]
	v_mul_f64 v[28:29], v[28:29], v[34:35]
	v_fma_f64 v[6:7], v[16:17], v[6:7], v[8:9]
	v_add_f64 v[3:4], v[22:23], -v[3:4]
	v_add_f64 v[8:9], v[24:25], -v[10:11]
	v_fma_f64 v[10:11], v[30:31], v[26:27], v[12:13]
	v_fma_f64 v[12:13], v[32:33], v[26:27], v[38:39]
	v_add_f64 v[14:15], v[18:19], -v[14:15]
	v_fma_f64 v[16:17], v[34:35], v[26:27], v[40:41]
	v_fma_f64 v[18:19], v[36:37], v[26:27], v[28:29]
	v_add_f64 v[20:21], v[20:21], -v[6:7]
	v_add_f64 v[6:7], v[3:4], -v[10:11]
	v_add_f64 v[8:9], v[8:9], -v[12:13]
	v_add_f64 v[10:11], v[14:15], -v[16:17]
	v_add_f64 v[12:13], v[20:21], -v[18:19]
	ds_write_b128 v42, v[6:9] offset:512
	ds_write_b128 v42, v[10:13] offset:4624
.LBB293_24:
	s_or_b64 exec, exec, s[4:5]
	v_cmp_gt_u32_e64 s[0:1], 8, v0
	s_waitcnt lgkmcnt(0)
	s_barrier
	s_and_saveexec_b64 s[4:5], s[0:1]
	s_cbranch_execz .LBB293_26
; %bb.25:
	v_lshlrev_b32_e32 v42, 9, v0
	ds_read_b128 v[6:9], v42 offset:4624
	ds_read_b128 v[10:13], v42 offset:12560
	ds_read_b128 v[14:17], v42 offset:8480
	ds_read_b128 v[18:21], v42 offset:4368
	ds_read_b128 v[22:25], v42 offset:256
	ds_read_b128 v[26:29], v42
	ds_read_b128 v[30:33], v42 offset:20752
	ds_read_b128 v[34:37], v42 offset:16672
	s_waitcnt lgkmcnt(6)
	v_mul_f64 v[3:4], v[8:9], -v[12:13]
	v_mul_f64 v[38:39], v[8:9], v[10:11]
	s_waitcnt lgkmcnt(5)
	v_mul_f64 v[40:41], v[8:9], -v[16:17]
	v_mul_f64 v[8:9], v[8:9], v[14:15]
	v_fma_f64 v[3:4], v[10:11], v[6:7], v[3:4]
	v_fma_f64 v[10:11], v[12:13], v[6:7], v[38:39]
	s_waitcnt lgkmcnt(1)
	v_mul_f64 v[12:13], v[28:29], -v[32:33]
	v_mul_f64 v[38:39], v[28:29], v[30:31]
	v_fma_f64 v[14:15], v[14:15], v[6:7], v[40:41]
	s_waitcnt lgkmcnt(0)
	v_mul_f64 v[40:41], v[28:29], -v[36:37]
	v_mul_f64 v[28:29], v[28:29], v[34:35]
	v_fma_f64 v[6:7], v[16:17], v[6:7], v[8:9]
	v_add_f64 v[3:4], v[22:23], -v[3:4]
	v_add_f64 v[8:9], v[24:25], -v[10:11]
	v_fma_f64 v[10:11], v[30:31], v[26:27], v[12:13]
	v_fma_f64 v[12:13], v[32:33], v[26:27], v[38:39]
	v_add_f64 v[14:15], v[18:19], -v[14:15]
	v_fma_f64 v[16:17], v[34:35], v[26:27], v[40:41]
	v_fma_f64 v[18:19], v[36:37], v[26:27], v[28:29]
	v_add_f64 v[20:21], v[20:21], -v[6:7]
	v_add_f64 v[6:7], v[3:4], -v[10:11]
	v_add_f64 v[8:9], v[8:9], -v[12:13]
	v_add_f64 v[10:11], v[14:15], -v[16:17]
	v_add_f64 v[12:13], v[20:21], -v[18:19]
	ds_write_b128 v42, v[6:9] offset:256
	ds_write_b128 v42, v[10:13] offset:4368
.LBB293_26:
	s_or_b64 exec, exec, s[4:5]
	v_cmp_gt_u32_e64 s[0:1], 16, v0
	s_waitcnt lgkmcnt(0)
	s_barrier
	s_and_saveexec_b64 s[4:5], s[0:1]
	s_cbranch_execz .LBB293_28
; %bb.27:
	v_lshlrev_b32_e32 v42, 8, v0
	ds_read_b128 v[6:9], v42 offset:4368
	ds_read_b128 v[10:13], v42 offset:12432
	ds_read_b128 v[14:17], v42 offset:8352
	ds_read_b128 v[18:21], v42 offset:4240
	ds_read_b128 v[22:25], v42 offset:128
	ds_read_b128 v[26:29], v42
	ds_read_b128 v[30:33], v42 offset:20624
	ds_read_b128 v[34:37], v42 offset:16544
	s_waitcnt lgkmcnt(6)
	v_mul_f64 v[3:4], v[8:9], -v[12:13]
	v_mul_f64 v[38:39], v[8:9], v[10:11]
	s_waitcnt lgkmcnt(5)
	v_mul_f64 v[40:41], v[8:9], -v[16:17]
	v_mul_f64 v[8:9], v[8:9], v[14:15]
	v_fma_f64 v[3:4], v[10:11], v[6:7], v[3:4]
	v_fma_f64 v[10:11], v[12:13], v[6:7], v[38:39]
	s_waitcnt lgkmcnt(1)
	v_mul_f64 v[12:13], v[28:29], -v[32:33]
	v_mul_f64 v[38:39], v[28:29], v[30:31]
	v_fma_f64 v[14:15], v[14:15], v[6:7], v[40:41]
	s_waitcnt lgkmcnt(0)
	v_mul_f64 v[40:41], v[28:29], -v[36:37]
	v_mul_f64 v[28:29], v[28:29], v[34:35]
	v_fma_f64 v[6:7], v[16:17], v[6:7], v[8:9]
	v_add_f64 v[3:4], v[22:23], -v[3:4]
	v_add_f64 v[8:9], v[24:25], -v[10:11]
	v_fma_f64 v[10:11], v[30:31], v[26:27], v[12:13]
	v_fma_f64 v[12:13], v[32:33], v[26:27], v[38:39]
	v_add_f64 v[14:15], v[18:19], -v[14:15]
	v_fma_f64 v[16:17], v[34:35], v[26:27], v[40:41]
	v_fma_f64 v[18:19], v[36:37], v[26:27], v[28:29]
	v_add_f64 v[20:21], v[20:21], -v[6:7]
	v_add_f64 v[6:7], v[3:4], -v[10:11]
	v_add_f64 v[8:9], v[8:9], -v[12:13]
	v_add_f64 v[10:11], v[14:15], -v[16:17]
	v_add_f64 v[12:13], v[20:21], -v[18:19]
	ds_write_b128 v42, v[6:9] offset:128
	ds_write_b128 v42, v[10:13] offset:4240
.LBB293_28:
	s_or_b64 exec, exec, s[4:5]
	v_cmp_gt_u32_e64 s[0:1], 32, v0
	s_waitcnt lgkmcnt(0)
	s_barrier
	s_and_saveexec_b64 s[4:5], s[0:1]
	s_cbranch_execz .LBB293_30
; %bb.29:
	v_lshlrev_b32_e32 v42, 7, v0
	ds_read_b128 v[6:9], v42 offset:4240
	ds_read_b128 v[10:13], v42 offset:12368
	ds_read_b128 v[14:17], v42 offset:8288
	ds_read_b128 v[18:21], v42 offset:4176
	ds_read_b128 v[22:25], v42 offset:64
	ds_read_b128 v[26:29], v42
	ds_read_b128 v[30:33], v42 offset:20560
	ds_read_b128 v[34:37], v42 offset:16480
	s_waitcnt lgkmcnt(6)
	v_mul_f64 v[3:4], v[8:9], -v[12:13]
	v_mul_f64 v[38:39], v[8:9], v[10:11]
	s_waitcnt lgkmcnt(5)
	v_mul_f64 v[40:41], v[8:9], -v[16:17]
	v_mul_f64 v[8:9], v[8:9], v[14:15]
	v_fma_f64 v[3:4], v[10:11], v[6:7], v[3:4]
	v_fma_f64 v[10:11], v[12:13], v[6:7], v[38:39]
	s_waitcnt lgkmcnt(1)
	v_mul_f64 v[12:13], v[28:29], -v[32:33]
	v_mul_f64 v[38:39], v[28:29], v[30:31]
	v_fma_f64 v[14:15], v[14:15], v[6:7], v[40:41]
	s_waitcnt lgkmcnt(0)
	v_mul_f64 v[40:41], v[28:29], -v[36:37]
	v_mul_f64 v[28:29], v[28:29], v[34:35]
	v_fma_f64 v[6:7], v[16:17], v[6:7], v[8:9]
	v_add_f64 v[3:4], v[22:23], -v[3:4]
	v_add_f64 v[8:9], v[24:25], -v[10:11]
	v_fma_f64 v[10:11], v[30:31], v[26:27], v[12:13]
	v_fma_f64 v[12:13], v[32:33], v[26:27], v[38:39]
	v_add_f64 v[14:15], v[18:19], -v[14:15]
	v_fma_f64 v[16:17], v[34:35], v[26:27], v[40:41]
	v_fma_f64 v[18:19], v[36:37], v[26:27], v[28:29]
	v_add_f64 v[20:21], v[20:21], -v[6:7]
	v_add_f64 v[6:7], v[3:4], -v[10:11]
	v_add_f64 v[8:9], v[8:9], -v[12:13]
	v_add_f64 v[10:11], v[14:15], -v[16:17]
	v_add_f64 v[12:13], v[20:21], -v[18:19]
	ds_write_b128 v42, v[6:9] offset:64
	ds_write_b128 v42, v[10:13] offset:4176
.LBB293_30:
	s_or_b64 exec, exec, s[4:5]
	v_cmp_gt_u32_e64 s[0:1], 64, v0
	s_waitcnt lgkmcnt(0)
	s_barrier
	s_and_saveexec_b64 s[4:5], s[0:1]
	s_cbranch_execz .LBB293_32
; %bb.31:
	v_lshlrev_b32_e32 v42, 6, v0
	ds_read_b128 v[6:9], v42 offset:4176
	ds_read_b128 v[10:13], v42 offset:12336
	;; [unrolled: 1-line block ×4, first 2 shown]
	ds_read_b128 v[22:25], v42
	ds_read_b128 v[26:29], v42 offset:32
	ds_read_b128 v[30:33], v42 offset:20528
	;; [unrolled: 1-line block ×3, first 2 shown]
	s_waitcnt lgkmcnt(6)
	v_mul_f64 v[3:4], v[8:9], -v[12:13]
	v_mul_f64 v[38:39], v[8:9], v[10:11]
	s_waitcnt lgkmcnt(5)
	v_mul_f64 v[40:41], v[8:9], -v[16:17]
	v_mul_f64 v[8:9], v[8:9], v[14:15]
	v_fma_f64 v[3:4], v[10:11], v[6:7], v[3:4]
	v_fma_f64 v[10:11], v[12:13], v[6:7], v[38:39]
	s_waitcnt lgkmcnt(1)
	v_mul_f64 v[12:13], v[24:25], -v[32:33]
	v_mul_f64 v[38:39], v[24:25], v[30:31]
	v_fma_f64 v[14:15], v[14:15], v[6:7], v[40:41]
	s_waitcnt lgkmcnt(0)
	v_mul_f64 v[40:41], v[24:25], -v[36:37]
	v_mul_f64 v[24:25], v[24:25], v[34:35]
	v_fma_f64 v[6:7], v[16:17], v[6:7], v[8:9]
	v_add_f64 v[3:4], v[26:27], -v[3:4]
	v_add_f64 v[8:9], v[28:29], -v[10:11]
	v_fma_f64 v[10:11], v[30:31], v[22:23], v[12:13]
	v_fma_f64 v[12:13], v[32:33], v[22:23], v[38:39]
	v_add_f64 v[14:15], v[18:19], -v[14:15]
	v_fma_f64 v[16:17], v[34:35], v[22:23], v[40:41]
	v_fma_f64 v[18:19], v[36:37], v[22:23], v[24:25]
	v_add_f64 v[20:21], v[20:21], -v[6:7]
	v_add_f64 v[6:7], v[3:4], -v[10:11]
	;; [unrolled: 1-line block ×5, first 2 shown]
	ds_write_b128 v42, v[6:9] offset:32
	ds_write_b128 v42, v[10:13] offset:4144
.LBB293_32:
	s_or_b64 exec, exec, s[4:5]
	s_movk_i32 s0, 0x80
	v_cmp_gt_u32_e64 s[0:1], s0, v0
	s_waitcnt lgkmcnt(0)
	s_barrier
	s_and_saveexec_b64 s[4:5], s[0:1]
	s_cbranch_execz .LBB293_34
; %bb.33:
	v_lshlrev_b32_e32 v0, 5, v0
	ds_read_b128 v[6:9], v0 offset:4144
	ds_read_b128 v[10:13], v0 offset:12320
	;; [unrolled: 1-line block ×4, first 2 shown]
	ds_read_b128 v[22:25], v0
	ds_read_b128 v[26:29], v0 offset:16
	ds_read_b128 v[30:33], v0 offset:20512
	;; [unrolled: 1-line block ×3, first 2 shown]
	s_waitcnt lgkmcnt(6)
	v_mul_f64 v[3:4], v[8:9], -v[12:13]
	v_mul_f64 v[38:39], v[8:9], v[10:11]
	s_waitcnt lgkmcnt(5)
	v_mul_f64 v[40:41], v[8:9], -v[16:17]
	v_mul_f64 v[8:9], v[8:9], v[14:15]
	v_fma_f64 v[3:4], v[10:11], v[6:7], v[3:4]
	v_fma_f64 v[10:11], v[12:13], v[6:7], v[38:39]
	s_waitcnt lgkmcnt(1)
	v_mul_f64 v[12:13], v[24:25], -v[32:33]
	v_mul_f64 v[38:39], v[24:25], v[30:31]
	v_fma_f64 v[14:15], v[14:15], v[6:7], v[40:41]
	s_waitcnt lgkmcnt(0)
	v_mul_f64 v[40:41], v[24:25], -v[36:37]
	v_mul_f64 v[24:25], v[24:25], v[34:35]
	v_fma_f64 v[6:7], v[16:17], v[6:7], v[8:9]
	v_add_f64 v[3:4], v[26:27], -v[3:4]
	v_add_f64 v[8:9], v[28:29], -v[10:11]
	v_fma_f64 v[10:11], v[30:31], v[22:23], v[12:13]
	v_fma_f64 v[12:13], v[32:33], v[22:23], v[38:39]
	v_add_f64 v[14:15], v[18:19], -v[14:15]
	v_fma_f64 v[16:17], v[34:35], v[22:23], v[40:41]
	v_fma_f64 v[18:19], v[36:37], v[22:23], v[24:25]
	v_add_f64 v[20:21], v[20:21], -v[6:7]
	v_add_f64 v[6:7], v[3:4], -v[10:11]
	;; [unrolled: 1-line block ×5, first 2 shown]
	ds_write_b128 v0, v[6:9] offset:16
	ds_write_b128 v0, v[10:13] offset:4128
.LBB293_34:
	s_or_b64 exec, exec, s[4:5]
	s_waitcnt lgkmcnt(0)
	s_barrier
	s_and_saveexec_b64 s[0:1], vcc
	s_cbranch_execz .LBB293_36
; %bb.35:
	v_ashrrev_i32_e32 v6, 31, v5
	v_lshlrev_b64 v[3:4], 4, v[5:6]
	ds_read2_b64 v[6:9], v2 offset1:1
	v_mov_b32_e32 v0, s3
	v_add_co_u32_e32 v10, vcc, s2, v3
	v_addc_co_u32_e32 v11, vcc, v0, v4, vcc
	s_waitcnt lgkmcnt(0)
	v_mad_u64_u32 v[4:5], s[0:1], s20, 3, v[5:6]
	ds_read2_b64 v[0:3], v1 offset1:1
	v_mov_b32_e32 v5, 0
	v_lshlrev_b64 v[4:5], 4, v[4:5]
	global_store_dwordx4 v[10:11], v[6:9], off
	v_add_co_u32_e32 v4, vcc, s2, v4
	v_mov_b32_e32 v6, s3
	v_addc_co_u32_e32 v5, vcc, v6, v5, vcc
	s_waitcnt lgkmcnt(0)
	global_store_dwordx4 v[4:5], v[0:3], off
.LBB293_36:
	s_endpgm
	.section	.rodata,"a",@progbits
	.p2align	6, 0x0
	.amdhsa_kernel _ZN9rocsparseL33gtsv_solve_spike_propagate_kernelILj256ELj4E21rocsparse_complex_numIdEEEviiiPT1_PKS3_S6_S6_
		.amdhsa_group_segment_fixed_size 24608
		.amdhsa_private_segment_fixed_size 0
		.amdhsa_kernarg_size 304
		.amdhsa_user_sgpr_count 6
		.amdhsa_user_sgpr_private_segment_buffer 1
		.amdhsa_user_sgpr_dispatch_ptr 0
		.amdhsa_user_sgpr_queue_ptr 0
		.amdhsa_user_sgpr_kernarg_segment_ptr 1
		.amdhsa_user_sgpr_dispatch_id 0
		.amdhsa_user_sgpr_flat_scratch_init 0
		.amdhsa_user_sgpr_private_segment_size 0
		.amdhsa_uses_dynamic_stack 0
		.amdhsa_system_sgpr_private_segment_wavefront_offset 0
		.amdhsa_system_sgpr_workgroup_id_x 1
		.amdhsa_system_sgpr_workgroup_id_y 1
		.amdhsa_system_sgpr_workgroup_id_z 0
		.amdhsa_system_sgpr_workgroup_info 0
		.amdhsa_system_vgpr_workitem_id 0
		.amdhsa_next_free_vgpr 85
		.amdhsa_next_free_sgpr 98
		.amdhsa_reserve_vcc 1
		.amdhsa_reserve_flat_scratch 0
		.amdhsa_float_round_mode_32 0
		.amdhsa_float_round_mode_16_64 0
		.amdhsa_float_denorm_mode_32 3
		.amdhsa_float_denorm_mode_16_64 3
		.amdhsa_dx10_clamp 1
		.amdhsa_ieee_mode 1
		.amdhsa_fp16_overflow 0
		.amdhsa_exception_fp_ieee_invalid_op 0
		.amdhsa_exception_fp_denorm_src 0
		.amdhsa_exception_fp_ieee_div_zero 0
		.amdhsa_exception_fp_ieee_overflow 0
		.amdhsa_exception_fp_ieee_underflow 0
		.amdhsa_exception_fp_ieee_inexact 0
		.amdhsa_exception_int_div_zero 0
	.end_amdhsa_kernel
	.section	.text._ZN9rocsparseL33gtsv_solve_spike_propagate_kernelILj256ELj4E21rocsparse_complex_numIdEEEviiiPT1_PKS3_S6_S6_,"axG",@progbits,_ZN9rocsparseL33gtsv_solve_spike_propagate_kernelILj256ELj4E21rocsparse_complex_numIdEEEviiiPT1_PKS3_S6_S6_,comdat
.Lfunc_end293:
	.size	_ZN9rocsparseL33gtsv_solve_spike_propagate_kernelILj256ELj4E21rocsparse_complex_numIdEEEviiiPT1_PKS3_S6_S6_, .Lfunc_end293-_ZN9rocsparseL33gtsv_solve_spike_propagate_kernelILj256ELj4E21rocsparse_complex_numIdEEEviiiPT1_PKS3_S6_S6_
                                        ; -- End function
	.set _ZN9rocsparseL33gtsv_solve_spike_propagate_kernelILj256ELj4E21rocsparse_complex_numIdEEEviiiPT1_PKS3_S6_S6_.num_vgpr, 43
	.set _ZN9rocsparseL33gtsv_solve_spike_propagate_kernelILj256ELj4E21rocsparse_complex_numIdEEEviiiPT1_PKS3_S6_S6_.num_agpr, 0
	.set _ZN9rocsparseL33gtsv_solve_spike_propagate_kernelILj256ELj4E21rocsparse_complex_numIdEEEviiiPT1_PKS3_S6_S6_.numbered_sgpr, 22
	.set _ZN9rocsparseL33gtsv_solve_spike_propagate_kernelILj256ELj4E21rocsparse_complex_numIdEEEviiiPT1_PKS3_S6_S6_.num_named_barrier, 0
	.set _ZN9rocsparseL33gtsv_solve_spike_propagate_kernelILj256ELj4E21rocsparse_complex_numIdEEEviiiPT1_PKS3_S6_S6_.private_seg_size, 0
	.set _ZN9rocsparseL33gtsv_solve_spike_propagate_kernelILj256ELj4E21rocsparse_complex_numIdEEEviiiPT1_PKS3_S6_S6_.uses_vcc, 1
	.set _ZN9rocsparseL33gtsv_solve_spike_propagate_kernelILj256ELj4E21rocsparse_complex_numIdEEEviiiPT1_PKS3_S6_S6_.uses_flat_scratch, 0
	.set _ZN9rocsparseL33gtsv_solve_spike_propagate_kernelILj256ELj4E21rocsparse_complex_numIdEEEviiiPT1_PKS3_S6_S6_.has_dyn_sized_stack, 0
	.set _ZN9rocsparseL33gtsv_solve_spike_propagate_kernelILj256ELj4E21rocsparse_complex_numIdEEEviiiPT1_PKS3_S6_S6_.has_recursion, 0
	.set _ZN9rocsparseL33gtsv_solve_spike_propagate_kernelILj256ELj4E21rocsparse_complex_numIdEEEviiiPT1_PKS3_S6_S6_.has_indirect_call, 0
	.section	.AMDGPU.csdata,"",@progbits
; Kernel info:
; codeLenInByte = 3596
; TotalNumSgprs: 26
; NumVgprs: 43
; ScratchSize: 0
; MemoryBound: 0
; FloatMode: 240
; IeeeMode: 1
; LDSByteSize: 24608 bytes/workgroup (compile time only)
; SGPRBlocks: 12
; VGPRBlocks: 21
; NumSGPRsForWavesPerEU: 102
; NumVGPRsForWavesPerEU: 85
; Occupancy: 2
; WaveLimiterHint : 0
; COMPUTE_PGM_RSRC2:SCRATCH_EN: 0
; COMPUTE_PGM_RSRC2:USER_SGPR: 6
; COMPUTE_PGM_RSRC2:TRAP_HANDLER: 0
; COMPUTE_PGM_RSRC2:TGID_X_EN: 1
; COMPUTE_PGM_RSRC2:TGID_Y_EN: 1
; COMPUTE_PGM_RSRC2:TGID_Z_EN: 0
; COMPUTE_PGM_RSRC2:TIDIG_COMP_CNT: 0
	.section	.text._ZN9rocsparseL39gtsv_spike_backward_substitution_kernelILj256ELj4E21rocsparse_complex_numIdEEEviiiPT1_PKS3_S6_,"axG",@progbits,_ZN9rocsparseL39gtsv_spike_backward_substitution_kernelILj256ELj4E21rocsparse_complex_numIdEEEviiiPT1_PKS3_S6_,comdat
	.globl	_ZN9rocsparseL39gtsv_spike_backward_substitution_kernelILj256ELj4E21rocsparse_complex_numIdEEEviiiPT1_PKS3_S6_ ; -- Begin function _ZN9rocsparseL39gtsv_spike_backward_substitution_kernelILj256ELj4E21rocsparse_complex_numIdEEEviiiPT1_PKS3_S6_
	.p2align	8
	.type	_ZN9rocsparseL39gtsv_spike_backward_substitution_kernelILj256ELj4E21rocsparse_complex_numIdEEEviiiPT1_PKS3_S6_,@function
_ZN9rocsparseL39gtsv_spike_backward_substitution_kernelILj256ELj4E21rocsparse_complex_numIdEEEviiiPT1_PKS3_S6_: ; @_ZN9rocsparseL39gtsv_spike_backward_substitution_kernelILj256ELj4E21rocsparse_complex_numIdEEEviiiPT1_PKS3_S6_
; %bb.0:
	s_load_dword s11, s[4:5], 0x0
	v_lshl_or_b32 v8, s6, 8, v0
	s_waitcnt lgkmcnt(0)
	s_lshr_b32 s6, s11, 2
	v_cmp_gt_i32_e32 vcc, s6, v8
	s_and_saveexec_b64 s[0:1], vcc
	s_cbranch_execz .LBB294_6
; %bb.1:
	s_load_dwordx2 s[8:9], s[4:5], 0x10
	v_mov_b32_e32 v0, 0
	v_mov_b32_e32 v2, 0
	v_cmp_lt_i32_e32 vcc, 0, v8
	v_mov_b32_e32 v1, 0
	v_mov_b32_e32 v3, 0
	s_mul_i32 s10, s11, s7
	s_and_saveexec_b64 s[0:1], vcc
	s_cbranch_execz .LBB294_3
; %bb.2:
	s_mul_i32 s2, s6, 3
	s_mul_i32 s3, s11, s7
	s_add_i32 s2, s2, s3
	v_add3_u32 v0, v8, s2, -1
	v_mov_b32_e32 v1, 0
	v_lshlrev_b64 v[0:1], 4, v[0:1]
	s_waitcnt lgkmcnt(0)
	v_mov_b32_e32 v2, s9
	v_add_co_u32_e32 v0, vcc, s8, v0
	v_addc_co_u32_e32 v1, vcc, v2, v1, vcc
	global_load_dwordx4 v[0:3], v[0:1], off
.LBB294_3:
	s_or_b64 exec, exec, s[0:1]
	s_load_dwordx4 s[0:3], s[4:5], 0x18
	v_add_u32_e32 v4, 4, v8
	v_cmp_le_u32_e32 vcc, s11, v4
	s_and_saveexec_b64 s[4:5], vcc
	s_xor_b64 s[4:5], exec, s[4:5]
	s_or_saveexec_b64 s[4:5], s[4:5]
	v_mov_b32_e32 v4, 0
	v_mov_b32_e32 v6, 0
	;; [unrolled: 1-line block ×5, first 2 shown]
	s_xor_b64 exec, exec, s[4:5]
	s_cbranch_execz .LBB294_5
; %bb.4:
	s_ashr_i32 s7, s10, 31
	v_ashrrev_i32_e32 v5, 31, v8
	v_mov_b32_e32 v6, s7
	v_add_co_u32_e32 v4, vcc, s10, v8
	v_addc_co_u32_e32 v5, vcc, v5, v6, vcc
	v_lshlrev_b64 v[4:5], 4, v[4:5]
	s_waitcnt lgkmcnt(0)
	v_mov_b32_e32 v6, s9
	v_add_co_u32_e32 v4, vcc, s8, v4
	v_addc_co_u32_e32 v5, vcc, v6, v5, vcc
	global_load_dwordx4 v[4:7], v[4:5], off offset:16
	v_mov_b32_e32 v9, s10
.LBB294_5:
	s_or_b64 exec, exec, s[4:5]
	v_add_u32_e32 v14, s6, v8
	v_add_u32_e32 v10, v14, v9
	v_ashrrev_i32_e32 v11, 31, v10
	v_lshlrev_b64 v[10:11], 4, v[10:11]
	v_ashrrev_i32_e32 v15, 31, v14
	s_waitcnt lgkmcnt(0)
	v_add_co_u32_e32 v16, vcc, s8, v10
	v_mov_b32_e32 v8, s9
	v_lshlrev_b64 v[18:19], 4, v[14:15]
	v_addc_co_u32_e32 v17, vcc, v8, v11, vcc
	v_add_co_u32_e32 v10, vcc, s0, v18
	v_mov_b32_e32 v8, s1
	v_addc_co_u32_e32 v11, vcc, v8, v19, vcc
	global_load_dwordx4 v[10:13], v[10:11], off
	v_mov_b32_e32 v8, s3
	s_waitcnt vmcnt(0)
	v_mul_f64 v[20:21], v[2:3], -v[12:13]
	v_fma_f64 v[20:21], v[10:11], v[0:1], v[20:21]
	v_mul_f64 v[10:11], v[2:3], v[10:11]
	v_fma_f64 v[22:23], v[12:13], v[0:1], v[10:11]
	global_load_dwordx4 v[10:13], v[16:17], off
	s_waitcnt vmcnt(0)
	v_add_f64 v[20:21], v[10:11], -v[20:21]
	v_add_co_u32_e32 v10, vcc, s2, v18
	v_addc_co_u32_e32 v11, vcc, v8, v19, vcc
	v_add_f64 v[22:23], v[12:13], -v[22:23]
	global_load_dwordx4 v[10:13], v[10:11], off
	v_add_u32_e32 v8, s6, v14
	v_add_u32_e32 v9, v8, v9
	s_waitcnt vmcnt(0)
	v_mul_f64 v[18:19], v[6:7], -v[12:13]
	v_fma_f64 v[18:19], v[10:11], v[4:5], v[18:19]
	v_mul_f64 v[10:11], v[6:7], v[10:11]
	v_fma_f64 v[12:13], v[12:13], v[4:5], v[10:11]
	v_add_f64 v[10:11], v[20:21], -v[18:19]
	v_add_f64 v[12:13], v[22:23], -v[12:13]
	global_store_dwordx4 v[16:17], v[10:13], off
	s_nop 0
	v_ashrrev_i32_e32 v10, 31, v9
	v_lshlrev_b64 v[9:10], 4, v[9:10]
	v_add_co_u32_e32 v12, vcc, s8, v9
	v_mov_b32_e32 v9, s9
	v_addc_co_u32_e32 v13, vcc, v9, v10, vcc
	v_ashrrev_i32_e32 v9, 31, v8
	v_lshlrev_b64 v[14:15], 4, v[8:9]
	v_mov_b32_e32 v9, s1
	v_add_co_u32_e32 v8, vcc, s0, v14
	v_addc_co_u32_e32 v9, vcc, v9, v15, vcc
	global_load_dwordx4 v[8:11], v[8:9], off
	s_waitcnt vmcnt(0)
	v_mul_f64 v[16:17], v[2:3], -v[10:11]
	v_mul_f64 v[2:3], v[2:3], v[8:9]
	v_fma_f64 v[16:17], v[8:9], v[0:1], v[16:17]
	v_fma_f64 v[8:9], v[10:11], v[0:1], v[2:3]
	global_load_dwordx4 v[0:3], v[12:13], off
	s_waitcnt vmcnt(0)
	v_add_f64 v[10:11], v[0:1], -v[16:17]
	v_add_co_u32_e32 v0, vcc, s2, v14
	v_mov_b32_e32 v1, s3
	v_addc_co_u32_e32 v1, vcc, v1, v15, vcc
	v_add_f64 v[8:9], v[2:3], -v[8:9]
	global_load_dwordx4 v[0:3], v[0:1], off
	s_waitcnt vmcnt(0)
	v_mul_f64 v[14:15], v[6:7], -v[2:3]
	v_fma_f64 v[14:15], v[0:1], v[4:5], v[14:15]
	v_mul_f64 v[0:1], v[6:7], v[0:1]
	v_fma_f64 v[2:3], v[2:3], v[4:5], v[0:1]
	v_add_f64 v[0:1], v[10:11], -v[14:15]
	v_add_f64 v[2:3], v[8:9], -v[2:3]
	global_store_dwordx4 v[12:13], v[0:3], off
.LBB294_6:
	s_endpgm
	.section	.rodata,"a",@progbits
	.p2align	6, 0x0
	.amdhsa_kernel _ZN9rocsparseL39gtsv_spike_backward_substitution_kernelILj256ELj4E21rocsparse_complex_numIdEEEviiiPT1_PKS3_S6_
		.amdhsa_group_segment_fixed_size 0
		.amdhsa_private_segment_fixed_size 0
		.amdhsa_kernarg_size 40
		.amdhsa_user_sgpr_count 6
		.amdhsa_user_sgpr_private_segment_buffer 1
		.amdhsa_user_sgpr_dispatch_ptr 0
		.amdhsa_user_sgpr_queue_ptr 0
		.amdhsa_user_sgpr_kernarg_segment_ptr 1
		.amdhsa_user_sgpr_dispatch_id 0
		.amdhsa_user_sgpr_flat_scratch_init 0
		.amdhsa_user_sgpr_private_segment_size 0
		.amdhsa_uses_dynamic_stack 0
		.amdhsa_system_sgpr_private_segment_wavefront_offset 0
		.amdhsa_system_sgpr_workgroup_id_x 1
		.amdhsa_system_sgpr_workgroup_id_y 1
		.amdhsa_system_sgpr_workgroup_id_z 0
		.amdhsa_system_sgpr_workgroup_info 0
		.amdhsa_system_vgpr_workitem_id 0
		.amdhsa_next_free_vgpr 24
		.amdhsa_next_free_sgpr 12
		.amdhsa_reserve_vcc 1
		.amdhsa_reserve_flat_scratch 0
		.amdhsa_float_round_mode_32 0
		.amdhsa_float_round_mode_16_64 0
		.amdhsa_float_denorm_mode_32 3
		.amdhsa_float_denorm_mode_16_64 3
		.amdhsa_dx10_clamp 1
		.amdhsa_ieee_mode 1
		.amdhsa_fp16_overflow 0
		.amdhsa_exception_fp_ieee_invalid_op 0
		.amdhsa_exception_fp_denorm_src 0
		.amdhsa_exception_fp_ieee_div_zero 0
		.amdhsa_exception_fp_ieee_overflow 0
		.amdhsa_exception_fp_ieee_underflow 0
		.amdhsa_exception_fp_ieee_inexact 0
		.amdhsa_exception_int_div_zero 0
	.end_amdhsa_kernel
	.section	.text._ZN9rocsparseL39gtsv_spike_backward_substitution_kernelILj256ELj4E21rocsparse_complex_numIdEEEviiiPT1_PKS3_S6_,"axG",@progbits,_ZN9rocsparseL39gtsv_spike_backward_substitution_kernelILj256ELj4E21rocsparse_complex_numIdEEEviiiPT1_PKS3_S6_,comdat
.Lfunc_end294:
	.size	_ZN9rocsparseL39gtsv_spike_backward_substitution_kernelILj256ELj4E21rocsparse_complex_numIdEEEviiiPT1_PKS3_S6_, .Lfunc_end294-_ZN9rocsparseL39gtsv_spike_backward_substitution_kernelILj256ELj4E21rocsparse_complex_numIdEEEviiiPT1_PKS3_S6_
                                        ; -- End function
	.set _ZN9rocsparseL39gtsv_spike_backward_substitution_kernelILj256ELj4E21rocsparse_complex_numIdEEEviiiPT1_PKS3_S6_.num_vgpr, 24
	.set _ZN9rocsparseL39gtsv_spike_backward_substitution_kernelILj256ELj4E21rocsparse_complex_numIdEEEviiiPT1_PKS3_S6_.num_agpr, 0
	.set _ZN9rocsparseL39gtsv_spike_backward_substitution_kernelILj256ELj4E21rocsparse_complex_numIdEEEviiiPT1_PKS3_S6_.numbered_sgpr, 12
	.set _ZN9rocsparseL39gtsv_spike_backward_substitution_kernelILj256ELj4E21rocsparse_complex_numIdEEEviiiPT1_PKS3_S6_.num_named_barrier, 0
	.set _ZN9rocsparseL39gtsv_spike_backward_substitution_kernelILj256ELj4E21rocsparse_complex_numIdEEEviiiPT1_PKS3_S6_.private_seg_size, 0
	.set _ZN9rocsparseL39gtsv_spike_backward_substitution_kernelILj256ELj4E21rocsparse_complex_numIdEEEviiiPT1_PKS3_S6_.uses_vcc, 1
	.set _ZN9rocsparseL39gtsv_spike_backward_substitution_kernelILj256ELj4E21rocsparse_complex_numIdEEEviiiPT1_PKS3_S6_.uses_flat_scratch, 0
	.set _ZN9rocsparseL39gtsv_spike_backward_substitution_kernelILj256ELj4E21rocsparse_complex_numIdEEEviiiPT1_PKS3_S6_.has_dyn_sized_stack, 0
	.set _ZN9rocsparseL39gtsv_spike_backward_substitution_kernelILj256ELj4E21rocsparse_complex_numIdEEEviiiPT1_PKS3_S6_.has_recursion, 0
	.set _ZN9rocsparseL39gtsv_spike_backward_substitution_kernelILj256ELj4E21rocsparse_complex_numIdEEEviiiPT1_PKS3_S6_.has_indirect_call, 0
	.section	.AMDGPU.csdata,"",@progbits
; Kernel info:
; codeLenInByte = 680
; TotalNumSgprs: 16
; NumVgprs: 24
; ScratchSize: 0
; MemoryBound: 0
; FloatMode: 240
; IeeeMode: 1
; LDSByteSize: 0 bytes/workgroup (compile time only)
; SGPRBlocks: 1
; VGPRBlocks: 5
; NumSGPRsForWavesPerEU: 16
; NumVGPRsForWavesPerEU: 24
; Occupancy: 10
; WaveLimiterHint : 0
; COMPUTE_PGM_RSRC2:SCRATCH_EN: 0
; COMPUTE_PGM_RSRC2:USER_SGPR: 6
; COMPUTE_PGM_RSRC2:TRAP_HANDLER: 0
; COMPUTE_PGM_RSRC2:TGID_X_EN: 1
; COMPUTE_PGM_RSRC2:TGID_Y_EN: 1
; COMPUTE_PGM_RSRC2:TGID_Z_EN: 0
; COMPUTE_PGM_RSRC2:TIDIG_COMP_CNT: 0
	.section	.text._ZN9rocsparseL32gtsv_transpose_back_array_kernelILj256ELj4E21rocsparse_complex_numIdEEEviiiPKT1_PS3_,"axG",@progbits,_ZN9rocsparseL32gtsv_transpose_back_array_kernelILj256ELj4E21rocsparse_complex_numIdEEEviiiPKT1_PS3_,comdat
	.globl	_ZN9rocsparseL32gtsv_transpose_back_array_kernelILj256ELj4E21rocsparse_complex_numIdEEEviiiPKT1_PS3_ ; -- Begin function _ZN9rocsparseL32gtsv_transpose_back_array_kernelILj256ELj4E21rocsparse_complex_numIdEEEviiiPKT1_PS3_
	.p2align	8
	.type	_ZN9rocsparseL32gtsv_transpose_back_array_kernelILj256ELj4E21rocsparse_complex_numIdEEEviiiPKT1_PS3_,@function
_ZN9rocsparseL32gtsv_transpose_back_array_kernelILj256ELj4E21rocsparse_complex_numIdEEEviiiPKT1_PS3_: ; @_ZN9rocsparseL32gtsv_transpose_back_array_kernelILj256ELj4E21rocsparse_complex_numIdEEEviiiPKT1_PS3_
; %bb.0:
	s_load_dwordx4 s[0:3], s[4:5], 0x0
	s_waitcnt lgkmcnt(0)
	v_cvt_f32_u32_e32 v1, s1
	s_sub_i32 s3, 0, s1
	v_rcp_iflag_f32_e32 v1, v1
	v_mul_f32_e32 v1, 0x4f7ffffe, v1
	v_cvt_u32_f32_e32 v2, v1
	v_mul_lo_u32 v1, s3, v2
	v_mul_hi_u32 v3, v2, v1
	v_lshl_or_b32 v1, s6, 8, v0
	v_lshlrev_b32_e32 v0, 2, v1
	v_add_u32_e32 v2, v2, v3
	v_mul_hi_u32 v2, v0, v2
	v_mul_lo_u32 v3, v2, s1
	v_add_u32_e32 v4, 1, v2
	v_sub_u32_e32 v3, v0, v3
	v_cmp_le_u32_e32 vcc, s1, v3
	v_cndmask_b32_e32 v2, v2, v4, vcc
	v_subrev_u32_e32 v4, s1, v3
	v_cndmask_b32_e32 v3, v3, v4, vcc
	v_add_u32_e32 v4, 1, v2
	v_cmp_le_u32_e32 vcc, s1, v3
	v_cndmask_b32_e32 v2, v2, v4, vcc
	v_mul_lo_u32 v3, v2, s1
	v_sub_u32_e32 v0, v0, v3
	v_add_u32_e32 v0, v2, v0
	v_cmp_gt_i32_e32 vcc, s0, v0
	s_and_saveexec_b64 s[8:9], vcc
	s_cbranch_execz .LBB295_2
; %bb.1:
	s_load_dwordx4 s[8:11], s[4:5], 0x10
	s_mul_i32 s0, s1, s7
	v_add_u32_e32 v1, s0, v1
	v_ashrrev_i32_e32 v2, 31, v1
	v_lshlrev_b64 v[1:2], 4, v[1:2]
	s_waitcnt lgkmcnt(0)
	v_mov_b32_e32 v3, s9
	v_add_co_u32_e32 v1, vcc, s8, v1
	v_addc_co_u32_e32 v2, vcc, v3, v2, vcc
	global_load_dwordx4 v[1:4], v[1:2], off
	s_mul_i32 s0, s2, s7
	v_add_u32_e32 v5, s0, v0
	v_ashrrev_i32_e32 v6, 31, v5
	v_lshlrev_b64 v[5:6], 4, v[5:6]
	v_mov_b32_e32 v0, s11
	v_add_co_u32_e32 v5, vcc, s10, v5
	v_addc_co_u32_e32 v6, vcc, v0, v6, vcc
	s_waitcnt vmcnt(0)
	global_store_dwordx4 v[5:6], v[1:4], off
.LBB295_2:
	s_endpgm
	.section	.rodata,"a",@progbits
	.p2align	6, 0x0
	.amdhsa_kernel _ZN9rocsparseL32gtsv_transpose_back_array_kernelILj256ELj4E21rocsparse_complex_numIdEEEviiiPKT1_PS3_
		.amdhsa_group_segment_fixed_size 0
		.amdhsa_private_segment_fixed_size 0
		.amdhsa_kernarg_size 32
		.amdhsa_user_sgpr_count 6
		.amdhsa_user_sgpr_private_segment_buffer 1
		.amdhsa_user_sgpr_dispatch_ptr 0
		.amdhsa_user_sgpr_queue_ptr 0
		.amdhsa_user_sgpr_kernarg_segment_ptr 1
		.amdhsa_user_sgpr_dispatch_id 0
		.amdhsa_user_sgpr_flat_scratch_init 0
		.amdhsa_user_sgpr_private_segment_size 0
		.amdhsa_uses_dynamic_stack 0
		.amdhsa_system_sgpr_private_segment_wavefront_offset 0
		.amdhsa_system_sgpr_workgroup_id_x 1
		.amdhsa_system_sgpr_workgroup_id_y 1
		.amdhsa_system_sgpr_workgroup_id_z 0
		.amdhsa_system_sgpr_workgroup_info 0
		.amdhsa_system_vgpr_workitem_id 0
		.amdhsa_next_free_vgpr 7
		.amdhsa_next_free_sgpr 12
		.amdhsa_reserve_vcc 1
		.amdhsa_reserve_flat_scratch 0
		.amdhsa_float_round_mode_32 0
		.amdhsa_float_round_mode_16_64 0
		.amdhsa_float_denorm_mode_32 3
		.amdhsa_float_denorm_mode_16_64 3
		.amdhsa_dx10_clamp 1
		.amdhsa_ieee_mode 1
		.amdhsa_fp16_overflow 0
		.amdhsa_exception_fp_ieee_invalid_op 0
		.amdhsa_exception_fp_denorm_src 0
		.amdhsa_exception_fp_ieee_div_zero 0
		.amdhsa_exception_fp_ieee_overflow 0
		.amdhsa_exception_fp_ieee_underflow 0
		.amdhsa_exception_fp_ieee_inexact 0
		.amdhsa_exception_int_div_zero 0
	.end_amdhsa_kernel
	.section	.text._ZN9rocsparseL32gtsv_transpose_back_array_kernelILj256ELj4E21rocsparse_complex_numIdEEEviiiPKT1_PS3_,"axG",@progbits,_ZN9rocsparseL32gtsv_transpose_back_array_kernelILj256ELj4E21rocsparse_complex_numIdEEEviiiPKT1_PS3_,comdat
.Lfunc_end295:
	.size	_ZN9rocsparseL32gtsv_transpose_back_array_kernelILj256ELj4E21rocsparse_complex_numIdEEEviiiPKT1_PS3_, .Lfunc_end295-_ZN9rocsparseL32gtsv_transpose_back_array_kernelILj256ELj4E21rocsparse_complex_numIdEEEviiiPKT1_PS3_
                                        ; -- End function
	.set _ZN9rocsparseL32gtsv_transpose_back_array_kernelILj256ELj4E21rocsparse_complex_numIdEEEviiiPKT1_PS3_.num_vgpr, 7
	.set _ZN9rocsparseL32gtsv_transpose_back_array_kernelILj256ELj4E21rocsparse_complex_numIdEEEviiiPKT1_PS3_.num_agpr, 0
	.set _ZN9rocsparseL32gtsv_transpose_back_array_kernelILj256ELj4E21rocsparse_complex_numIdEEEviiiPKT1_PS3_.numbered_sgpr, 12
	.set _ZN9rocsparseL32gtsv_transpose_back_array_kernelILj256ELj4E21rocsparse_complex_numIdEEEviiiPKT1_PS3_.num_named_barrier, 0
	.set _ZN9rocsparseL32gtsv_transpose_back_array_kernelILj256ELj4E21rocsparse_complex_numIdEEEviiiPKT1_PS3_.private_seg_size, 0
	.set _ZN9rocsparseL32gtsv_transpose_back_array_kernelILj256ELj4E21rocsparse_complex_numIdEEEviiiPKT1_PS3_.uses_vcc, 1
	.set _ZN9rocsparseL32gtsv_transpose_back_array_kernelILj256ELj4E21rocsparse_complex_numIdEEEviiiPKT1_PS3_.uses_flat_scratch, 0
	.set _ZN9rocsparseL32gtsv_transpose_back_array_kernelILj256ELj4E21rocsparse_complex_numIdEEEviiiPKT1_PS3_.has_dyn_sized_stack, 0
	.set _ZN9rocsparseL32gtsv_transpose_back_array_kernelILj256ELj4E21rocsparse_complex_numIdEEEviiiPKT1_PS3_.has_recursion, 0
	.set _ZN9rocsparseL32gtsv_transpose_back_array_kernelILj256ELj4E21rocsparse_complex_numIdEEEviiiPKT1_PS3_.has_indirect_call, 0
	.section	.AMDGPU.csdata,"",@progbits
; Kernel info:
; codeLenInByte = 248
; TotalNumSgprs: 16
; NumVgprs: 7
; ScratchSize: 0
; MemoryBound: 0
; FloatMode: 240
; IeeeMode: 1
; LDSByteSize: 0 bytes/workgroup (compile time only)
; SGPRBlocks: 1
; VGPRBlocks: 1
; NumSGPRsForWavesPerEU: 16
; NumVGPRsForWavesPerEU: 7
; Occupancy: 10
; WaveLimiterHint : 0
; COMPUTE_PGM_RSRC2:SCRATCH_EN: 0
; COMPUTE_PGM_RSRC2:USER_SGPR: 6
; COMPUTE_PGM_RSRC2:TRAP_HANDLER: 0
; COMPUTE_PGM_RSRC2:TGID_X_EN: 1
; COMPUTE_PGM_RSRC2:TGID_Y_EN: 1
; COMPUTE_PGM_RSRC2:TGID_Z_EN: 0
; COMPUTE_PGM_RSRC2:TIDIG_COMP_CNT: 0
	.section	.text._ZN9rocsparseL42gtsv_transpose_and_pad_array_shared_kernelILj256ELj8E21rocsparse_complex_numIdEEEviiiPKT1_PS3_S3_,"axG",@progbits,_ZN9rocsparseL42gtsv_transpose_and_pad_array_shared_kernelILj256ELj8E21rocsparse_complex_numIdEEEviiiPKT1_PS3_S3_,comdat
	.globl	_ZN9rocsparseL42gtsv_transpose_and_pad_array_shared_kernelILj256ELj8E21rocsparse_complex_numIdEEEviiiPKT1_PS3_S3_ ; -- Begin function _ZN9rocsparseL42gtsv_transpose_and_pad_array_shared_kernelILj256ELj8E21rocsparse_complex_numIdEEEviiiPKT1_PS3_S3_
	.p2align	8
	.type	_ZN9rocsparseL42gtsv_transpose_and_pad_array_shared_kernelILj256ELj8E21rocsparse_complex_numIdEEEviiiPKT1_PS3_S3_,@function
_ZN9rocsparseL42gtsv_transpose_and_pad_array_shared_kernelILj256ELj8E21rocsparse_complex_numIdEEEviiiPKT1_PS3_S3_: ; @_ZN9rocsparseL42gtsv_transpose_and_pad_array_shared_kernelILj256ELj8E21rocsparse_complex_numIdEEEviiiPKT1_PS3_S3_
; %bb.0:
	s_load_dwordx4 s[0:3], s[4:5], 0x0
	v_lshl_or_b32 v2, s6, 8, v0
	v_lshlrev_b32_e32 v1, 4, v0
	s_waitcnt lgkmcnt(0)
	v_cmp_le_i32_e32 vcc, s0, v2
	s_and_saveexec_b64 s[8:9], vcc
	s_xor_b64 s[8:9], exec, s[8:9]
	s_cbranch_execz .LBB296_2
; %bb.1:
	s_load_dwordx4 s[12:15], s[4:5], 0x20
	s_waitcnt lgkmcnt(0)
	v_mov_b32_e32 v2, s12
	v_mov_b32_e32 v3, s13
	;; [unrolled: 1-line block ×4, first 2 shown]
	ds_write_b128 v1, v[2:5]
                                        ; implicit-def: $vgpr2
                                        ; implicit-def: $vgpr1
.LBB296_2:
	s_andn2_saveexec_b64 s[8:9], s[8:9]
	s_cbranch_execz .LBB296_4
; %bb.3:
	s_load_dwordx2 s[10:11], s[4:5], 0x10
	s_mul_i32 s0, s2, s7
	v_add_u32_e32 v2, s0, v2
	v_ashrrev_i32_e32 v3, 31, v2
	v_lshlrev_b64 v[2:3], 4, v[2:3]
	s_waitcnt lgkmcnt(0)
	v_mov_b32_e32 v4, s11
	v_add_co_u32_e32 v2, vcc, s10, v2
	v_addc_co_u32_e32 v3, vcc, v4, v3, vcc
	global_load_dwordx4 v[2:5], v[2:3], off
	s_waitcnt vmcnt(0)
	ds_write2_b64 v1, v[2:3], v[4:5] offset1:1
.LBB296_4:
	s_or_b64 exec, exec, s[8:9]
	v_and_b32_e32 v3, 31, v0
	v_lshrrev_b32_e32 v2, 5, v0
	s_lshr_b32 s0, s1, 3
	v_lshl_or_b32 v0, s6, 5, v3
	v_mad_u64_u32 v[0:1], s[2:3], s0, v2, v[0:1]
	s_waitcnt lgkmcnt(0)
	s_barrier
	v_cmp_gt_i32_e32 vcc, s1, v0
	s_and_saveexec_b64 s[2:3], vcc
	s_cbranch_execz .LBB296_6
; %bb.5:
	s_mul_i32 s0, s1, s7
	s_load_dwordx2 s[2:3], s[4:5], 0x18
	v_lshlrev_b32_e32 v1, 4, v2
	v_add_u32_e32 v0, s0, v0
	v_lshl_or_b32 v2, v3, 7, v1
	v_ashrrev_i32_e32 v1, 31, v0
	v_lshlrev_b64 v[4:5], 4, v[0:1]
	ds_read2_b64 v[0:3], v2 offset1:1
	s_waitcnt lgkmcnt(0)
	v_mov_b32_e32 v6, s3
	v_add_co_u32_e32 v4, vcc, s2, v4
	v_addc_co_u32_e32 v5, vcc, v6, v5, vcc
	global_store_dwordx4 v[4:5], v[0:3], off
.LBB296_6:
	s_endpgm
	.section	.rodata,"a",@progbits
	.p2align	6, 0x0
	.amdhsa_kernel _ZN9rocsparseL42gtsv_transpose_and_pad_array_shared_kernelILj256ELj8E21rocsparse_complex_numIdEEEviiiPKT1_PS3_S3_
		.amdhsa_group_segment_fixed_size 4096
		.amdhsa_private_segment_fixed_size 0
		.amdhsa_kernarg_size 48
		.amdhsa_user_sgpr_count 6
		.amdhsa_user_sgpr_private_segment_buffer 1
		.amdhsa_user_sgpr_dispatch_ptr 0
		.amdhsa_user_sgpr_queue_ptr 0
		.amdhsa_user_sgpr_kernarg_segment_ptr 1
		.amdhsa_user_sgpr_dispatch_id 0
		.amdhsa_user_sgpr_flat_scratch_init 0
		.amdhsa_user_sgpr_private_segment_size 0
		.amdhsa_uses_dynamic_stack 0
		.amdhsa_system_sgpr_private_segment_wavefront_offset 0
		.amdhsa_system_sgpr_workgroup_id_x 1
		.amdhsa_system_sgpr_workgroup_id_y 1
		.amdhsa_system_sgpr_workgroup_id_z 0
		.amdhsa_system_sgpr_workgroup_info 0
		.amdhsa_system_vgpr_workitem_id 0
		.amdhsa_next_free_vgpr 7
		.amdhsa_next_free_sgpr 16
		.amdhsa_reserve_vcc 1
		.amdhsa_reserve_flat_scratch 0
		.amdhsa_float_round_mode_32 0
		.amdhsa_float_round_mode_16_64 0
		.amdhsa_float_denorm_mode_32 3
		.amdhsa_float_denorm_mode_16_64 3
		.amdhsa_dx10_clamp 1
		.amdhsa_ieee_mode 1
		.amdhsa_fp16_overflow 0
		.amdhsa_exception_fp_ieee_invalid_op 0
		.amdhsa_exception_fp_denorm_src 0
		.amdhsa_exception_fp_ieee_div_zero 0
		.amdhsa_exception_fp_ieee_overflow 0
		.amdhsa_exception_fp_ieee_underflow 0
		.amdhsa_exception_fp_ieee_inexact 0
		.amdhsa_exception_int_div_zero 0
	.end_amdhsa_kernel
	.section	.text._ZN9rocsparseL42gtsv_transpose_and_pad_array_shared_kernelILj256ELj8E21rocsparse_complex_numIdEEEviiiPKT1_PS3_S3_,"axG",@progbits,_ZN9rocsparseL42gtsv_transpose_and_pad_array_shared_kernelILj256ELj8E21rocsparse_complex_numIdEEEviiiPKT1_PS3_S3_,comdat
.Lfunc_end296:
	.size	_ZN9rocsparseL42gtsv_transpose_and_pad_array_shared_kernelILj256ELj8E21rocsparse_complex_numIdEEEviiiPKT1_PS3_S3_, .Lfunc_end296-_ZN9rocsparseL42gtsv_transpose_and_pad_array_shared_kernelILj256ELj8E21rocsparse_complex_numIdEEEviiiPKT1_PS3_S3_
                                        ; -- End function
	.set _ZN9rocsparseL42gtsv_transpose_and_pad_array_shared_kernelILj256ELj8E21rocsparse_complex_numIdEEEviiiPKT1_PS3_S3_.num_vgpr, 7
	.set _ZN9rocsparseL42gtsv_transpose_and_pad_array_shared_kernelILj256ELj8E21rocsparse_complex_numIdEEEviiiPKT1_PS3_S3_.num_agpr, 0
	.set _ZN9rocsparseL42gtsv_transpose_and_pad_array_shared_kernelILj256ELj8E21rocsparse_complex_numIdEEEviiiPKT1_PS3_S3_.numbered_sgpr, 16
	.set _ZN9rocsparseL42gtsv_transpose_and_pad_array_shared_kernelILj256ELj8E21rocsparse_complex_numIdEEEviiiPKT1_PS3_S3_.num_named_barrier, 0
	.set _ZN9rocsparseL42gtsv_transpose_and_pad_array_shared_kernelILj256ELj8E21rocsparse_complex_numIdEEEviiiPKT1_PS3_S3_.private_seg_size, 0
	.set _ZN9rocsparseL42gtsv_transpose_and_pad_array_shared_kernelILj256ELj8E21rocsparse_complex_numIdEEEviiiPKT1_PS3_S3_.uses_vcc, 1
	.set _ZN9rocsparseL42gtsv_transpose_and_pad_array_shared_kernelILj256ELj8E21rocsparse_complex_numIdEEEviiiPKT1_PS3_S3_.uses_flat_scratch, 0
	.set _ZN9rocsparseL42gtsv_transpose_and_pad_array_shared_kernelILj256ELj8E21rocsparse_complex_numIdEEEviiiPKT1_PS3_S3_.has_dyn_sized_stack, 0
	.set _ZN9rocsparseL42gtsv_transpose_and_pad_array_shared_kernelILj256ELj8E21rocsparse_complex_numIdEEEviiiPKT1_PS3_S3_.has_recursion, 0
	.set _ZN9rocsparseL42gtsv_transpose_and_pad_array_shared_kernelILj256ELj8E21rocsparse_complex_numIdEEEviiiPKT1_PS3_S3_.has_indirect_call, 0
	.section	.AMDGPU.csdata,"",@progbits
; Kernel info:
; codeLenInByte = 276
; TotalNumSgprs: 20
; NumVgprs: 7
; ScratchSize: 0
; MemoryBound: 0
; FloatMode: 240
; IeeeMode: 1
; LDSByteSize: 4096 bytes/workgroup (compile time only)
; SGPRBlocks: 2
; VGPRBlocks: 1
; NumSGPRsForWavesPerEU: 20
; NumVGPRsForWavesPerEU: 7
; Occupancy: 10
; WaveLimiterHint : 0
; COMPUTE_PGM_RSRC2:SCRATCH_EN: 0
; COMPUTE_PGM_RSRC2:USER_SGPR: 6
; COMPUTE_PGM_RSRC2:TRAP_HANDLER: 0
; COMPUTE_PGM_RSRC2:TGID_X_EN: 1
; COMPUTE_PGM_RSRC2:TGID_Y_EN: 1
; COMPUTE_PGM_RSRC2:TGID_Z_EN: 0
; COMPUTE_PGM_RSRC2:TIDIG_COMP_CNT: 0
	.section	.text._ZN9rocsparseL18gtsv_LBM_wv_kernelILj256ELj8E21rocsparse_complex_numIdEEEviiiPKT1_S5_S5_PS3_S6_S6_Pi,"axG",@progbits,_ZN9rocsparseL18gtsv_LBM_wv_kernelILj256ELj8E21rocsparse_complex_numIdEEEviiiPKT1_S5_S5_PS3_S6_S6_Pi,comdat
	.globl	_ZN9rocsparseL18gtsv_LBM_wv_kernelILj256ELj8E21rocsparse_complex_numIdEEEviiiPKT1_S5_S5_PS3_S6_S6_Pi ; -- Begin function _ZN9rocsparseL18gtsv_LBM_wv_kernelILj256ELj8E21rocsparse_complex_numIdEEEviiiPKT1_S5_S5_PS3_S6_S6_Pi
	.p2align	8
	.type	_ZN9rocsparseL18gtsv_LBM_wv_kernelILj256ELj8E21rocsparse_complex_numIdEEEviiiPKT1_S5_S5_PS3_S6_S6_Pi,@function
_ZN9rocsparseL18gtsv_LBM_wv_kernelILj256ELj8E21rocsparse_complex_numIdEEEviiiPKT1_S5_S5_PS3_S6_S6_Pi: ; @_ZN9rocsparseL18gtsv_LBM_wv_kernelILj256ELj8E21rocsparse_complex_numIdEEEviiiPKT1_S5_S5_PS3_S6_S6_Pi
; %bb.0:
	s_load_dword s29, s[4:5], 0x0
	v_lshl_or_b32 v40, s6, 8, v0
	s_waitcnt lgkmcnt(0)
	s_lshr_b32 s28, s29, 3
	v_cmp_gt_i32_e32 vcc, s28, v40
	s_and_saveexec_b64 s[0:1], vcc
	s_cbranch_execz .LBB297_72
; %bb.1:
	s_load_dwordx2 s[16:17], s[4:5], 0x10
	s_load_dwordx8 s[8:15], s[4:5], 0x20
	v_ashrrev_i32_e32 v41, 31, v40
	v_lshlrev_b64 v[0:1], 4, v[40:41]
	s_mul_i32 s30, s28, 7
	v_add_u32_e32 v9, s30, v40
	v_mov_b32_e32 v10, 0
	s_waitcnt lgkmcnt(0)
	v_mov_b32_e32 v3, s17
	v_add_co_u32_e32 v2, vcc, s16, v0
	v_lshlrev_b64 v[11:12], 4, v[9:10]
	v_addc_co_u32_e32 v3, vcc, v3, v1, vcc
	v_mov_b32_e32 v7, s9
	v_add_co_u32_e32 v6, vcc, s8, v11
	global_load_dwordx4 v[2:5], v[2:3], off
	v_addc_co_u32_e32 v7, vcc, v7, v12, vcc
	global_load_dwordx4 v[6:9], v[6:7], off
	s_load_dwordx2 s[6:7], s[4:5], 0x40
	v_mov_b32_e32 v13, s13
	v_add_co_u32_e32 v11, vcc, s12, v11
	v_addc_co_u32_e32 v12, vcc, v13, v12, vcc
	v_mov_b32_e32 v14, s11
	v_add_co_u32_e32 v41, vcc, s10, v0
	s_cmp_lt_i32 s29, 1
	v_add_u32_e32 v61, s28, v40
	v_addc_co_u32_e32 v42, vcc, v14, v1, vcc
	v_mov_b32_e32 v43, v10
	s_waitcnt vmcnt(1)
	global_store_dwordx4 v[41:42], v[2:5], off
	s_waitcnt vmcnt(1)
	global_store_dwordx4 v[11:12], v[6:9], off
	s_cbranch_scc1 .LBB297_65
; %bb.2:
	s_load_dwordx2 s[18:19], s[4:5], 0x18
	s_mov_b32 s22, 0
	s_mov_b32 s24, 0x372fe950
	s_mul_i32 s31, s28, 6
	s_lshl_b32 s33, s28, 1
	s_waitcnt lgkmcnt(0)
	v_mov_b32_e32 v2, s19
	v_add_co_u32_e32 v0, vcc, s18, v0
	v_addc_co_u32_e32 v1, vcc, v2, v1, vcc
	global_load_dwordx4 v[0:3], v[0:1], off
	v_add_u32_e32 v62, s28, v61
	v_mov_b32_e32 v43, 0
	s_mov_b64 s[20:21], 0
	s_brev_b32 s23, 8
	v_mov_b32_e32 v63, 0x260
	s_mov_b32 s25, 0x3fe3c6ef
	v_mov_b32_e32 v64, 2
	v_mov_b32_e32 v65, 1
	;; [unrolled: 1-line block ×4, first 2 shown]
	s_branch .LBB297_5
.LBB297_3:                              ;   in Loop: Header=BB297_5 Depth=1
	s_or_b64 exec, exec, s[4:5]
	v_mul_f64 v[4:5], v[0:1], -v[32:33]
	v_mul_f64 v[0:1], v[0:1], v[34:35]
	v_mov_b32_e32 v8, s28
	v_fma_f64 v[4:5], v[34:35], v[2:3], v[4:5]
	v_fma_f64 v[2:3], v[32:33], v[2:3], v[0:1]
	v_add_f64 v[0:1], v[20:21], -v[4:5]
	v_add_f64 v[2:3], v[22:23], -v[2:3]
.LBB297_4:                              ;   in Loop: Header=BB297_5 Depth=1
	s_or_b64 exec, exec, s[2:3]
	v_add_u32_e32 v43, v8, v43
	v_cmp_le_i32_e32 vcc, s29, v43
	s_or_b64 s[20:21], vcc, s[20:21]
	s_andn2_b64 exec, exec, s[20:21]
	s_cbranch_execz .LBB297_64
.LBB297_5:                              ; =>This Inner Loop Header: Depth=1
	v_add_u32_e32 v45, v43, v40
	v_ashrrev_i32_e32 v46, 31, v45
	v_lshlrev_b64 v[47:48], 4, v[45:46]
	v_mov_b32_e32 v5, s9
	v_add_co_u32_e32 v4, vcc, s8, v47
	v_addc_co_u32_e32 v5, vcc, v5, v48, vcc
	global_load_dwordx4 v[16:19], v[4:5], off
	v_mov_b32_e32 v20, 0
	v_mov_b32_e32 v4, 0
	;; [unrolled: 1-line block ×6, first 2 shown]
	v_cmp_gt_u32_e64 s[0:1], s30, v43
	s_and_saveexec_b64 s[2:3], s[0:1]
	s_cbranch_execz .LBB297_7
; %bb.6:                                ;   in Loop: Header=BB297_5 Depth=1
	v_add_u32_e32 v4, v61, v43
	v_ashrrev_i32_e32 v5, 31, v4
	v_lshlrev_b64 v[4:5], 4, v[4:5]
	v_mov_b32_e32 v6, s17
	v_add_co_u32_e32 v4, vcc, s16, v4
	v_addc_co_u32_e32 v5, vcc, v6, v5, vcc
	global_load_dwordx4 v[4:7], v[4:5], off
.LBB297_7:                              ;   in Loop: Header=BB297_5 Depth=1
	s_or_b64 exec, exec, s[2:3]
	v_mov_b32_e32 v22, 0
	v_mov_b32_e32 v23, 0
	s_and_saveexec_b64 s[2:3], s[0:1]
	s_cbranch_execz .LBB297_9
; %bb.8:                                ;   in Loop: Header=BB297_5 Depth=1
	v_add_u32_e32 v8, v61, v43
	v_ashrrev_i32_e32 v9, 31, v8
	v_lshlrev_b64 v[8:9], 4, v[8:9]
	v_mov_b32_e32 v10, s19
	v_add_co_u32_e32 v8, vcc, s18, v8
	v_addc_co_u32_e32 v9, vcc, v10, v9, vcc
	global_load_dwordx4 v[20:23], v[8:9], off
.LBB297_9:                              ;   in Loop: Header=BB297_5 Depth=1
	s_or_b64 exec, exec, s[2:3]
	v_mov_b32_e32 v12, 0
	v_mov_b32_e32 v8, 0
	;; [unrolled: 1-line block ×6, first 2 shown]
	s_and_saveexec_b64 s[2:3], s[0:1]
	s_cbranch_execz .LBB297_11
; %bb.10:                               ;   in Loop: Header=BB297_5 Depth=1
	v_add_u32_e32 v8, v61, v43
	v_ashrrev_i32_e32 v9, 31, v8
	v_lshlrev_b64 v[8:9], 4, v[8:9]
	v_mov_b32_e32 v10, s9
	v_add_co_u32_e32 v8, vcc, s8, v8
	v_addc_co_u32_e32 v9, vcc, v10, v9, vcc
	global_load_dwordx4 v[8:11], v[8:9], off
.LBB297_11:                             ;   in Loop: Header=BB297_5 Depth=1
	s_or_b64 exec, exec, s[2:3]
	v_mov_b32_e32 v14, 0
	v_mov_b32_e32 v15, 0
	v_cmp_gt_u32_e64 s[2:3], s31, v43
	s_and_saveexec_b64 s[4:5], s[2:3]
	s_cbranch_execz .LBB297_13
; %bb.12:                               ;   in Loop: Header=BB297_5 Depth=1
	v_add_u32_e32 v12, v62, v43
	v_ashrrev_i32_e32 v13, 31, v12
	v_lshlrev_b64 v[12:13], 4, v[12:13]
	v_mov_b32_e32 v14, s17
	v_add_co_u32_e32 v12, vcc, s16, v12
	v_addc_co_u32_e32 v13, vcc, v14, v13, vcc
	global_load_dwordx4 v[12:15], v[12:13], off
.LBB297_13:                             ;   in Loop: Header=BB297_5 Depth=1
	s_or_b64 exec, exec, s[4:5]
	s_waitcnt vmcnt(0)
	v_cmp_gt_f64_e32 vcc, 0, v[4:5]
	v_xor_b32_e32 v24, 0x80000000, v5
	v_mov_b32_e32 v26, v4
	v_mov_b32_e32 v28, v6
	v_cndmask_b32_e32 v27, v5, v24, vcc
	v_cmp_gt_f64_e32 vcc, 0, v[6:7]
	v_xor_b32_e32 v24, 0x80000000, v7
	v_cndmask_b32_e32 v29, v7, v24, vcc
	v_cmp_ngt_f64_e32 vcc, v[26:27], v[28:29]
                                        ; implicit-def: $vgpr24_vgpr25
	s_and_saveexec_b64 s[4:5], vcc
	s_xor_b64 s[4:5], exec, s[4:5]
	s_cbranch_execz .LBB297_17
; %bb.14:                               ;   in Loop: Header=BB297_5 Depth=1
	v_cmp_neq_f64_e32 vcc, 0, v[6:7]
	v_mov_b32_e32 v24, 0
	v_mov_b32_e32 v25, 0
	s_and_saveexec_b64 s[26:27], vcc
	s_cbranch_execz .LBB297_16
; %bb.15:                               ;   in Loop: Header=BB297_5 Depth=1
	v_div_scale_f64 v[24:25], s[34:35], v[28:29], v[28:29], v[26:27]
	v_rcp_f64_e32 v[30:31], v[24:25]
	v_fma_f64 v[32:33], -v[24:25], v[30:31], 1.0
	v_fma_f64 v[30:31], v[30:31], v[32:33], v[30:31]
	v_div_scale_f64 v[32:33], vcc, v[26:27], v[28:29], v[26:27]
	v_fma_f64 v[34:35], -v[24:25], v[30:31], 1.0
	v_fma_f64 v[30:31], v[30:31], v[34:35], v[30:31]
	v_mul_f64 v[34:35], v[32:33], v[30:31]
	v_fma_f64 v[24:25], -v[24:25], v[34:35], v[32:33]
	v_div_fmas_f64 v[24:25], v[24:25], v[30:31], v[34:35]
	v_div_fixup_f64 v[24:25], v[24:25], v[28:29], v[26:27]
	v_fma_f64 v[24:25], v[24:25], v[24:25], 1.0
	v_cmp_gt_f64_e32 vcc, s[22:23], v[24:25]
	v_cndmask_b32_e32 v26, 0, v66, vcc
	v_ldexp_f64 v[24:25], v[24:25], v26
	v_rsq_f64_e32 v[26:27], v[24:25]
	v_mul_f64 v[30:31], v[24:25], v[26:27]
	v_mul_f64 v[26:27], v[26:27], 0.5
	v_fma_f64 v[32:33], -v[26:27], v[30:31], 0.5
	v_fma_f64 v[30:31], v[30:31], v[32:33], v[30:31]
	v_fma_f64 v[26:27], v[26:27], v[32:33], v[26:27]
	v_fma_f64 v[32:33], -v[30:31], v[30:31], v[24:25]
	v_fma_f64 v[30:31], v[32:33], v[26:27], v[30:31]
	v_fma_f64 v[32:33], -v[30:31], v[30:31], v[24:25]
	v_fma_f64 v[26:27], v[32:33], v[26:27], v[30:31]
	v_cndmask_b32_e32 v30, 0, v67, vcc
	v_cmp_class_f64_e32 vcc, v[24:25], v63
	v_ldexp_f64 v[26:27], v[26:27], v30
	v_cndmask_b32_e32 v25, v27, v25, vcc
	v_cndmask_b32_e32 v24, v26, v24, vcc
	v_mul_f64 v[24:25], v[28:29], v[24:25]
.LBB297_16:                             ;   in Loop: Header=BB297_5 Depth=1
	s_or_b64 exec, exec, s[26:27]
                                        ; implicit-def: $vgpr26_vgpr27
                                        ; implicit-def: $vgpr28_vgpr29
.LBB297_17:                             ;   in Loop: Header=BB297_5 Depth=1
	s_andn2_saveexec_b64 s[4:5], s[4:5]
	s_cbranch_execz .LBB297_19
; %bb.18:                               ;   in Loop: Header=BB297_5 Depth=1
	v_div_scale_f64 v[24:25], s[26:27], v[26:27], v[26:27], v[28:29]
	v_rcp_f64_e32 v[30:31], v[24:25]
	v_fma_f64 v[32:33], -v[24:25], v[30:31], 1.0
	v_fma_f64 v[30:31], v[30:31], v[32:33], v[30:31]
	v_div_scale_f64 v[32:33], vcc, v[28:29], v[26:27], v[28:29]
	v_fma_f64 v[34:35], -v[24:25], v[30:31], 1.0
	v_fma_f64 v[30:31], v[30:31], v[34:35], v[30:31]
	v_mul_f64 v[34:35], v[32:33], v[30:31]
	v_fma_f64 v[24:25], -v[24:25], v[34:35], v[32:33]
	v_div_fmas_f64 v[24:25], v[24:25], v[30:31], v[34:35]
	v_div_fixup_f64 v[24:25], v[24:25], v[26:27], v[28:29]
	v_fma_f64 v[24:25], v[24:25], v[24:25], 1.0
	v_cmp_gt_f64_e32 vcc, s[22:23], v[24:25]
	v_cndmask_b32_e32 v28, 0, v66, vcc
	v_ldexp_f64 v[24:25], v[24:25], v28
	v_rsq_f64_e32 v[28:29], v[24:25]
	v_mul_f64 v[30:31], v[24:25], v[28:29]
	v_mul_f64 v[28:29], v[28:29], 0.5
	v_fma_f64 v[32:33], -v[28:29], v[30:31], 0.5
	v_fma_f64 v[30:31], v[30:31], v[32:33], v[30:31]
	v_fma_f64 v[28:29], v[28:29], v[32:33], v[28:29]
	v_fma_f64 v[32:33], -v[30:31], v[30:31], v[24:25]
	v_fma_f64 v[30:31], v[32:33], v[28:29], v[30:31]
	v_fma_f64 v[32:33], -v[30:31], v[30:31], v[24:25]
	v_fma_f64 v[28:29], v[32:33], v[28:29], v[30:31]
	v_cndmask_b32_e32 v30, 0, v67, vcc
	v_cmp_class_f64_e32 vcc, v[24:25], v63
	v_ldexp_f64 v[28:29], v[28:29], v30
	v_cndmask_b32_e32 v25, v29, v25, vcc
	v_cndmask_b32_e32 v24, v28, v24, vcc
	v_mul_f64 v[24:25], v[26:27], v[24:25]
.LBB297_19:                             ;   in Loop: Header=BB297_5 Depth=1
	s_or_b64 exec, exec, s[4:5]
	v_cmp_gt_f64_e32 vcc, 0, v[12:13]
	v_xor_b32_e32 v26, 0x80000000, v13
	v_mov_b32_e32 v28, v12
	v_mov_b32_e32 v30, v14
	v_cndmask_b32_e32 v29, v13, v26, vcc
	v_cmp_gt_f64_e32 vcc, 0, v[14:15]
	v_xor_b32_e32 v26, 0x80000000, v15
	v_cndmask_b32_e32 v31, v15, v26, vcc
	v_cmp_ngt_f64_e32 vcc, v[28:29], v[30:31]
                                        ; implicit-def: $vgpr26_vgpr27
	s_and_saveexec_b64 s[4:5], vcc
	s_xor_b64 s[4:5], exec, s[4:5]
	s_cbranch_execz .LBB297_23
; %bb.20:                               ;   in Loop: Header=BB297_5 Depth=1
	v_cmp_neq_f64_e32 vcc, 0, v[14:15]
	v_mov_b32_e32 v26, 0
	v_mov_b32_e32 v27, 0
	s_and_saveexec_b64 s[26:27], vcc
	s_cbranch_execz .LBB297_22
; %bb.21:                               ;   in Loop: Header=BB297_5 Depth=1
	v_div_scale_f64 v[26:27], s[34:35], v[30:31], v[30:31], v[28:29]
	v_rcp_f64_e32 v[32:33], v[26:27]
	v_fma_f64 v[34:35], -v[26:27], v[32:33], 1.0
	v_fma_f64 v[32:33], v[32:33], v[34:35], v[32:33]
	v_div_scale_f64 v[34:35], vcc, v[28:29], v[30:31], v[28:29]
	v_fma_f64 v[36:37], -v[26:27], v[32:33], 1.0
	v_fma_f64 v[32:33], v[32:33], v[36:37], v[32:33]
	v_mul_f64 v[36:37], v[34:35], v[32:33]
	v_fma_f64 v[26:27], -v[26:27], v[36:37], v[34:35]
	v_div_fmas_f64 v[26:27], v[26:27], v[32:33], v[36:37]
	v_div_fixup_f64 v[26:27], v[26:27], v[30:31], v[28:29]
	v_fma_f64 v[26:27], v[26:27], v[26:27], 1.0
	v_cmp_gt_f64_e32 vcc, s[22:23], v[26:27]
	v_cndmask_b32_e32 v28, 0, v66, vcc
	v_ldexp_f64 v[26:27], v[26:27], v28
	v_rsq_f64_e32 v[28:29], v[26:27]
	v_mul_f64 v[32:33], v[26:27], v[28:29]
	v_mul_f64 v[28:29], v[28:29], 0.5
	v_fma_f64 v[34:35], -v[28:29], v[32:33], 0.5
	v_fma_f64 v[32:33], v[32:33], v[34:35], v[32:33]
	v_fma_f64 v[28:29], v[28:29], v[34:35], v[28:29]
	v_fma_f64 v[34:35], -v[32:33], v[32:33], v[26:27]
	v_fma_f64 v[32:33], v[34:35], v[28:29], v[32:33]
	v_fma_f64 v[34:35], -v[32:33], v[32:33], v[26:27]
	v_fma_f64 v[28:29], v[34:35], v[28:29], v[32:33]
	v_cndmask_b32_e32 v32, 0, v67, vcc
	v_cmp_class_f64_e32 vcc, v[26:27], v63
	v_ldexp_f64 v[28:29], v[28:29], v32
	v_cndmask_b32_e32 v27, v29, v27, vcc
	v_cndmask_b32_e32 v26, v28, v26, vcc
	v_mul_f64 v[26:27], v[30:31], v[26:27]
.LBB297_22:                             ;   in Loop: Header=BB297_5 Depth=1
	s_or_b64 exec, exec, s[26:27]
                                        ; implicit-def: $vgpr28_vgpr29
                                        ; implicit-def: $vgpr30_vgpr31
.LBB297_23:                             ;   in Loop: Header=BB297_5 Depth=1
	s_andn2_saveexec_b64 s[4:5], s[4:5]
	s_cbranch_execz .LBB297_25
; %bb.24:                               ;   in Loop: Header=BB297_5 Depth=1
	v_div_scale_f64 v[26:27], s[26:27], v[28:29], v[28:29], v[30:31]
	v_rcp_f64_e32 v[32:33], v[26:27]
	v_fma_f64 v[34:35], -v[26:27], v[32:33], 1.0
	v_fma_f64 v[32:33], v[32:33], v[34:35], v[32:33]
	v_div_scale_f64 v[34:35], vcc, v[30:31], v[28:29], v[30:31]
	v_fma_f64 v[36:37], -v[26:27], v[32:33], 1.0
	v_fma_f64 v[32:33], v[32:33], v[36:37], v[32:33]
	v_mul_f64 v[36:37], v[34:35], v[32:33]
	v_fma_f64 v[26:27], -v[26:27], v[36:37], v[34:35]
	v_div_fmas_f64 v[26:27], v[26:27], v[32:33], v[36:37]
	v_div_fixup_f64 v[26:27], v[26:27], v[28:29], v[30:31]
	v_fma_f64 v[26:27], v[26:27], v[26:27], 1.0
	v_cmp_gt_f64_e32 vcc, s[22:23], v[26:27]
	v_cndmask_b32_e32 v30, 0, v66, vcc
	v_ldexp_f64 v[26:27], v[26:27], v30
	v_rsq_f64_e32 v[30:31], v[26:27]
	v_mul_f64 v[32:33], v[26:27], v[30:31]
	v_mul_f64 v[30:31], v[30:31], 0.5
	v_fma_f64 v[34:35], -v[30:31], v[32:33], 0.5
	v_fma_f64 v[32:33], v[32:33], v[34:35], v[32:33]
	v_fma_f64 v[30:31], v[30:31], v[34:35], v[30:31]
	v_fma_f64 v[34:35], -v[32:33], v[32:33], v[26:27]
	v_fma_f64 v[32:33], v[34:35], v[30:31], v[32:33]
	v_fma_f64 v[34:35], -v[32:33], v[32:33], v[26:27]
	v_fma_f64 v[30:31], v[34:35], v[30:31], v[32:33]
	v_cndmask_b32_e32 v32, 0, v67, vcc
	v_cmp_class_f64_e32 vcc, v[26:27], v63
	v_ldexp_f64 v[30:31], v[30:31], v32
	v_cndmask_b32_e32 v27, v31, v27, vcc
	v_cndmask_b32_e32 v26, v30, v26, vcc
	v_mul_f64 v[26:27], v[28:29], v[26:27]
.LBB297_25:                             ;   in Loop: Header=BB297_5 Depth=1
	s_or_b64 exec, exec, s[4:5]
	v_cmp_gt_f64_e32 vcc, 0, v[20:21]
	v_xor_b32_e32 v28, 0x80000000, v21
	v_mov_b32_e32 v30, v20
	v_mov_b32_e32 v32, v22
	v_cndmask_b32_e32 v31, v21, v28, vcc
	v_cmp_gt_f64_e32 vcc, 0, v[22:23]
	v_xor_b32_e32 v28, 0x80000000, v23
	v_cndmask_b32_e32 v33, v23, v28, vcc
	v_cmp_ngt_f64_e32 vcc, v[30:31], v[32:33]
                                        ; implicit-def: $vgpr28_vgpr29
	s_and_saveexec_b64 s[4:5], vcc
	s_xor_b64 s[4:5], exec, s[4:5]
	s_cbranch_execz .LBB297_29
; %bb.26:                               ;   in Loop: Header=BB297_5 Depth=1
	v_cmp_neq_f64_e32 vcc, 0, v[22:23]
	v_mov_b32_e32 v28, 0
	v_mov_b32_e32 v29, 0
	s_and_saveexec_b64 s[26:27], vcc
	s_cbranch_execz .LBB297_28
; %bb.27:                               ;   in Loop: Header=BB297_5 Depth=1
	v_div_scale_f64 v[28:29], s[34:35], v[32:33], v[32:33], v[30:31]
	v_rcp_f64_e32 v[34:35], v[28:29]
	v_fma_f64 v[36:37], -v[28:29], v[34:35], 1.0
	v_fma_f64 v[34:35], v[34:35], v[36:37], v[34:35]
	v_div_scale_f64 v[36:37], vcc, v[30:31], v[32:33], v[30:31]
	v_fma_f64 v[38:39], -v[28:29], v[34:35], 1.0
	v_fma_f64 v[34:35], v[34:35], v[38:39], v[34:35]
	v_mul_f64 v[38:39], v[36:37], v[34:35]
	v_fma_f64 v[28:29], -v[28:29], v[38:39], v[36:37]
	v_div_fmas_f64 v[28:29], v[28:29], v[34:35], v[38:39]
	v_div_fixup_f64 v[28:29], v[28:29], v[32:33], v[30:31]
	v_fma_f64 v[28:29], v[28:29], v[28:29], 1.0
	v_cmp_gt_f64_e32 vcc, s[22:23], v[28:29]
	v_cndmask_b32_e32 v30, 0, v66, vcc
	v_ldexp_f64 v[28:29], v[28:29], v30
	v_rsq_f64_e32 v[30:31], v[28:29]
	v_mul_f64 v[34:35], v[28:29], v[30:31]
	v_mul_f64 v[30:31], v[30:31], 0.5
	v_fma_f64 v[36:37], -v[30:31], v[34:35], 0.5
	v_fma_f64 v[34:35], v[34:35], v[36:37], v[34:35]
	v_fma_f64 v[30:31], v[30:31], v[36:37], v[30:31]
	v_fma_f64 v[36:37], -v[34:35], v[34:35], v[28:29]
	v_fma_f64 v[34:35], v[36:37], v[30:31], v[34:35]
	v_fma_f64 v[36:37], -v[34:35], v[34:35], v[28:29]
	v_fma_f64 v[30:31], v[36:37], v[30:31], v[34:35]
	v_cndmask_b32_e32 v34, 0, v67, vcc
	v_cmp_class_f64_e32 vcc, v[28:29], v63
	v_ldexp_f64 v[30:31], v[30:31], v34
	v_cndmask_b32_e32 v29, v31, v29, vcc
	v_cndmask_b32_e32 v28, v30, v28, vcc
	v_mul_f64 v[28:29], v[32:33], v[28:29]
.LBB297_28:                             ;   in Loop: Header=BB297_5 Depth=1
	s_or_b64 exec, exec, s[26:27]
                                        ; implicit-def: $vgpr30_vgpr31
                                        ; implicit-def: $vgpr32_vgpr33
.LBB297_29:                             ;   in Loop: Header=BB297_5 Depth=1
	s_andn2_saveexec_b64 s[4:5], s[4:5]
	s_cbranch_execz .LBB297_31
; %bb.30:                               ;   in Loop: Header=BB297_5 Depth=1
	v_div_scale_f64 v[28:29], s[26:27], v[30:31], v[30:31], v[32:33]
	v_rcp_f64_e32 v[34:35], v[28:29]
	v_fma_f64 v[36:37], -v[28:29], v[34:35], 1.0
	v_fma_f64 v[34:35], v[34:35], v[36:37], v[34:35]
	v_div_scale_f64 v[36:37], vcc, v[32:33], v[30:31], v[32:33]
	v_fma_f64 v[38:39], -v[28:29], v[34:35], 1.0
	v_fma_f64 v[34:35], v[34:35], v[38:39], v[34:35]
	v_mul_f64 v[38:39], v[36:37], v[34:35]
	v_fma_f64 v[28:29], -v[28:29], v[38:39], v[36:37]
	v_div_fmas_f64 v[28:29], v[28:29], v[34:35], v[38:39]
	v_div_fixup_f64 v[28:29], v[28:29], v[30:31], v[32:33]
	v_fma_f64 v[28:29], v[28:29], v[28:29], 1.0
	v_cmp_gt_f64_e32 vcc, s[22:23], v[28:29]
	v_cndmask_b32_e32 v32, 0, v66, vcc
	v_ldexp_f64 v[28:29], v[28:29], v32
	v_rsq_f64_e32 v[32:33], v[28:29]
	v_mul_f64 v[34:35], v[28:29], v[32:33]
	v_mul_f64 v[32:33], v[32:33], 0.5
	v_fma_f64 v[36:37], -v[32:33], v[34:35], 0.5
	v_fma_f64 v[34:35], v[34:35], v[36:37], v[34:35]
	v_fma_f64 v[32:33], v[32:33], v[36:37], v[32:33]
	v_fma_f64 v[36:37], -v[34:35], v[34:35], v[28:29]
	v_fma_f64 v[34:35], v[36:37], v[32:33], v[34:35]
	v_fma_f64 v[36:37], -v[34:35], v[34:35], v[28:29]
	v_fma_f64 v[32:33], v[36:37], v[32:33], v[34:35]
	v_cndmask_b32_e32 v34, 0, v67, vcc
	v_cmp_class_f64_e32 vcc, v[28:29], v63
	v_ldexp_f64 v[32:33], v[32:33], v34
	v_cndmask_b32_e32 v29, v33, v29, vcc
	v_cndmask_b32_e32 v28, v32, v28, vcc
	v_mul_f64 v[28:29], v[30:31], v[28:29]
.LBB297_31:                             ;   in Loop: Header=BB297_5 Depth=1
	s_or_b64 exec, exec, s[4:5]
	v_cmp_gt_f64_e32 vcc, 0, v[16:17]
	v_xor_b32_e32 v30, 0x80000000, v17
	v_mov_b32_e32 v32, v16
	v_mov_b32_e32 v34, v18
	v_cndmask_b32_e32 v33, v17, v30, vcc
	v_cmp_gt_f64_e32 vcc, 0, v[18:19]
	v_xor_b32_e32 v30, 0x80000000, v19
	v_cndmask_b32_e32 v35, v19, v30, vcc
	v_cmp_ngt_f64_e32 vcc, v[32:33], v[34:35]
                                        ; implicit-def: $vgpr30_vgpr31
	s_and_saveexec_b64 s[4:5], vcc
	s_xor_b64 s[4:5], exec, s[4:5]
	s_cbranch_execz .LBB297_35
; %bb.32:                               ;   in Loop: Header=BB297_5 Depth=1
	v_cmp_neq_f64_e32 vcc, 0, v[18:19]
	v_mov_b32_e32 v30, 0
	v_mov_b32_e32 v31, 0
	s_and_saveexec_b64 s[26:27], vcc
	s_cbranch_execz .LBB297_34
; %bb.33:                               ;   in Loop: Header=BB297_5 Depth=1
	v_div_scale_f64 v[30:31], s[34:35], v[34:35], v[34:35], v[32:33]
	v_rcp_f64_e32 v[36:37], v[30:31]
	v_fma_f64 v[38:39], -v[30:31], v[36:37], 1.0
	v_fma_f64 v[36:37], v[36:37], v[38:39], v[36:37]
	v_div_scale_f64 v[38:39], vcc, v[32:33], v[34:35], v[32:33]
	v_fma_f64 v[49:50], -v[30:31], v[36:37], 1.0
	v_fma_f64 v[36:37], v[36:37], v[49:50], v[36:37]
	v_mul_f64 v[49:50], v[38:39], v[36:37]
	v_fma_f64 v[30:31], -v[30:31], v[49:50], v[38:39]
	v_div_fmas_f64 v[30:31], v[30:31], v[36:37], v[49:50]
	v_div_fixup_f64 v[30:31], v[30:31], v[34:35], v[32:33]
	v_fma_f64 v[30:31], v[30:31], v[30:31], 1.0
	v_cmp_gt_f64_e32 vcc, s[22:23], v[30:31]
	v_cndmask_b32_e32 v32, 0, v66, vcc
	v_ldexp_f64 v[30:31], v[30:31], v32
	v_rsq_f64_e32 v[32:33], v[30:31]
	v_mul_f64 v[36:37], v[30:31], v[32:33]
	v_mul_f64 v[32:33], v[32:33], 0.5
	v_fma_f64 v[38:39], -v[32:33], v[36:37], 0.5
	v_fma_f64 v[36:37], v[36:37], v[38:39], v[36:37]
	v_fma_f64 v[32:33], v[32:33], v[38:39], v[32:33]
	v_fma_f64 v[38:39], -v[36:37], v[36:37], v[30:31]
	v_fma_f64 v[36:37], v[38:39], v[32:33], v[36:37]
	v_fma_f64 v[38:39], -v[36:37], v[36:37], v[30:31]
	v_fma_f64 v[32:33], v[38:39], v[32:33], v[36:37]
	v_cndmask_b32_e32 v36, 0, v67, vcc
	v_cmp_class_f64_e32 vcc, v[30:31], v63
	v_ldexp_f64 v[32:33], v[32:33], v36
	v_cndmask_b32_e32 v31, v33, v31, vcc
	v_cndmask_b32_e32 v30, v32, v30, vcc
	v_mul_f64 v[30:31], v[34:35], v[30:31]
.LBB297_34:                             ;   in Loop: Header=BB297_5 Depth=1
	s_or_b64 exec, exec, s[26:27]
                                        ; implicit-def: $vgpr32_vgpr33
                                        ; implicit-def: $vgpr34_vgpr35
.LBB297_35:                             ;   in Loop: Header=BB297_5 Depth=1
	s_andn2_saveexec_b64 s[4:5], s[4:5]
	s_cbranch_execz .LBB297_37
; %bb.36:                               ;   in Loop: Header=BB297_5 Depth=1
	v_div_scale_f64 v[30:31], s[26:27], v[32:33], v[32:33], v[34:35]
	v_rcp_f64_e32 v[36:37], v[30:31]
	v_fma_f64 v[38:39], -v[30:31], v[36:37], 1.0
	v_fma_f64 v[36:37], v[36:37], v[38:39], v[36:37]
	v_div_scale_f64 v[38:39], vcc, v[34:35], v[32:33], v[34:35]
	v_fma_f64 v[49:50], -v[30:31], v[36:37], 1.0
	v_fma_f64 v[36:37], v[36:37], v[49:50], v[36:37]
	v_mul_f64 v[49:50], v[38:39], v[36:37]
	v_fma_f64 v[30:31], -v[30:31], v[49:50], v[38:39]
	v_div_fmas_f64 v[30:31], v[30:31], v[36:37], v[49:50]
	v_div_fixup_f64 v[30:31], v[30:31], v[32:33], v[34:35]
	v_fma_f64 v[30:31], v[30:31], v[30:31], 1.0
	v_cmp_gt_f64_e32 vcc, s[22:23], v[30:31]
	v_cndmask_b32_e32 v34, 0, v66, vcc
	v_ldexp_f64 v[30:31], v[30:31], v34
	v_rsq_f64_e32 v[34:35], v[30:31]
	v_mul_f64 v[36:37], v[30:31], v[34:35]
	v_mul_f64 v[34:35], v[34:35], 0.5
	v_fma_f64 v[38:39], -v[34:35], v[36:37], 0.5
	v_fma_f64 v[36:37], v[36:37], v[38:39], v[36:37]
	v_fma_f64 v[34:35], v[34:35], v[38:39], v[34:35]
	v_fma_f64 v[38:39], -v[36:37], v[36:37], v[30:31]
	v_fma_f64 v[36:37], v[38:39], v[34:35], v[36:37]
	v_fma_f64 v[38:39], -v[36:37], v[36:37], v[30:31]
	v_fma_f64 v[34:35], v[38:39], v[34:35], v[36:37]
	v_cndmask_b32_e32 v36, 0, v67, vcc
	v_cmp_class_f64_e32 vcc, v[30:31], v63
	v_ldexp_f64 v[34:35], v[34:35], v36
	v_cndmask_b32_e32 v31, v35, v31, vcc
	v_cndmask_b32_e32 v30, v34, v30, vcc
	v_mul_f64 v[30:31], v[32:33], v[30:31]
.LBB297_37:                             ;   in Loop: Header=BB297_5 Depth=1
	s_or_b64 exec, exec, s[4:5]
	v_cmp_gt_f64_e32 vcc, 0, v[8:9]
	v_xor_b32_e32 v32, 0x80000000, v9
	v_xor_b32_e32 v34, 0x80000000, v11
                                        ; implicit-def: $vgpr36_vgpr37
	v_cndmask_b32_e32 v33, v9, v32, vcc
	v_cmp_gt_f64_e32 vcc, 0, v[10:11]
	v_mov_b32_e32 v32, v8
	v_cndmask_b32_e32 v35, v11, v34, vcc
	v_mov_b32_e32 v34, v10
	v_cmp_ngt_f64_e32 vcc, v[32:33], v[34:35]
	s_and_saveexec_b64 s[4:5], vcc
	s_xor_b64 s[4:5], exec, s[4:5]
	s_cbranch_execz .LBB297_41
; %bb.38:                               ;   in Loop: Header=BB297_5 Depth=1
	v_cmp_neq_f64_e32 vcc, 0, v[10:11]
	v_mov_b32_e32 v36, 0
	v_mov_b32_e32 v37, 0
	s_and_saveexec_b64 s[26:27], vcc
	s_cbranch_execz .LBB297_40
; %bb.39:                               ;   in Loop: Header=BB297_5 Depth=1
	v_div_scale_f64 v[36:37], s[34:35], v[34:35], v[34:35], v[32:33]
	v_rcp_f64_e32 v[38:39], v[36:37]
	v_fma_f64 v[49:50], -v[36:37], v[38:39], 1.0
	v_fma_f64 v[38:39], v[38:39], v[49:50], v[38:39]
	v_div_scale_f64 v[49:50], vcc, v[32:33], v[34:35], v[32:33]
	v_fma_f64 v[51:52], -v[36:37], v[38:39], 1.0
	v_fma_f64 v[38:39], v[38:39], v[51:52], v[38:39]
	v_mul_f64 v[51:52], v[49:50], v[38:39]
	v_fma_f64 v[36:37], -v[36:37], v[51:52], v[49:50]
	v_div_fmas_f64 v[36:37], v[36:37], v[38:39], v[51:52]
	v_div_fixup_f64 v[32:33], v[36:37], v[34:35], v[32:33]
	v_fma_f64 v[32:33], v[32:33], v[32:33], 1.0
	v_cmp_gt_f64_e32 vcc, s[22:23], v[32:33]
	v_cndmask_b32_e32 v36, 0, v66, vcc
	v_ldexp_f64 v[32:33], v[32:33], v36
	v_rsq_f64_e32 v[36:37], v[32:33]
	v_mul_f64 v[38:39], v[32:33], v[36:37]
	v_mul_f64 v[36:37], v[36:37], 0.5
	v_fma_f64 v[49:50], -v[36:37], v[38:39], 0.5
	v_fma_f64 v[38:39], v[38:39], v[49:50], v[38:39]
	v_fma_f64 v[36:37], v[36:37], v[49:50], v[36:37]
	v_fma_f64 v[49:50], -v[38:39], v[38:39], v[32:33]
	v_fma_f64 v[38:39], v[49:50], v[36:37], v[38:39]
	v_fma_f64 v[49:50], -v[38:39], v[38:39], v[32:33]
	v_fma_f64 v[36:37], v[49:50], v[36:37], v[38:39]
	v_cndmask_b32_e32 v38, 0, v67, vcc
	v_cmp_class_f64_e32 vcc, v[32:33], v63
	v_ldexp_f64 v[36:37], v[36:37], v38
	v_cndmask_b32_e32 v33, v37, v33, vcc
	v_cndmask_b32_e32 v32, v36, v32, vcc
	v_mul_f64 v[36:37], v[34:35], v[32:33]
.LBB297_40:                             ;   in Loop: Header=BB297_5 Depth=1
	s_or_b64 exec, exec, s[26:27]
                                        ; implicit-def: $vgpr32_vgpr33
                                        ; implicit-def: $vgpr34_vgpr35
.LBB297_41:                             ;   in Loop: Header=BB297_5 Depth=1
	s_andn2_saveexec_b64 s[4:5], s[4:5]
	s_cbranch_execz .LBB297_43
; %bb.42:                               ;   in Loop: Header=BB297_5 Depth=1
	v_div_scale_f64 v[36:37], s[26:27], v[32:33], v[32:33], v[34:35]
	v_rcp_f64_e32 v[38:39], v[36:37]
	v_fma_f64 v[49:50], -v[36:37], v[38:39], 1.0
	v_fma_f64 v[38:39], v[38:39], v[49:50], v[38:39]
	v_div_scale_f64 v[49:50], vcc, v[34:35], v[32:33], v[34:35]
	v_fma_f64 v[51:52], -v[36:37], v[38:39], 1.0
	v_fma_f64 v[38:39], v[38:39], v[51:52], v[38:39]
	v_mul_f64 v[51:52], v[49:50], v[38:39]
	v_fma_f64 v[36:37], -v[36:37], v[51:52], v[49:50]
	v_div_fmas_f64 v[36:37], v[36:37], v[38:39], v[51:52]
	v_div_fixup_f64 v[34:35], v[36:37], v[32:33], v[34:35]
	v_fma_f64 v[34:35], v[34:35], v[34:35], 1.0
	v_cmp_gt_f64_e32 vcc, s[22:23], v[34:35]
	v_cndmask_b32_e32 v36, 0, v66, vcc
	v_ldexp_f64 v[34:35], v[34:35], v36
	v_rsq_f64_e32 v[36:37], v[34:35]
	v_mul_f64 v[38:39], v[34:35], v[36:37]
	v_mul_f64 v[36:37], v[36:37], 0.5
	v_fma_f64 v[49:50], -v[36:37], v[38:39], 0.5
	v_fma_f64 v[38:39], v[38:39], v[49:50], v[38:39]
	v_fma_f64 v[36:37], v[36:37], v[49:50], v[36:37]
	v_fma_f64 v[49:50], -v[38:39], v[38:39], v[34:35]
	v_fma_f64 v[38:39], v[49:50], v[36:37], v[38:39]
	v_fma_f64 v[49:50], -v[38:39], v[38:39], v[34:35]
	v_fma_f64 v[36:37], v[49:50], v[36:37], v[38:39]
	v_cndmask_b32_e32 v38, 0, v67, vcc
	v_cmp_class_f64_e32 vcc, v[34:35], v63
	v_ldexp_f64 v[36:37], v[36:37], v38
	v_cndmask_b32_e32 v35, v37, v35, vcc
	v_cndmask_b32_e32 v34, v36, v34, vcc
	v_mul_f64 v[36:37], v[32:33], v[34:35]
.LBB297_43:                             ;   in Loop: Header=BB297_5 Depth=1
	s_or_b64 exec, exec, s[4:5]
	v_cmp_gt_f64_e32 vcc, 0, v[0:1]
	v_xor_b32_e32 v32, 0x80000000, v1
	v_xor_b32_e32 v34, 0x80000000, v3
                                        ; implicit-def: $vgpr38_vgpr39
	v_cndmask_b32_e32 v33, v1, v32, vcc
	v_cmp_gt_f64_e32 vcc, 0, v[2:3]
	v_mov_b32_e32 v32, v0
	v_cndmask_b32_e32 v35, v3, v34, vcc
	v_mov_b32_e32 v34, v2
	v_cmp_ngt_f64_e32 vcc, v[32:33], v[34:35]
	s_and_saveexec_b64 s[4:5], vcc
	s_xor_b64 s[4:5], exec, s[4:5]
	s_cbranch_execz .LBB297_47
; %bb.44:                               ;   in Loop: Header=BB297_5 Depth=1
	v_cmp_neq_f64_e32 vcc, 0, v[2:3]
	v_mov_b32_e32 v38, 0
	v_mov_b32_e32 v39, 0
	s_and_saveexec_b64 s[26:27], vcc
	s_cbranch_execz .LBB297_46
; %bb.45:                               ;   in Loop: Header=BB297_5 Depth=1
	v_div_scale_f64 v[38:39], s[34:35], v[34:35], v[34:35], v[32:33]
	v_rcp_f64_e32 v[49:50], v[38:39]
	v_fma_f64 v[51:52], -v[38:39], v[49:50], 1.0
	v_fma_f64 v[49:50], v[49:50], v[51:52], v[49:50]
	v_div_scale_f64 v[51:52], vcc, v[32:33], v[34:35], v[32:33]
	v_fma_f64 v[53:54], -v[38:39], v[49:50], 1.0
	v_fma_f64 v[49:50], v[49:50], v[53:54], v[49:50]
	v_mul_f64 v[53:54], v[51:52], v[49:50]
	v_fma_f64 v[38:39], -v[38:39], v[53:54], v[51:52]
	v_div_fmas_f64 v[38:39], v[38:39], v[49:50], v[53:54]
	v_div_fixup_f64 v[32:33], v[38:39], v[34:35], v[32:33]
	v_fma_f64 v[32:33], v[32:33], v[32:33], 1.0
	v_cmp_gt_f64_e32 vcc, s[22:23], v[32:33]
	v_cndmask_b32_e32 v38, 0, v66, vcc
	v_ldexp_f64 v[32:33], v[32:33], v38
	v_cndmask_b32_e32 v44, 0, v67, vcc
	v_rsq_f64_e32 v[38:39], v[32:33]
	v_cmp_class_f64_e32 vcc, v[32:33], v63
	v_mul_f64 v[49:50], v[32:33], v[38:39]
	v_mul_f64 v[38:39], v[38:39], 0.5
	v_fma_f64 v[51:52], -v[38:39], v[49:50], 0.5
	v_fma_f64 v[49:50], v[49:50], v[51:52], v[49:50]
	v_fma_f64 v[38:39], v[38:39], v[51:52], v[38:39]
	v_fma_f64 v[51:52], -v[49:50], v[49:50], v[32:33]
	v_fma_f64 v[49:50], v[51:52], v[38:39], v[49:50]
	v_fma_f64 v[51:52], -v[49:50], v[49:50], v[32:33]
	v_fma_f64 v[38:39], v[51:52], v[38:39], v[49:50]
	v_ldexp_f64 v[38:39], v[38:39], v44
	v_cndmask_b32_e32 v33, v39, v33, vcc
	v_cndmask_b32_e32 v32, v38, v32, vcc
	v_mul_f64 v[38:39], v[34:35], v[32:33]
.LBB297_46:                             ;   in Loop: Header=BB297_5 Depth=1
	s_or_b64 exec, exec, s[26:27]
                                        ; implicit-def: $vgpr32_vgpr33
                                        ; implicit-def: $vgpr34_vgpr35
.LBB297_47:                             ;   in Loop: Header=BB297_5 Depth=1
	s_andn2_saveexec_b64 s[4:5], s[4:5]
	s_cbranch_execz .LBB297_49
; %bb.48:                               ;   in Loop: Header=BB297_5 Depth=1
	v_div_scale_f64 v[38:39], s[26:27], v[32:33], v[32:33], v[34:35]
	v_rcp_f64_e32 v[49:50], v[38:39]
	v_fma_f64 v[51:52], -v[38:39], v[49:50], 1.0
	v_fma_f64 v[49:50], v[49:50], v[51:52], v[49:50]
	v_div_scale_f64 v[51:52], vcc, v[34:35], v[32:33], v[34:35]
	v_fma_f64 v[53:54], -v[38:39], v[49:50], 1.0
	v_fma_f64 v[49:50], v[49:50], v[53:54], v[49:50]
	v_mul_f64 v[53:54], v[51:52], v[49:50]
	v_fma_f64 v[38:39], -v[38:39], v[53:54], v[51:52]
	v_div_fmas_f64 v[38:39], v[38:39], v[49:50], v[53:54]
	v_div_fixup_f64 v[34:35], v[38:39], v[32:33], v[34:35]
	v_fma_f64 v[34:35], v[34:35], v[34:35], 1.0
	v_cmp_gt_f64_e32 vcc, s[22:23], v[34:35]
	v_cndmask_b32_e32 v38, 0, v66, vcc
	v_ldexp_f64 v[34:35], v[34:35], v38
	v_cndmask_b32_e32 v44, 0, v67, vcc
	v_rsq_f64_e32 v[38:39], v[34:35]
	v_cmp_class_f64_e32 vcc, v[34:35], v63
	v_mul_f64 v[49:50], v[34:35], v[38:39]
	v_mul_f64 v[38:39], v[38:39], 0.5
	v_fma_f64 v[51:52], -v[38:39], v[49:50], 0.5
	v_fma_f64 v[49:50], v[49:50], v[51:52], v[49:50]
	v_fma_f64 v[38:39], v[38:39], v[51:52], v[38:39]
	v_fma_f64 v[51:52], -v[49:50], v[49:50], v[34:35]
	v_fma_f64 v[49:50], v[51:52], v[38:39], v[49:50]
	v_fma_f64 v[51:52], -v[49:50], v[49:50], v[34:35]
	v_fma_f64 v[38:39], v[51:52], v[38:39], v[49:50]
	v_ldexp_f64 v[38:39], v[38:39], v44
	v_cndmask_b32_e32 v35, v39, v35, vcc
	v_cndmask_b32_e32 v34, v38, v34, vcc
	v_mul_f64 v[38:39], v[32:33], v[34:35]
.LBB297_49:                             ;   in Loop: Header=BB297_5 Depth=1
	s_or_b64 exec, exec, s[4:5]
	v_mul_f64 v[32:33], v[18:19], -v[6:7]
	v_mul_f64 v[49:50], v[18:19], v[4:5]
                                        ; implicit-def: $vgpr53_vgpr54
	v_fma_f64 v[34:35], v[4:5], v[16:17], v[32:33]
	v_fma_f64 v[32:33], v[6:7], v[16:17], v[49:50]
	v_cmp_gt_f64_e32 vcc, 0, v[34:35]
	v_xor_b32_e32 v44, 0x80000000, v35
	v_xor_b32_e32 v51, 0x80000000, v33
	v_mov_b32_e32 v49, v34
	v_cndmask_b32_e32 v50, v35, v44, vcc
	v_cmp_gt_f64_e32 vcc, 0, v[32:33]
	v_cndmask_b32_e32 v52, v33, v51, vcc
	v_mov_b32_e32 v51, v32
	v_cmp_ngt_f64_e32 vcc, v[49:50], v[51:52]
	s_and_saveexec_b64 s[4:5], vcc
	s_xor_b64 s[4:5], exec, s[4:5]
	s_cbranch_execz .LBB297_53
; %bb.50:                               ;   in Loop: Header=BB297_5 Depth=1
	v_cmp_neq_f64_e32 vcc, 0, v[32:33]
	v_mov_b32_e32 v53, 0
	v_mov_b32_e32 v54, 0
	s_and_saveexec_b64 s[26:27], vcc
	s_cbranch_execz .LBB297_52
; %bb.51:                               ;   in Loop: Header=BB297_5 Depth=1
	v_div_scale_f64 v[53:54], s[34:35], v[51:52], v[51:52], v[49:50]
	v_rcp_f64_e32 v[55:56], v[53:54]
	v_fma_f64 v[57:58], -v[53:54], v[55:56], 1.0
	v_fma_f64 v[55:56], v[55:56], v[57:58], v[55:56]
	v_div_scale_f64 v[57:58], vcc, v[49:50], v[51:52], v[49:50]
	v_fma_f64 v[59:60], -v[53:54], v[55:56], 1.0
	v_fma_f64 v[55:56], v[55:56], v[59:60], v[55:56]
	v_mul_f64 v[59:60], v[57:58], v[55:56]
	v_fma_f64 v[53:54], -v[53:54], v[59:60], v[57:58]
	v_div_fmas_f64 v[53:54], v[53:54], v[55:56], v[59:60]
	v_div_fixup_f64 v[49:50], v[53:54], v[51:52], v[49:50]
	v_fma_f64 v[49:50], v[49:50], v[49:50], 1.0
	v_cmp_gt_f64_e32 vcc, s[22:23], v[49:50]
	v_cndmask_b32_e32 v44, 0, v66, vcc
	v_ldexp_f64 v[49:50], v[49:50], v44
	v_cndmask_b32_e32 v44, 0, v67, vcc
	v_rsq_f64_e32 v[53:54], v[49:50]
	v_cmp_class_f64_e32 vcc, v[49:50], v63
	v_mul_f64 v[55:56], v[49:50], v[53:54]
	v_mul_f64 v[53:54], v[53:54], 0.5
	v_fma_f64 v[57:58], -v[53:54], v[55:56], 0.5
	v_fma_f64 v[55:56], v[55:56], v[57:58], v[55:56]
	v_fma_f64 v[53:54], v[53:54], v[57:58], v[53:54]
	v_fma_f64 v[57:58], -v[55:56], v[55:56], v[49:50]
	v_fma_f64 v[55:56], v[57:58], v[53:54], v[55:56]
	v_fma_f64 v[57:58], -v[55:56], v[55:56], v[49:50]
	v_fma_f64 v[53:54], v[57:58], v[53:54], v[55:56]
	v_ldexp_f64 v[53:54], v[53:54], v44
	v_cndmask_b32_e32 v50, v54, v50, vcc
	v_cndmask_b32_e32 v49, v53, v49, vcc
	v_mul_f64 v[53:54], v[51:52], v[49:50]
.LBB297_52:                             ;   in Loop: Header=BB297_5 Depth=1
	s_or_b64 exec, exec, s[26:27]
                                        ; implicit-def: $vgpr49_vgpr50
                                        ; implicit-def: $vgpr51_vgpr52
.LBB297_53:                             ;   in Loop: Header=BB297_5 Depth=1
	s_andn2_saveexec_b64 s[4:5], s[4:5]
	s_cbranch_execz .LBB297_55
; %bb.54:                               ;   in Loop: Header=BB297_5 Depth=1
	v_div_scale_f64 v[53:54], s[26:27], v[49:50], v[49:50], v[51:52]
	v_rcp_f64_e32 v[55:56], v[53:54]
	v_fma_f64 v[57:58], -v[53:54], v[55:56], 1.0
	v_fma_f64 v[55:56], v[55:56], v[57:58], v[55:56]
	v_div_scale_f64 v[57:58], vcc, v[51:52], v[49:50], v[51:52]
	v_fma_f64 v[59:60], -v[53:54], v[55:56], 1.0
	v_fma_f64 v[55:56], v[55:56], v[59:60], v[55:56]
	v_mul_f64 v[59:60], v[57:58], v[55:56]
	v_fma_f64 v[53:54], -v[53:54], v[59:60], v[57:58]
	v_div_fmas_f64 v[53:54], v[53:54], v[55:56], v[59:60]
	v_div_fixup_f64 v[51:52], v[53:54], v[49:50], v[51:52]
	v_fma_f64 v[51:52], v[51:52], v[51:52], 1.0
	v_cmp_gt_f64_e32 vcc, s[22:23], v[51:52]
	v_cndmask_b32_e32 v44, 0, v66, vcc
	v_ldexp_f64 v[51:52], v[51:52], v44
	v_cndmask_b32_e32 v44, 0, v67, vcc
	v_rsq_f64_e32 v[53:54], v[51:52]
	v_cmp_class_f64_e32 vcc, v[51:52], v63
	v_mul_f64 v[55:56], v[51:52], v[53:54]
	v_mul_f64 v[53:54], v[53:54], 0.5
	v_fma_f64 v[57:58], -v[53:54], v[55:56], 0.5
	v_fma_f64 v[55:56], v[55:56], v[57:58], v[55:56]
	v_fma_f64 v[53:54], v[53:54], v[57:58], v[53:54]
	v_fma_f64 v[57:58], -v[55:56], v[55:56], v[51:52]
	v_fma_f64 v[55:56], v[57:58], v[53:54], v[55:56]
	v_fma_f64 v[57:58], -v[55:56], v[55:56], v[51:52]
	v_fma_f64 v[53:54], v[57:58], v[53:54], v[55:56]
	v_ldexp_f64 v[53:54], v[53:54], v44
	v_cndmask_b32_e32 v52, v54, v52, vcc
	v_cndmask_b32_e32 v51, v53, v51, vcc
	v_mul_f64 v[53:54], v[49:50], v[51:52]
.LBB297_55:                             ;   in Loop: Header=BB297_5 Depth=1
	s_or_b64 exec, exec, s[4:5]
	v_cmp_lt_f64_e32 vcc, v[24:25], v[26:27]
	v_cmp_ne_u32_e64 s[4:5], s30, v43
	v_cndmask_b32_e32 v25, v25, v27, vcc
	v_cndmask_b32_e32 v24, v24, v26, vcc
	v_cmp_lt_f64_e32 vcc, v[28:29], v[24:25]
	v_mul_f64 v[26:27], v[53:54], s[24:25]
	v_cndmask_b32_e32 v25, v29, v25, vcc
	v_cndmask_b32_e32 v24, v28, v24, vcc
	v_cmp_lt_f64_e32 vcc, v[30:31], v[24:25]
	v_cndmask_b32_e32 v25, v31, v25, vcc
	v_cndmask_b32_e32 v24, v30, v24, vcc
	v_cmp_lt_f64_e32 vcc, v[36:37], v[24:25]
	v_cndmask_b32_e32 v25, v37, v25, vcc
	v_cndmask_b32_e32 v24, v36, v24, vcc
	v_mul_f64 v[24:25], v[24:25], v[38:39]
	v_cmp_nge_f64_e32 vcc, v[24:25], v[26:27]
	s_and_b64 s[4:5], s[4:5], vcc
	s_and_saveexec_b64 s[26:27], s[4:5]
	s_xor_b64 s[4:5], exec, s[26:27]
	s_cbranch_execz .LBB297_61
; %bb.56:                               ;   in Loop: Header=BB297_5 Depth=1
	v_mul_f64 v[26:27], v[0:1], v[22:23]
	v_mul_f64 v[24:25], v[22:23], -v[2:3]
	v_ashrrev_i32_e32 v44, 31, v43
	v_add_u32_e32 v53, v61, v43
	v_ashrrev_i32_e32 v54, 31, v53
	v_lshlrev_b64 v[55:56], 4, v[53:54]
	v_fma_f64 v[26:27], v[2:3], v[20:21], v[26:27]
	v_fma_f64 v[24:25], v[0:1], v[20:21], v[24:25]
	v_add_f64 v[26:27], v[26:27], -v[32:33]
	v_add_f64 v[24:25], v[24:25], -v[34:35]
	v_mul_f64 v[28:29], v[26:27], v[26:27]
	v_fma_f64 v[28:29], v[24:25], v[24:25], v[28:29]
	v_div_scale_f64 v[30:31], s[26:27], v[28:29], v[28:29], 1.0
	v_rcp_f64_e32 v[32:33], v[30:31]
	v_fma_f64 v[34:35], -v[30:31], v[32:33], 1.0
	v_fma_f64 v[32:33], v[32:33], v[34:35], v[32:33]
	v_fma_f64 v[34:35], -v[30:31], v[32:33], 1.0
	v_fma_f64 v[32:33], v[32:33], v[34:35], v[32:33]
	v_div_scale_f64 v[34:35], vcc, 1.0, v[28:29], 1.0
	v_mul_f64 v[36:37], v[34:35], v[32:33]
	v_fma_f64 v[30:31], -v[30:31], v[36:37], v[34:35]
	s_nop 1
	v_div_fmas_f64 v[30:31], v[30:31], v[32:33], v[36:37]
	v_mov_b32_e32 v32, s13
	v_mov_b32_e32 v36, s13
	v_div_fixup_f64 v[28:29], v[30:31], v[28:29], 1.0
	v_fma_f64 v[30:31], v[26:27], 0, v[24:25]
	v_fma_f64 v[24:25], v[24:25], 0, -v[26:27]
	v_mul_f64 v[49:50], v[30:31], v[28:29]
	v_mul_f64 v[51:52], v[24:25], v[28:29]
	v_lshlrev_b64 v[24:25], 4, v[43:44]
	v_mov_b32_e32 v28, s11
	v_add_co_u32_e32 v72, vcc, v41, v24
	v_addc_co_u32_e32 v73, vcc, v42, v25, vcc
	v_add_co_u32_e32 v57, vcc, s10, v55
	v_addc_co_u32_e32 v58, vcc, v28, v56, vcc
	global_load_dwordx4 v[24:27], v[72:73], off
	global_load_dwordx4 v[28:31], v[57:58], off
	v_add_co_u32_e32 v74, vcc, s12, v47
	v_addc_co_u32_e32 v75, vcc, v32, v48, vcc
	global_load_dwordx4 v[32:35], v[74:75], off
	v_add_co_u32_e32 v59, vcc, s12, v55
	v_addc_co_u32_e32 v60, vcc, v36, v56, vcc
	global_load_dwordx4 v[36:39], v[59:60], off
	s_waitcnt vmcnt(3)
	v_mul_f64 v[70:71], v[20:21], v[26:27]
	s_waitcnt vmcnt(2)
	v_mul_f64 v[78:79], v[16:17], v[30:31]
	v_mul_f64 v[68:69], v[26:27], -v[22:23]
	v_mul_f64 v[76:77], v[30:31], -v[18:19]
	v_fma_f64 v[70:71], v[22:23], v[24:25], v[70:71]
	v_fma_f64 v[78:79], v[18:19], v[28:29], v[78:79]
	;; [unrolled: 1-line block ×4, first 2 shown]
	v_add_f64 v[70:71], v[70:71], -v[78:79]
	v_add_f64 v[76:77], v[68:69], -v[76:77]
	v_mul_f64 v[68:69], v[51:52], -v[70:71]
	v_fma_f64 v[68:69], v[76:77], v[49:50], v[68:69]
	v_mul_f64 v[76:77], v[51:52], v[76:77]
	v_fma_f64 v[70:71], v[70:71], v[49:50], v[76:77]
	global_store_dwordx4 v[72:73], v[68:71], off
	s_waitcnt vmcnt(2)
	v_mul_f64 v[68:69], v[34:35], -v[22:23]
	s_waitcnt vmcnt(1)
	v_mul_f64 v[70:71], v[16:17], v[38:39]
	v_fma_f64 v[68:69], v[20:21], v[32:33], v[68:69]
	v_mul_f64 v[20:21], v[20:21], v[34:35]
	v_fma_f64 v[70:71], v[18:19], v[36:37], v[70:71]
	v_fma_f64 v[20:21], v[22:23], v[32:33], v[20:21]
	v_mul_f64 v[22:23], v[38:39], -v[18:19]
	v_fma_f64 v[22:23], v[16:17], v[36:37], v[22:23]
	v_add_f64 v[22:23], v[68:69], -v[22:23]
	v_add_f64 v[68:69], v[20:21], -v[70:71]
	v_mul_f64 v[20:21], v[51:52], -v[68:69]
	v_fma_f64 v[20:21], v[22:23], v[49:50], v[20:21]
	v_mul_f64 v[22:23], v[51:52], v[22:23]
	v_fma_f64 v[22:23], v[68:69], v[49:50], v[22:23]
	global_store_dwordx4 v[74:75], v[20:23], off
	s_nop 0
	v_mul_f64 v[20:21], v[18:19], v[10:11]
	v_fma_f64 v[20:21], -v[16:17], v[8:9], v[20:21]
	v_mul_f64 v[16:17], v[10:11], -v[16:17]
	v_fma_f64 v[18:19], -v[18:19], v[8:9], v[16:17]
	v_mul_f64 v[16:17], v[51:52], -v[18:19]
	v_fma_f64 v[16:17], v[20:21], v[49:50], v[16:17]
	v_mul_f64 v[20:21], v[51:52], v[20:21]
	v_fma_f64 v[18:19], v[18:19], v[49:50], v[20:21]
	v_add_co_u32_e32 v20, vcc, s14, v47
	v_mov_b32_e32 v21, s15
	v_addc_co_u32_e32 v21, vcc, v21, v48, vcc
	global_store_dwordx4 v[20:21], v[16:19], off
	s_nop 0
	v_lshlrev_b64 v[16:17], 2, v[45:46]
	v_mov_b32_e32 v18, s7
	v_add_co_u32_e32 v16, vcc, s6, v16
	v_addc_co_u32_e32 v17, vcc, v18, v17, vcc
	global_store_dword v[16:17], v64, off
	s_and_saveexec_b64 s[26:27], s[0:1]
	s_cbranch_execz .LBB297_58
; %bb.57:                               ;   in Loop: Header=BB297_5 Depth=1
	v_mul_f64 v[16:17], v[6:7], v[26:27]
	v_mul_f64 v[18:19], v[26:27], -v[4:5]
	v_mul_f64 v[20:21], v[30:31], -v[2:3]
	v_mul_f64 v[22:23], v[0:1], v[30:31]
	v_mul_f64 v[44:45], v[6:7], v[34:35]
	v_mul_f64 v[34:35], v[34:35], -v[4:5]
	v_mul_f64 v[46:47], v[0:1], v[38:39]
	v_mul_f64 v[38:39], v[38:39], -v[2:3]
	v_fma_f64 v[16:17], -v[4:5], v[24:25], v[16:17]
	v_fma_f64 v[18:19], -v[6:7], v[24:25], v[18:19]
	v_fma_f64 v[20:21], v[0:1], v[28:29], v[20:21]
	v_fma_f64 v[22:23], v[2:3], v[28:29], v[22:23]
	v_fma_f64 v[44:45], -v[4:5], v[32:33], v[44:45]
	v_fma_f64 v[32:33], -v[6:7], v[32:33], v[34:35]
	v_fma_f64 v[34:35], v[2:3], v[36:37], v[46:47]
	v_fma_f64 v[36:37], v[0:1], v[36:37], v[38:39]
	v_mul_f64 v[38:39], v[0:1], v[10:11]
	v_mul_f64 v[46:47], v[10:11], -v[2:3]
	v_add_f64 v[16:17], v[16:17], v[20:21]
	v_add_f64 v[18:19], v[18:19], v[22:23]
	;; [unrolled: 1-line block ×4, first 2 shown]
	v_fma_f64 v[34:35], v[2:3], v[8:9], v[38:39]
	v_fma_f64 v[32:33], v[0:1], v[8:9], v[46:47]
	v_mul_f64 v[38:39], v[51:52], v[16:17]
	v_mul_f64 v[36:37], v[51:52], -v[18:19]
	v_mul_f64 v[44:45], v[51:52], -v[22:23]
	v_mul_f64 v[46:47], v[51:52], v[20:21]
	v_mul_f64 v[68:69], v[51:52], -v[34:35]
	v_mul_f64 v[70:71], v[51:52], v[32:33]
	v_fma_f64 v[18:19], v[18:19], v[49:50], v[38:39]
	v_fma_f64 v[16:17], v[16:17], v[49:50], v[36:37]
	v_mov_b32_e32 v36, s15
	v_fma_f64 v[20:21], v[20:21], v[49:50], v[44:45]
	v_fma_f64 v[22:23], v[22:23], v[49:50], v[46:47]
	;; [unrolled: 1-line block ×4, first 2 shown]
	global_store_dwordx4 v[57:58], v[16:19], off
	global_store_dwordx4 v[59:60], v[20:23], off
	v_add_co_u32_e32 v16, vcc, s14, v55
	v_addc_co_u32_e32 v17, vcc, v36, v56, vcc
	global_store_dwordx4 v[16:17], v[32:35], off
	v_lshlrev_b64 v[16:17], 2, v[53:54]
	v_mov_b32_e32 v18, s7
	v_add_co_u32_e32 v16, vcc, s6, v16
	v_addc_co_u32_e32 v17, vcc, v18, v17, vcc
	global_store_dword v[16:17], v64, off
.LBB297_58:                             ;   in Loop: Header=BB297_5 Depth=1
	s_or_b64 exec, exec, s[26:27]
	v_mov_b32_e32 v16, 0
	v_mov_b32_e32 v18, 0
	;; [unrolled: 1-line block ×4, first 2 shown]
	s_and_saveexec_b64 s[26:27], s[2:3]
	s_cbranch_execz .LBB297_60
; %bb.59:                               ;   in Loop: Header=BB297_5 Depth=1
	v_add_u32_e32 v16, v62, v43
	v_ashrrev_i32_e32 v17, 31, v16
	v_lshlrev_b64 v[20:21], 4, v[16:17]
	v_mov_b32_e32 v16, s11
	v_add_co_u32_e32 v32, vcc, s10, v20
	v_addc_co_u32_e32 v33, vcc, v16, v21, vcc
	v_mov_b32_e32 v22, s19
	v_add_co_u32_e32 v20, vcc, s18, v20
	v_addc_co_u32_e32 v21, vcc, v22, v21, vcc
	global_load_dwordx4 v[16:19], v[32:33], off
	v_mul_f64 v[34:35], v[6:7], v[14:15]
	global_load_dwordx4 v[20:23], v[20:21], off
	v_mul_f64 v[36:37], v[14:15], -v[4:5]
	v_mul_f64 v[38:39], v[14:15], -v[2:3]
	v_mul_f64 v[44:45], v[0:1], v[14:15]
	v_fma_f64 v[4:5], -v[4:5], v[12:13], v[34:35]
	v_fma_f64 v[6:7], -v[6:7], v[12:13], v[36:37]
	v_fma_f64 v[34:35], v[0:1], v[12:13], v[38:39]
	v_fma_f64 v[36:37], v[2:3], v[12:13], v[44:45]
	v_mul_f64 v[38:39], v[2:3], -v[14:15]
	v_mul_f64 v[2:3], v[2:3], v[12:13]
	v_mul_f64 v[44:45], v[51:52], v[4:5]
	v_mul_f64 v[46:47], v[51:52], -v[6:7]
	v_mul_f64 v[53:54], v[51:52], v[34:35]
	v_mul_f64 v[55:56], v[51:52], -v[36:37]
	v_fma_f64 v[12:13], v[12:13], v[0:1], v[38:39]
	v_fma_f64 v[0:1], v[14:15], v[0:1], v[2:3]
	;; [unrolled: 1-line block ×6, first 2 shown]
	v_mul_f64 v[34:35], v[10:11], v[12:13]
	v_mul_f64 v[10:11], v[10:11], -v[0:1]
	v_mul_f64 v[36:37], v[2:3], v[26:27]
	v_mul_f64 v[26:27], v[26:27], -v[4:5]
	v_mul_f64 v[38:39], v[30:31], -v[6:7]
	v_mul_f64 v[30:31], v[14:15], v[30:31]
	v_fma_f64 v[0:1], v[0:1], v[8:9], v[34:35]
	v_fma_f64 v[8:9], v[12:13], v[8:9], v[10:11]
	v_fma_f64 v[4:5], -v[4:5], v[24:25], v[36:37]
	v_fma_f64 v[2:3], -v[2:3], v[24:25], v[26:27]
	v_fma_f64 v[10:11], v[14:15], v[28:29], v[38:39]
	v_fma_f64 v[6:7], v[6:7], v[28:29], v[30:31]
	v_mul_f64 v[12:13], v[51:52], -v[0:1]
	v_mul_f64 v[14:15], v[51:52], v[8:9]
	v_add_f64 v[4:5], v[4:5], -v[10:11]
	v_add_f64 v[2:3], v[2:3], -v[6:7]
	v_fma_f64 v[6:7], v[8:9], v[49:50], v[12:13]
	v_fma_f64 v[8:9], v[0:1], v[49:50], v[14:15]
	s_waitcnt vmcnt(1)
	v_add_f64 v[0:1], v[4:5], v[16:17]
	v_add_f64 v[2:3], v[2:3], v[18:19]
	s_waitcnt vmcnt(0)
	v_add_f64 v[18:19], v[20:21], -v[6:7]
	v_add_f64 v[16:17], v[22:23], -v[8:9]
	global_store_dwordx4 v[32:33], v[0:3], off
.LBB297_60:                             ;   in Loop: Header=BB297_5 Depth=1
	s_or_b64 exec, exec, s[26:27]
	v_mov_b32_e32 v2, v16
	v_mov_b32_e32 v0, v18
	;; [unrolled: 1-line block ×4, first 2 shown]
                                        ; implicit-def: $vgpr4_vgpr5
                                        ; implicit-def: $vgpr20_vgpr21
                                        ; implicit-def: $vgpr34_vgpr35
                                        ; implicit-def: $vgpr32_vgpr33
                                        ; implicit-def: $vgpr45_vgpr46
                                        ; implicit-def: $vgpr47_vgpr48
                                        ; implicit-def: $vgpr18_vgpr19
.LBB297_61:                             ;   in Loop: Header=BB297_5 Depth=1
	s_or_saveexec_b64 s[2:3], s[4:5]
	v_mov_b32_e32 v8, s33
	s_xor_b64 exec, exec, s[2:3]
	s_cbranch_execz .LBB297_4
; %bb.62:                               ;   in Loop: Header=BB297_5 Depth=1
	v_mul_f64 v[8:9], v[2:3], v[2:3]
	v_ashrrev_i32_e32 v44, 31, v43
	v_mov_b32_e32 v12, s13
	v_mov_b32_e32 v53, s15
	v_fma_f64 v[24:25], v[0:1], v[0:1], v[8:9]
	v_lshlrev_b64 v[8:9], 4, v[43:44]
	v_lshlrev_b64 v[44:45], 2, v[45:46]
	v_add_co_u32_e32 v30, vcc, v41, v8
	v_addc_co_u32_e32 v31, vcc, v42, v9, vcc
	v_add_co_u32_e32 v38, vcc, s12, v47
	v_div_scale_f64 v[26:27], s[4:5], v[24:25], v[24:25], 1.0
	global_load_dwordx4 v[8:11], v[30:31], off
	v_addc_co_u32_e32 v39, vcc, v12, v48, vcc
	global_load_dwordx4 v[12:15], v[38:39], off
	v_mov_b32_e32 v46, s7
	v_rcp_f64_e32 v[28:29], v[26:27]
	v_fma_f64 v[36:37], -v[26:27], v[28:29], 1.0
	v_fma_f64 v[28:29], v[28:29], v[36:37], v[28:29]
	v_div_scale_f64 v[36:37], vcc, 1.0, v[24:25], 1.0
	v_fma_f64 v[49:50], -v[26:27], v[28:29], 1.0
	v_fma_f64 v[28:29], v[28:29], v[49:50], v[28:29]
	v_mul_f64 v[49:50], v[36:37], v[28:29]
	v_fma_f64 v[26:27], -v[26:27], v[49:50], v[36:37]
	v_div_fmas_f64 v[26:27], v[26:27], v[28:29], v[49:50]
	v_fma_f64 v[28:29], v[0:1], 0, -v[2:3]
	v_fma_f64 v[2:3], v[2:3], 0, v[0:1]
	v_div_fixup_f64 v[24:25], v[26:27], v[24:25], 1.0
	v_mul_f64 v[0:1], v[28:29], v[24:25]
	v_mul_f64 v[2:3], v[2:3], v[24:25]
	v_mul_f64 v[24:25], v[0:1], -v[18:19]
	v_mul_f64 v[26:27], v[0:1], v[16:17]
	s_waitcnt vmcnt(1)
	v_mul_f64 v[28:29], v[0:1], -v[10:11]
	v_mul_f64 v[36:37], v[0:1], v[8:9]
	s_waitcnt vmcnt(0)
	v_mul_f64 v[49:50], v[0:1], -v[14:15]
	v_mul_f64 v[51:52], v[0:1], v[12:13]
	v_fma_f64 v[16:17], v[16:17], v[2:3], v[24:25]
	v_fma_f64 v[18:19], v[18:19], v[2:3], v[26:27]
	;; [unrolled: 1-line block ×6, first 2 shown]
	v_add_co_u32_e32 v28, vcc, s14, v47
	v_addc_co_u32_e32 v29, vcc, v53, v48, vcc
	v_add_co_u32_e32 v36, vcc, s6, v44
	v_addc_co_u32_e32 v37, vcc, v46, v45, vcc
	global_store_dwordx4 v[30:31], v[24:27], off
	global_store_dwordx4 v[38:39], v[12:15], off
	;; [unrolled: 1-line block ×3, first 2 shown]
	global_store_dword v[36:37], v65, off
	s_and_saveexec_b64 s[4:5], s[0:1]
	s_cbranch_execz .LBB297_3
; %bb.63:                               ;   in Loop: Header=BB297_5 Depth=1
	v_add_u32_e32 v12, v61, v43
	v_ashrrev_i32_e32 v13, 31, v12
	v_lshlrev_b64 v[12:13], 4, v[12:13]
	v_mov_b32_e32 v14, s11
	v_add_co_u32_e32 v16, vcc, s10, v12
	v_addc_co_u32_e32 v17, vcc, v14, v13, vcc
	global_load_dwordx4 v[12:15], v[16:17], off
	v_mul_f64 v[18:19], v[0:1], v[4:5]
	v_mul_f64 v[24:25], v[0:1], -v[6:7]
	v_fma_f64 v[6:7], v[6:7], v[2:3], v[18:19]
	v_fma_f64 v[4:5], v[4:5], v[2:3], v[24:25]
	v_mul_f64 v[18:19], v[6:7], v[10:11]
	v_mul_f64 v[10:11], v[10:11], -v[4:5]
	v_fma_f64 v[4:5], -v[4:5], v[8:9], v[18:19]
	v_fma_f64 v[6:7], -v[6:7], v[8:9], v[10:11]
	s_waitcnt vmcnt(0)
	v_add_f64 v[4:5], v[4:5], v[12:13]
	v_add_f64 v[6:7], v[6:7], v[14:15]
	global_store_dwordx4 v[16:17], v[4:7], off
	s_branch .LBB297_3
.LBB297_64:
	s_or_b64 exec, exec, s[20:21]
.LBB297_65:
	v_subrev_u32_e32 v2, s28, v43
	v_add_u32_e32 v0, v2, v40
	v_ashrrev_i32_e32 v1, 31, v0
	v_lshlrev_b64 v[0:1], 2, v[0:1]
	s_waitcnt lgkmcnt(0)
	v_mov_b32_e32 v3, s7
	v_add_co_u32_e32 v0, vcc, s6, v0
	v_addc_co_u32_e32 v1, vcc, v3, v1, vcc
	s_waitcnt vmcnt(0)
	buffer_wbinvl1_vol
	global_load_dword v0, v[0:1], off
	s_waitcnt vmcnt(0)
	v_mul_lo_u32 v0, v0, s28
	v_sub_u32_e32 v4, v2, v0
	v_cmp_lt_i32_e32 vcc, -1, v4
	s_and_b64 exec, exec, vcc
	s_cbranch_execz .LBB297_72
; %bb.66:
	v_subrev_u32_e32 v14, s28, v40
	s_lshl_b32 s4, s28, 1
	s_mov_b64 s[0:1], 0
	v_mov_b32_e32 v15, s7
	v_mov_b32_e32 v16, s15
	s_branch .LBB297_68
.LBB297_67:                             ;   in Loop: Header=BB297_68 Depth=1
	s_or_b64 exec, exec, s[2:3]
	s_waitcnt vmcnt(0)
	v_lshlrev_b64 v[0:1], 4, v[6:7]
	v_mov_b32_e32 v2, s13
	v_add_co_u32_e32 v6, vcc, s12, v0
	v_addc_co_u32_e32 v7, vcc, v2, v1, vcc
	global_load_dwordx4 v[0:3], v[6:7], off
	v_sub_u32_e32 v4, v4, v5
	v_cmp_gt_i32_e32 vcc, 0, v4
	s_or_b64 s[0:1], vcc, s[0:1]
	s_waitcnt vmcnt(0)
	v_add_f64 v[0:1], v[0:1], v[10:11]
	v_add_f64 v[2:3], v[12:13], v[2:3]
	global_store_dwordx4 v[6:7], v[0:3], off
	s_andn2_b64 exec, exec, s[0:1]
	s_cbranch_execz .LBB297_72
.LBB297_68:                             ; =>This Inner Loop Header: Depth=1
	v_add_u32_e32 v6, v4, v40
	v_ashrrev_i32_e32 v7, 31, v6
	v_lshlrev_b64 v[0:1], 2, v[6:7]
	v_lshlrev_b64 v[8:9], 4, v[6:7]
	v_add_co_u32_e32 v0, vcc, s6, v0
	v_addc_co_u32_e32 v1, vcc, v15, v1, vcc
	global_load_dword v5, v[0:1], off
	v_add_co_u32_e32 v0, vcc, s14, v8
	v_addc_co_u32_e32 v1, vcc, v16, v9, vcc
	global_load_dwordx4 v[0:3], v[0:1], off
                                        ; implicit-def: $vgpr12_vgpr13
                                        ; implicit-def: $vgpr10_vgpr11
	s_waitcnt vmcnt(1)
	v_cmp_ne_u32_e32 vcc, 1, v5
	s_and_saveexec_b64 s[2:3], vcc
	s_xor_b64 s[2:3], exec, s[2:3]
	s_cbranch_execz .LBB297_70
; %bb.69:                               ;   in Loop: Header=BB297_68 Depth=1
	v_add_u32_e32 v5, v61, v4
	v_ashrrev_i32_e32 v6, 31, v5
	v_lshlrev_b64 v[5:6], 4, v[5:6]
	v_mov_b32_e32 v7, s11
	v_add_co_u32_e32 v29, vcc, s10, v5
	v_addc_co_u32_e32 v30, vcc, v7, v6, vcc
	global_load_dwordx4 v[10:13], v[29:30], off
	v_mov_b32_e32 v7, s13
	v_add_co_u32_e32 v31, vcc, s12, v5
	v_ashrrev_i32_e32 v5, 31, v4
	v_addc_co_u32_e32 v32, vcc, v7, v6, vcc
	v_lshlrev_b64 v[5:6], 4, v[4:5]
	global_load_dwordx4 v[17:20], v[31:32], off
	v_add_co_u32_e32 v33, vcc, v41, v5
	v_addc_co_u32_e32 v34, vcc, v42, v6, vcc
	global_load_dwordx4 v[21:24], v[33:34], off
	v_mov_b32_e32 v5, s13
	v_add_co_u32_e32 v35, vcc, s12, v8
	v_addc_co_u32_e32 v36, vcc, v5, v9, vcc
	global_load_dwordx4 v[25:28], v[35:36], off
	s_waitcnt vmcnt(3)
	v_mul_f64 v[5:6], v[2:3], v[12:13]
	v_mul_f64 v[7:8], v[12:13], -v[0:1]
	s_waitcnt vmcnt(2)
	v_mul_f64 v[12:13], v[2:3], v[19:20]
	v_fma_f64 v[37:38], -v[0:1], v[10:11], v[5:6]
	v_fma_f64 v[10:11], -v[2:3], v[10:11], v[7:8]
	v_mul_f64 v[19:20], v[19:20], -v[0:1]
	v_add_u32_e32 v6, v14, v4
	v_ashrrev_i32_e32 v7, 31, v6
	v_lshlrev_b64 v[43:44], 4, v[6:7]
	v_mov_b32_e32 v5, s15
	v_fma_f64 v[12:13], -v[0:1], v[17:18], v[12:13]
	s_waitcnt vmcnt(1)
	v_add_f64 v[8:9], v[21:22], v[37:38]
	v_add_f64 v[10:11], v[10:11], v[23:24]
	v_add_co_u32_e32 v0, vcc, s14, v43
	v_fma_f64 v[19:20], -v[2:3], v[17:18], v[19:20]
	v_addc_co_u32_e32 v1, vcc, v5, v44, vcc
	global_load_dwordx4 v[0:3], v[0:1], off
	s_waitcnt vmcnt(1)
	v_add_f64 v[17:18], v[25:26], v[12:13]
	global_store_dwordx4 v[33:34], v[8:11], off
	global_load_dwordx4 v[8:11], v[29:30], off
	v_mov_b32_e32 v5, s11
	v_add_f64 v[19:20], v[19:20], v[27:28]
	v_add_co_u32_e32 v25, vcc, s10, v43
	v_addc_co_u32_e32 v26, vcc, v5, v44, vcc
	global_load_dwordx4 v[21:24], v[25:26], off
	s_waitcnt vmcnt(1)
	v_mul_f64 v[12:13], v[2:3], v[10:11]
	global_store_dwordx4 v[35:36], v[17:20], off
	global_load_dwordx4 v[17:20], v[31:32], off
	v_mul_f64 v[10:11], v[10:11], -v[0:1]
	v_fma_f64 v[12:13], -v[0:1], v[8:9], v[12:13]
	v_fma_f64 v[8:9], -v[2:3], v[8:9], v[10:11]
	s_waitcnt vmcnt(0)
	v_mul_f64 v[10:11], v[2:3], v[19:20]
	v_mul_f64 v[27:28], v[19:20], -v[0:1]
	v_add_f64 v[19:20], v[21:22], v[12:13]
	v_add_f64 v[21:22], v[8:9], v[23:24]
	v_fma_f64 v[10:11], -v[0:1], v[17:18], v[10:11]
	v_fma_f64 v[12:13], -v[2:3], v[17:18], v[27:28]
                                        ; implicit-def: $vgpr2_vgpr3
	global_store_dwordx4 v[25:26], v[19:22], off
.LBB297_70:                             ;   in Loop: Header=BB297_68 Depth=1
	s_or_saveexec_b64 s[2:3], s[2:3]
	v_mov_b32_e32 v5, s4
	s_xor_b64 exec, exec, s[2:3]
	s_cbranch_execz .LBB297_67
; %bb.71:                               ;   in Loop: Header=BB297_68 Depth=1
	v_add_u32_e32 v8, v61, v4
	v_ashrrev_i32_e32 v9, 31, v8
	v_lshlrev_b64 v[12:13], 4, v[8:9]
	v_mov_b32_e32 v5, s11
	v_add_co_u32_e32 v8, vcc, s10, v12
	v_addc_co_u32_e32 v9, vcc, v5, v13, vcc
	global_load_dwordx4 v[8:11], v[8:9], off
	v_mov_b32_e32 v17, s13
	v_add_co_u32_e32 v12, vcc, s12, v12
	v_addc_co_u32_e32 v13, vcc, v17, v13, vcc
	global_load_dwordx4 v[17:20], v[12:13], off
	v_ashrrev_i32_e32 v5, 31, v4
	v_lshlrev_b64 v[12:13], 4, v[4:5]
	v_mov_b32_e32 v5, s28
	v_add_co_u32_e32 v25, vcc, v41, v12
	v_addc_co_u32_e32 v26, vcc, v42, v13, vcc
	global_load_dwordx4 v[21:24], v[25:26], off
	s_waitcnt vmcnt(2)
	v_mul_f64 v[12:13], v[2:3], v[10:11]
	v_mul_f64 v[10:11], v[10:11], -v[0:1]
	s_waitcnt vmcnt(1)
	v_mul_f64 v[27:28], v[19:20], -v[0:1]
	v_fma_f64 v[12:13], -v[0:1], v[8:9], v[12:13]
	v_fma_f64 v[8:9], -v[2:3], v[8:9], v[10:11]
	v_mul_f64 v[10:11], v[2:3], v[19:20]
	s_waitcnt vmcnt(0)
	v_add_f64 v[19:20], v[21:22], v[12:13]
	v_add_f64 v[21:22], v[8:9], v[23:24]
	v_fma_f64 v[10:11], -v[0:1], v[17:18], v[10:11]
	v_fma_f64 v[12:13], -v[2:3], v[17:18], v[27:28]
	global_store_dwordx4 v[25:26], v[19:22], off
	s_branch .LBB297_67
.LBB297_72:
	s_endpgm
	.section	.rodata,"a",@progbits
	.p2align	6, 0x0
	.amdhsa_kernel _ZN9rocsparseL18gtsv_LBM_wv_kernelILj256ELj8E21rocsparse_complex_numIdEEEviiiPKT1_S5_S5_PS3_S6_S6_Pi
		.amdhsa_group_segment_fixed_size 0
		.amdhsa_private_segment_fixed_size 0
		.amdhsa_kernarg_size 72
		.amdhsa_user_sgpr_count 6
		.amdhsa_user_sgpr_private_segment_buffer 1
		.amdhsa_user_sgpr_dispatch_ptr 0
		.amdhsa_user_sgpr_queue_ptr 0
		.amdhsa_user_sgpr_kernarg_segment_ptr 1
		.amdhsa_user_sgpr_dispatch_id 0
		.amdhsa_user_sgpr_flat_scratch_init 0
		.amdhsa_user_sgpr_private_segment_size 0
		.amdhsa_uses_dynamic_stack 0
		.amdhsa_system_sgpr_private_segment_wavefront_offset 0
		.amdhsa_system_sgpr_workgroup_id_x 1
		.amdhsa_system_sgpr_workgroup_id_y 0
		.amdhsa_system_sgpr_workgroup_id_z 0
		.amdhsa_system_sgpr_workgroup_info 0
		.amdhsa_system_vgpr_workitem_id 0
		.amdhsa_next_free_vgpr 80
		.amdhsa_next_free_sgpr 36
		.amdhsa_reserve_vcc 1
		.amdhsa_reserve_flat_scratch 0
		.amdhsa_float_round_mode_32 0
		.amdhsa_float_round_mode_16_64 0
		.amdhsa_float_denorm_mode_32 3
		.amdhsa_float_denorm_mode_16_64 3
		.amdhsa_dx10_clamp 1
		.amdhsa_ieee_mode 1
		.amdhsa_fp16_overflow 0
		.amdhsa_exception_fp_ieee_invalid_op 0
		.amdhsa_exception_fp_denorm_src 0
		.amdhsa_exception_fp_ieee_div_zero 0
		.amdhsa_exception_fp_ieee_overflow 0
		.amdhsa_exception_fp_ieee_underflow 0
		.amdhsa_exception_fp_ieee_inexact 0
		.amdhsa_exception_int_div_zero 0
	.end_amdhsa_kernel
	.section	.text._ZN9rocsparseL18gtsv_LBM_wv_kernelILj256ELj8E21rocsparse_complex_numIdEEEviiiPKT1_S5_S5_PS3_S6_S6_Pi,"axG",@progbits,_ZN9rocsparseL18gtsv_LBM_wv_kernelILj256ELj8E21rocsparse_complex_numIdEEEviiiPKT1_S5_S5_PS3_S6_S6_Pi,comdat
.Lfunc_end297:
	.size	_ZN9rocsparseL18gtsv_LBM_wv_kernelILj256ELj8E21rocsparse_complex_numIdEEEviiiPKT1_S5_S5_PS3_S6_S6_Pi, .Lfunc_end297-_ZN9rocsparseL18gtsv_LBM_wv_kernelILj256ELj8E21rocsparse_complex_numIdEEEviiiPKT1_S5_S5_PS3_S6_S6_Pi
                                        ; -- End function
	.set _ZN9rocsparseL18gtsv_LBM_wv_kernelILj256ELj8E21rocsparse_complex_numIdEEEviiiPKT1_S5_S5_PS3_S6_S6_Pi.num_vgpr, 80
	.set _ZN9rocsparseL18gtsv_LBM_wv_kernelILj256ELj8E21rocsparse_complex_numIdEEEviiiPKT1_S5_S5_PS3_S6_S6_Pi.num_agpr, 0
	.set _ZN9rocsparseL18gtsv_LBM_wv_kernelILj256ELj8E21rocsparse_complex_numIdEEEviiiPKT1_S5_S5_PS3_S6_S6_Pi.numbered_sgpr, 36
	.set _ZN9rocsparseL18gtsv_LBM_wv_kernelILj256ELj8E21rocsparse_complex_numIdEEEviiiPKT1_S5_S5_PS3_S6_S6_Pi.num_named_barrier, 0
	.set _ZN9rocsparseL18gtsv_LBM_wv_kernelILj256ELj8E21rocsparse_complex_numIdEEEviiiPKT1_S5_S5_PS3_S6_S6_Pi.private_seg_size, 0
	.set _ZN9rocsparseL18gtsv_LBM_wv_kernelILj256ELj8E21rocsparse_complex_numIdEEEviiiPKT1_S5_S5_PS3_S6_S6_Pi.uses_vcc, 1
	.set _ZN9rocsparseL18gtsv_LBM_wv_kernelILj256ELj8E21rocsparse_complex_numIdEEEviiiPKT1_S5_S5_PS3_S6_S6_Pi.uses_flat_scratch, 0
	.set _ZN9rocsparseL18gtsv_LBM_wv_kernelILj256ELj8E21rocsparse_complex_numIdEEEviiiPKT1_S5_S5_PS3_S6_S6_Pi.has_dyn_sized_stack, 0
	.set _ZN9rocsparseL18gtsv_LBM_wv_kernelILj256ELj8E21rocsparse_complex_numIdEEEviiiPKT1_S5_S5_PS3_S6_S6_Pi.has_recursion, 0
	.set _ZN9rocsparseL18gtsv_LBM_wv_kernelILj256ELj8E21rocsparse_complex_numIdEEEviiiPKT1_S5_S5_PS3_S6_S6_Pi.has_indirect_call, 0
	.section	.AMDGPU.csdata,"",@progbits
; Kernel info:
; codeLenInByte = 7364
; TotalNumSgprs: 40
; NumVgprs: 80
; ScratchSize: 0
; MemoryBound: 1
; FloatMode: 240
; IeeeMode: 1
; LDSByteSize: 0 bytes/workgroup (compile time only)
; SGPRBlocks: 4
; VGPRBlocks: 19
; NumSGPRsForWavesPerEU: 40
; NumVGPRsForWavesPerEU: 80
; Occupancy: 3
; WaveLimiterHint : 0
; COMPUTE_PGM_RSRC2:SCRATCH_EN: 0
; COMPUTE_PGM_RSRC2:USER_SGPR: 6
; COMPUTE_PGM_RSRC2:TRAP_HANDLER: 0
; COMPUTE_PGM_RSRC2:TGID_X_EN: 1
; COMPUTE_PGM_RSRC2:TGID_Y_EN: 0
; COMPUTE_PGM_RSRC2:TGID_Z_EN: 0
; COMPUTE_PGM_RSRC2:TIDIG_COMP_CNT: 0
	.section	.text._ZN9rocsparseL19gtsv_LBM_rhs_kernelILj256ELj8ELj8E21rocsparse_complex_numIdEEEviiiPKT2_S5_S5_PS3_S5_PKi,"axG",@progbits,_ZN9rocsparseL19gtsv_LBM_rhs_kernelILj256ELj8ELj8E21rocsparse_complex_numIdEEEviiiPKT2_S5_S5_PS3_S5_PKi,comdat
	.globl	_ZN9rocsparseL19gtsv_LBM_rhs_kernelILj256ELj8ELj8E21rocsparse_complex_numIdEEEviiiPKT2_S5_S5_PS3_S5_PKi ; -- Begin function _ZN9rocsparseL19gtsv_LBM_rhs_kernelILj256ELj8ELj8E21rocsparse_complex_numIdEEEviiiPKT2_S5_S5_PS3_S5_PKi
	.p2align	8
	.type	_ZN9rocsparseL19gtsv_LBM_rhs_kernelILj256ELj8ELj8E21rocsparse_complex_numIdEEEviiiPKT2_S5_S5_PS3_S5_PKi,@function
_ZN9rocsparseL19gtsv_LBM_rhs_kernelILj256ELj8ELj8E21rocsparse_complex_numIdEEEviiiPKT2_S5_S5_PS3_S5_PKi: ; @_ZN9rocsparseL19gtsv_LBM_rhs_kernelILj256ELj8ELj8E21rocsparse_complex_numIdEEEviiiPKT2_S5_S5_PS3_S5_PKi
; %bb.0:
	s_load_dword s23, s[4:5], 0x0
	v_lshl_or_b32 v44, s6, 8, v0
	s_waitcnt lgkmcnt(0)
	s_lshr_b32 s22, s23, 3
	v_cmp_gt_i32_e32 vcc, s22, v44
	s_and_saveexec_b64 s[0:1], vcc
	s_cbranch_execz .LBB298_29
; %bb.1:
	s_load_dwordx4 s[8:11], s[4:5], 0x28
	s_load_dwordx2 s[16:17], s[4:5], 0x38
	s_cmp_lt_i32 s23, 1
	v_add_u32_e32 v103, s22, v44
	s_mul_i32 s24, s7, s23
	s_cbranch_scc1 .LBB298_21
; %bb.2:
	s_load_dwordx4 s[12:15], s[4:5], 0x10
	s_load_dwordx2 s[6:7], s[4:5], 0x20
	v_ashrrev_i32_e32 v45, 31, v44
	v_lshlrev_b64 v[0:1], 4, v[44:45]
	s_lshl_b32 s28, s24, 3
	s_waitcnt lgkmcnt(0)
	v_mov_b32_e32 v2, s15
	v_add_co_u32_e32 v0, vcc, s14, v0
	v_addc_co_u32_e32 v1, vcc, v2, v1, vcc
	global_load_dwordx4 v[0:3], v[0:1], off
	s_add_i32 s29, s28, s23
	s_add_i32 s30, s29, s23
	s_add_i32 s31, s30, s23
	s_add_i32 s33, s31, s23
	s_add_i32 s34, s33, s23
	s_add_i32 s35, s34, s23
	s_mul_i32 s25, s22, 7
	s_mul_i32 s26, s22, 6
	s_lshl_b32 s27, s22, 1
	v_add_u32_e32 v104, s22, v103
	s_add_i32 s36, s35, s23
	v_mov_b32_e32 v46, 0
	s_mov_b64 s[18:19], 0
	v_mov_b32_e32 v106, s7
	v_mov_b32_e32 v105, 0
	s_branch .LBB298_5
.LBB298_3:                              ;   in Loop: Header=BB298_5 Depth=1
	s_or_b64 exec, exec, s[4:5]
	v_fma_f64 v[0:1], v[6:7], v[8:9], v[49:50]
	v_fma_f64 v[2:3], v[4:5], v[8:9], v[47:48]
	v_mul_f64 v[4:5], v[51:52], -v[0:1]
	v_mul_f64 v[6:7], v[51:52], v[2:3]
	v_fma_f64 v[2:3], v[2:3], v[10:11], v[4:5]
	v_fma_f64 v[4:5], v[0:1], v[10:11], v[6:7]
	v_mov_b32_e32 v10, s22
	v_add_f64 v[0:1], v[12:13], -v[2:3]
	v_add_f64 v[2:3], v[14:15], -v[4:5]
.LBB298_4:                              ;   in Loop: Header=BB298_5 Depth=1
	s_or_b64 exec, exec, s[2:3]
	v_add_u32_e32 v105, v10, v105
	v_cmp_le_i32_e32 vcc, s23, v105
	s_or_b64 s[18:19], vcc, s[18:19]
	s_andn2_b64 exec, exec, s[18:19]
	s_cbranch_execz .LBB298_20
.LBB298_5:                              ; =>This Inner Loop Header: Depth=1
	v_add_u32_e32 v24, v105, v44
	v_ashrrev_i32_e32 v25, 31, v24
	v_lshlrev_b64 v[4:5], 4, v[24:25]
	v_mov_b32_e32 v12, 0
	v_add_co_u32_e32 v4, vcc, s6, v4
	v_addc_co_u32_e32 v5, vcc, v106, v5, vcc
	global_load_dwordx4 v[8:11], v[4:5], off
	v_mov_b32_e32 v4, 0
	v_mov_b32_e32 v6, 0
	;; [unrolled: 1-line block ×5, first 2 shown]
	v_cmp_gt_u32_e64 s[0:1], s25, v105
	s_and_saveexec_b64 s[2:3], s[0:1]
	s_cbranch_execz .LBB298_7
; %bb.6:                                ;   in Loop: Header=BB298_5 Depth=1
	v_add_u32_e32 v4, v103, v105
	v_ashrrev_i32_e32 v5, 31, v4
	v_lshlrev_b64 v[4:5], 4, v[4:5]
	v_mov_b32_e32 v6, s13
	v_add_co_u32_e32 v4, vcc, s12, v4
	v_addc_co_u32_e32 v5, vcc, v6, v5, vcc
	global_load_dwordx4 v[4:7], v[4:5], off
.LBB298_7:                              ;   in Loop: Header=BB298_5 Depth=1
	s_or_b64 exec, exec, s[2:3]
	v_mov_b32_e32 v14, 0
	v_mov_b32_e32 v15, 0
	s_and_saveexec_b64 s[2:3], s[0:1]
	s_cbranch_execz .LBB298_9
; %bb.8:                                ;   in Loop: Header=BB298_5 Depth=1
	v_add_u32_e32 v12, v103, v105
	v_ashrrev_i32_e32 v13, 31, v12
	v_lshlrev_b64 v[12:13], 4, v[12:13]
	v_mov_b32_e32 v14, s15
	v_add_co_u32_e32 v12, vcc, s14, v12
	v_addc_co_u32_e32 v13, vcc, v14, v13, vcc
	global_load_dwordx4 v[12:15], v[12:13], off
.LBB298_9:                              ;   in Loop: Header=BB298_5 Depth=1
	s_or_b64 exec, exec, s[2:3]
	v_mov_b32_e32 v20, 0
	v_mov_b32_e32 v16, 0
	;; [unrolled: 1-line block ×6, first 2 shown]
	s_and_saveexec_b64 s[2:3], s[0:1]
	s_cbranch_execz .LBB298_11
; %bb.10:                               ;   in Loop: Header=BB298_5 Depth=1
	v_add_u32_e32 v16, v103, v105
	v_ashrrev_i32_e32 v17, 31, v16
	v_lshlrev_b64 v[16:17], 4, v[16:17]
	v_mov_b32_e32 v18, s7
	v_add_co_u32_e32 v16, vcc, s6, v16
	v_addc_co_u32_e32 v17, vcc, v18, v17, vcc
	global_load_dwordx4 v[16:19], v[16:17], off
.LBB298_11:                             ;   in Loop: Header=BB298_5 Depth=1
	s_or_b64 exec, exec, s[2:3]
	v_mov_b32_e32 v22, 0
	v_mov_b32_e32 v23, 0
	v_cmp_gt_u32_e64 s[2:3], s26, v105
	s_and_saveexec_b64 s[4:5], s[2:3]
	s_cbranch_execz .LBB298_13
; %bb.12:                               ;   in Loop: Header=BB298_5 Depth=1
	v_add_u32_e32 v20, v104, v105
	v_ashrrev_i32_e32 v21, 31, v20
	v_lshlrev_b64 v[20:21], 4, v[20:21]
	v_mov_b32_e32 v22, s13
	v_add_co_u32_e32 v20, vcc, s12, v20
	v_addc_co_u32_e32 v21, vcc, v22, v21, vcc
	global_load_dwordx4 v[20:23], v[20:21], off
.LBB298_13:                             ;   in Loop: Header=BB298_5 Depth=1
	s_or_b64 exec, exec, s[4:5]
	v_lshlrev_b64 v[25:26], 2, v[24:25]
	v_mov_b32_e32 v27, s17
	v_add_co_u32_e32 v25, vcc, s16, v25
	v_addc_co_u32_e32 v26, vcc, v27, v26, vcc
	global_load_dword v25, v[25:26], off
	s_waitcnt vmcnt(1)
	v_mul_f64 v[47:48], v[10:11], -v[6:7]
	v_mul_f64 v[49:50], v[10:11], v[4:5]
	v_cmp_ne_u32_e32 vcc, s25, v105
	v_add_u32_e32 v45, s28, v24
	v_add_u32_e32 v36, s29, v24
	;; [unrolled: 1-line block ×8, first 2 shown]
	s_waitcnt vmcnt(0)
	v_cmp_ne_u32_e64 s[4:5], 1, v25
	s_and_b64 s[4:5], vcc, s[4:5]
	s_and_saveexec_b64 s[20:21], s[4:5]
	s_xor_b64 s[20:21], exec, s[20:21]
	s_cbranch_execz .LBB298_17
; %bb.14:                               ;   in Loop: Header=BB298_5 Depth=1
	v_mul_f64 v[37:38], v[0:1], v[14:15]
	v_mul_f64 v[39:40], v[14:15], -v[2:3]
	v_fma_f64 v[41:42], v[6:7], v[8:9], v[49:50]
	v_fma_f64 v[47:48], v[4:5], v[8:9], v[47:48]
	v_mov_b32_e32 v53, s9
	v_mov_b32_e32 v35, v46
	v_mov_b32_e32 v61, s9
	v_add_u32_e32 v81, v103, v105
	v_fma_f64 v[37:38], v[2:3], v[12:13], v[37:38]
	v_fma_f64 v[49:50], v[0:1], v[12:13], v[39:40]
	v_lshlrev_b64 v[34:35], 4, v[34:35]
	v_mov_b32_e32 v33, v46
	v_mov_b32_e32 v62, s9
	v_lshlrev_b64 v[51:52], 4, v[32:33]
	v_mov_b32_e32 v64, s9
	v_mov_b32_e32 v31, v46
	v_add_f64 v[38:39], v[37:38], -v[41:42]
	v_add_f64 v[40:41], v[49:50], -v[47:48]
	v_lshlrev_b64 v[47:48], 4, v[45:46]
	v_mov_b32_e32 v37, v46
	v_add_co_u32_e32 v79, vcc, s8, v47
	v_lshlrev_b64 v[36:37], 4, v[36:37]
	v_addc_co_u32_e32 v80, vcc, v53, v48, vcc
	v_mul_f64 v[42:43], v[38:39], v[38:39]
	v_add_co_u32_e32 v139, vcc, s8, v36
	v_add_u32_e32 v45, s28, v81
	v_addc_co_u32_e32 v140, vcc, v61, v37, vcc
	v_lshlrev_b64 v[32:33], 4, v[45:46]
	v_add_co_u32_e32 v141, vcc, s8, v34
	v_fma_f64 v[42:43], v[40:41], v[40:41], v[42:43]
	v_addc_co_u32_e32 v142, vcc, v62, v35, vcc
	v_add_co_u32_e32 v85, vcc, s8, v32
	v_mov_b32_e32 v29, v46
	v_addc_co_u32_e32 v86, vcc, v64, v33, vcc
	v_div_scale_f64 v[55:56], s[4:5], v[42:43], v[42:43], 1.0
	v_lshlrev_b64 v[57:58], 4, v[30:31]
	v_lshlrev_b64 v[59:60], 4, v[28:29]
	global_load_dwordx4 v[28:31], v[79:80], off
	global_load_dwordx4 v[32:35], v[85:86], off
	v_add_u32_e32 v45, s29, v81
	v_lshlrev_b64 v[53:54], 4, v[45:46]
	v_mov_b32_e32 v63, s9
	v_mov_b32_e32 v71, s9
	v_add_co_u32_e32 v143, vcc, s8, v51
	v_add_co_u32_e64 v36, s[4:5], s8, v53
	v_addc_co_u32_e32 v144, vcc, v63, v52, vcc
	v_rcp_f64_e32 v[49:50], v[55:56]
	v_addc_co_u32_e64 v37, s[4:5], v71, v54, s[4:5]
	v_div_scale_f64 v[65:66], vcc, 1.0, v[42:43], 1.0
	global_load_dwordx4 v[51:54], v[36:37], off
	v_mov_b32_e32 v67, s9
	v_add_co_u32_e64 v145, s[4:5], s8, v57
	v_mov_b32_e32 v27, v46
	v_addc_co_u32_e64 v146, s[4:5], v67, v58, s[4:5]
	v_mov_b32_e32 v68, s9
	v_lshlrev_b64 v[26:27], 4, v[26:27]
	v_add_co_u32_e64 v147, s[4:5], s8, v59
	v_fma_f64 v[47:48], -v[55:56], v[49:50], 1.0
	v_mov_b32_e32 v25, v46
	v_addc_co_u32_e64 v148, s[4:5], v68, v60, s[4:5]
	v_mov_b32_e32 v69, s9
	v_lshlrev_b64 v[24:25], 4, v[24:25]
	v_add_co_u32_e64 v149, s[4:5], s8, v26
	v_fma_f64 v[61:62], v[49:50], v[47:48], v[49:50]
	global_load_dwordx4 v[47:50], v[139:140], off
	v_addc_co_u32_e64 v150, s[4:5], v69, v27, s[4:5]
	v_mov_b32_e32 v70, s9
	v_add_u32_e32 v45, s30, v81
	v_add_co_u32_e64 v151, s[4:5], s8, v24
	v_fma_f64 v[63:64], -v[55:56], v[61:62], 1.0
	v_addc_co_u32_e64 v152, s[4:5], v70, v25, s[4:5]
	v_lshlrev_b64 v[24:25], 4, v[45:46]
	v_mov_b32_e32 v72, s9
	v_add_co_u32_e64 v89, s[4:5], s8, v24
	v_addc_co_u32_e64 v90, s[4:5], v72, v25, s[4:5]
	v_fma_f64 v[63:64], v[61:62], v[63:64], v[61:62]
	global_load_dwordx4 v[59:62], v[141:142], off
	global_load_dwordx4 v[71:74], v[143:144], off
	v_add_u32_e32 v45, s31, v81
	v_mov_b32_e32 v82, s9
	v_mov_b32_e32 v83, s9
	;; [unrolled: 1-line block ×4, first 2 shown]
	v_mul_f64 v[57:58], v[65:66], v[63:64]
	v_mov_b32_e32 v88, s9
	v_fma_f64 v[26:27], -v[55:56], v[57:58], v[65:66]
	global_load_dwordx4 v[65:68], v[89:90], off
	global_load_dwordx4 v[75:78], v[145:146], off
	;; [unrolled: 1-line block ×5, first 2 shown]
	v_div_fmas_f64 v[24:25], v[26:27], v[63:64], v[57:58]
	v_lshlrev_b64 v[26:27], 4, v[45:46]
	v_add_u32_e32 v45, s33, v81
	v_add_co_u32_e32 v97, vcc, s8, v26
	v_addc_co_u32_e32 v98, vcc, v82, v27, vcc
	global_load_dwordx4 v[119:122], v[97:98], off
	v_lshlrev_b64 v[26:27], 4, v[45:46]
	v_fma_f64 v[57:58], v[40:41], 0, -v[38:39]
	v_add_co_u32_e32 v153, vcc, s8, v26
	v_addc_co_u32_e32 v154, vcc, v83, v27, vcc
	global_load_dwordx4 v[123:126], v[153:154], off
	v_fma_f64 v[26:27], v[38:39], 0, v[40:41]
	v_div_fixup_f64 v[42:43], v[24:25], v[42:43], 1.0
	v_add_u32_e32 v45, s34, v81
	v_lshlrev_b64 v[55:56], 4, v[45:46]
	v_add_u32_e32 v45, s35, v81
	v_add_co_u32_e32 v155, vcc, s8, v55
	v_addc_co_u32_e32 v156, vcc, v84, v56, vcc
	v_mul_f64 v[24:25], v[57:58], v[42:43]
	v_mul_f64 v[26:27], v[26:27], v[42:43]
	global_load_dwordx4 v[127:130], v[155:156], off
	v_lshlrev_b64 v[63:64], 4, v[45:46]
	v_add_u32_e32 v45, s36, v81
	v_lshlrev_b64 v[38:39], 4, v[45:46]
	v_add_co_u32_e32 v157, vcc, s8, v63
	s_waitcnt vmcnt(13)
	v_mul_f64 v[40:41], v[24:25], v[28:29]
	s_waitcnt vmcnt(12)
	v_mul_f64 v[42:43], v[24:25], v[32:33]
	v_mul_f64 v[55:56], v[24:25], -v[30:31]
	v_mul_f64 v[57:58], v[24:25], -v[34:35]
	v_addc_co_u32_e32 v158, vcc, v87, v64, vcc
	v_add_co_u32_e32 v159, vcc, s8, v38
	v_fma_f64 v[93:94], v[30:31], v[26:27], v[40:41]
	v_fma_f64 v[95:96], v[34:35], v[26:27], v[42:43]
	s_waitcnt vmcnt(10)
	v_mul_f64 v[30:31], v[24:25], v[47:48]
	v_mul_f64 v[34:35], v[24:25], v[51:52]
	v_addc_co_u32_e32 v160, vcc, v88, v39, vcc
	global_load_dwordx4 v[131:134], v[157:158], off
	v_fma_f64 v[101:102], v[28:29], v[26:27], v[55:56]
	v_fma_f64 v[99:100], v[32:33], v[26:27], v[57:58]
	v_mul_f64 v[28:29], v[93:94], -v[14:15]
	v_mul_f64 v[32:33], v[12:13], v[93:94]
	v_mul_f64 v[38:39], v[95:96], -v[10:11]
	v_mul_f64 v[40:41], v[8:9], v[95:96]
	v_mul_f64 v[42:43], v[24:25], -v[49:50]
	v_fma_f64 v[55:56], v[49:50], v[26:27], v[30:31]
	v_mul_f64 v[30:31], v[24:25], -v[53:54]
	v_fma_f64 v[57:58], v[53:54], v[26:27], v[34:35]
	v_fma_f64 v[28:29], v[12:13], v[101:102], v[28:29]
	;; [unrolled: 1-line block ×6, first 2 shown]
	v_mul_f64 v[40:41], v[55:56], -v[14:15]
	v_mul_f64 v[42:43], v[12:13], v[55:56]
	v_fma_f64 v[69:70], v[51:52], v[26:27], v[30:31]
	v_mul_f64 v[47:48], v[57:58], -v[10:11]
	v_mul_f64 v[49:50], v[8:9], v[57:58]
	v_add_f64 v[28:29], v[28:29], -v[34:35]
	v_add_f64 v[30:31], v[32:33], -v[38:39]
	s_waitcnt vmcnt(10)
	v_mul_f64 v[32:33], v[24:25], v[59:60]
	v_fma_f64 v[34:35], v[12:13], v[63:64], v[40:41]
	v_fma_f64 v[38:39], v[14:15], v[63:64], v[42:43]
	global_load_dwordx4 v[135:138], v[159:160], off
	s_waitcnt vmcnt(9)
	v_mul_f64 v[40:41], v[24:25], v[65:66]
	v_fma_f64 v[42:43], v[8:9], v[69:70], v[47:48]
	v_fma_f64 v[47:48], v[10:11], v[69:70], v[49:50]
	v_mul_f64 v[49:50], v[24:25], -v[61:62]
	v_fma_f64 v[83:84], v[61:62], v[26:27], v[32:33]
	v_mul_f64 v[32:33], v[24:25], -v[67:68]
	global_store_dwordx4 v[79:80], v[28:31], off
	v_mul_f64 v[53:54], v[24:25], -v[73:74]
	v_fma_f64 v[87:88], v[67:68], v[26:27], v[40:41]
	v_add_f64 v[28:29], v[34:35], -v[42:43]
	v_mul_f64 v[34:35], v[24:25], v[71:72]
	v_add_f64 v[30:31], v[38:39], -v[47:48]
	v_fma_f64 v[81:82], v[59:60], v[26:27], v[49:50]
	v_mul_f64 v[38:39], v[83:84], -v[14:15]
	v_fma_f64 v[91:92], v[65:66], v[26:27], v[32:33]
	s_waitcnt vmcnt(5)
	v_mul_f64 v[32:33], v[24:25], v[119:120]
	v_mul_f64 v[42:43], v[87:88], -v[10:11]
	v_mul_f64 v[49:50], v[12:13], v[83:84]
	v_mul_f64 v[51:52], v[8:9], v[87:88]
	v_fma_f64 v[40:41], v[73:74], v[26:27], v[34:35]
	v_mul_f64 v[59:60], v[24:25], -v[121:122]
	v_fma_f64 v[34:35], v[12:13], v[81:82], v[38:39]
	v_fma_f64 v[38:39], v[71:72], v[26:27], v[53:54]
	;; [unrolled: 1-line block ×6, first 2 shown]
	v_mul_f64 v[53:54], v[40:41], -v[14:15]
	v_mul_f64 v[61:62], v[12:13], v[40:41]
	v_fma_f64 v[42:43], v[119:120], v[26:27], v[59:60]
	v_mul_f64 v[65:66], v[24:25], v[75:76]
	v_mul_f64 v[59:60], v[47:48], -v[10:11]
	v_add_f64 v[32:33], v[34:35], -v[32:33]
	v_mul_f64 v[67:68], v[8:9], v[47:48]
	v_add_f64 v[34:35], v[49:50], -v[51:52]
	v_fma_f64 v[49:50], v[12:13], v[38:39], v[53:54]
	s_waitcnt vmcnt(4)
	v_mul_f64 v[53:54], v[24:25], v[123:124]
	v_fma_f64 v[51:52], v[14:15], v[38:39], v[61:62]
	v_mul_f64 v[61:62], v[24:25], -v[77:78]
	v_fma_f64 v[59:60], v[8:9], v[42:43], v[59:60]
	v_fma_f64 v[73:74], v[77:78], v[26:27], v[65:66]
	;; [unrolled: 1-line block ×3, first 2 shown]
	v_mul_f64 v[67:68], v[24:25], -v[125:126]
	global_store_dwordx4 v[139:140], v[28:31], off
	global_store_dwordx4 v[141:142], v[32:35], off
	v_fma_f64 v[77:78], v[125:126], v[26:27], v[53:54]
	v_mul_f64 v[34:35], v[24:25], v[107:108]
	v_fma_f64 v[71:72], v[75:76], v[26:27], v[61:62]
	v_add_f64 v[28:29], v[49:50], -v[59:60]
	v_mul_f64 v[32:33], v[73:74], -v[14:15]
	v_add_f64 v[30:31], v[51:52], -v[65:66]
	v_fma_f64 v[75:76], v[123:124], v[26:27], v[67:68]
	s_waitcnt vmcnt(5)
	v_mul_f64 v[49:50], v[24:25], v[127:128]
	v_mul_f64 v[51:52], v[77:78], -v[10:11]
	v_mul_f64 v[53:54], v[12:13], v[73:74]
	v_mul_f64 v[65:66], v[8:9], v[77:78]
	v_mul_f64 v[67:68], v[24:25], -v[109:110]
	v_fma_f64 v[32:33], v[12:13], v[71:72], v[32:33]
	v_mul_f64 v[79:80], v[24:25], -v[129:130]
	v_fma_f64 v[61:62], v[109:110], v[26:27], v[34:35]
	v_fma_f64 v[59:60], v[129:130], v[26:27], v[49:50]
	;; [unrolled: 1-line block ×5, first 2 shown]
	global_store_dwordx4 v[143:144], v[28:31], off
	v_fma_f64 v[67:68], v[107:108], v[26:27], v[67:68]
	v_fma_f64 v[65:66], v[127:128], v[26:27], v[79:80]
	v_mul_f64 v[53:54], v[61:62], -v[14:15]
	v_mul_f64 v[79:80], v[59:60], -v[10:11]
	v_add_f64 v[28:29], v[32:33], -v[34:35]
	v_mul_f64 v[32:33], v[12:13], v[61:62]
	v_add_f64 v[30:31], v[49:50], -v[51:52]
	v_mul_f64 v[34:35], v[24:25], v[111:112]
	s_waitcnt vmcnt(5)
	v_mul_f64 v[49:50], v[24:25], v[131:132]
	v_mul_f64 v[107:108], v[8:9], v[59:60]
	v_fma_f64 v[53:54], v[12:13], v[67:68], v[53:54]
	v_fma_f64 v[79:80], v[8:9], v[65:66], v[79:80]
	v_mul_f64 v[109:110], v[24:25], -v[113:114]
	v_fma_f64 v[32:33], v[14:15], v[67:68], v[32:33]
	v_mul_f64 v[119:120], v[24:25], -v[133:134]
	v_fma_f64 v[51:52], v[113:114], v[26:27], v[34:35]
	v_fma_f64 v[49:50], v[133:134], v[26:27], v[49:50]
	;; [unrolled: 1-line block ×3, first 2 shown]
	global_store_dwordx4 v[145:146], v[28:31], off
	v_add_f64 v[107:108], v[53:54], -v[79:80]
	v_fma_f64 v[53:54], v[111:112], v[26:27], v[109:110]
	v_mul_f64 v[28:29], v[24:25], v[115:116]
	v_fma_f64 v[79:80], v[131:132], v[26:27], v[119:120]
	v_mul_f64 v[30:31], v[51:52], -v[14:15]
	v_mul_f64 v[111:112], v[49:50], -v[10:11]
	v_add_f64 v[109:110], v[32:33], -v[34:35]
	s_waitcnt vmcnt(5)
	v_mul_f64 v[32:33], v[24:25], v[135:136]
	v_mul_f64 v[34:35], v[12:13], v[51:52]
	v_mul_f64 v[113:114], v[24:25], -v[117:118]
	v_fma_f64 v[28:29], v[117:118], v[26:27], v[28:29]
	v_mul_f64 v[117:118], v[8:9], v[49:50]
	v_fma_f64 v[119:120], v[12:13], v[53:54], v[30:31]
	v_fma_f64 v[111:112], v[8:9], v[79:80], v[111:112]
	v_mul_f64 v[121:122], v[24:25], -v[137:138]
	v_fma_f64 v[32:33], v[137:138], v[26:27], v[32:33]
	global_store_dwordx4 v[147:148], v[107:110], off
	v_fma_f64 v[30:31], v[115:116], v[26:27], v[113:114]
	v_mul_f64 v[109:110], v[28:29], -v[14:15]
	v_fma_f64 v[113:114], v[14:15], v[53:54], v[34:35]
	v_fma_f64 v[115:116], v[10:11], v[79:80], v[117:118]
	v_add_f64 v[107:108], v[119:120], -v[111:112]
	v_fma_f64 v[34:35], v[135:136], v[26:27], v[121:122]
	v_mul_f64 v[111:112], v[32:33], -v[10:11]
	v_mul_f64 v[117:118], v[12:13], v[28:29]
	v_mul_f64 v[119:120], v[8:9], v[32:33]
	v_fma_f64 v[12:13], v[12:13], v[30:31], v[109:110]
	v_mul_f64 v[121:122], v[6:7], v[93:94]
	v_mul_f64 v[123:124], v[93:94], -v[4:5]
	v_mul_f64 v[125:126], v[95:96], -v[2:3]
	v_mul_f64 v[127:128], v[0:1], v[95:96]
	v_fma_f64 v[8:9], v[8:9], v[34:35], v[111:112]
	v_fma_f64 v[14:15], v[14:15], v[30:31], v[117:118]
	;; [unrolled: 1-line block ×3, first 2 shown]
	v_add_f64 v[109:110], v[113:114], -v[115:116]
	v_fma_f64 v[111:112], -v[4:5], v[101:102], v[121:122]
	v_fma_f64 v[113:114], -v[6:7], v[101:102], v[123:124]
	v_fma_f64 v[115:116], v[0:1], v[99:100], v[125:126]
	v_fma_f64 v[117:118], v[2:3], v[99:100], v[127:128]
	v_add_f64 v[8:9], v[12:13], -v[8:9]
	v_mul_f64 v[119:120], v[6:7], v[55:56]
	v_mul_f64 v[121:122], v[55:56], -v[4:5]
	v_add_f64 v[10:11], v[14:15], -v[10:11]
	v_mul_f64 v[123:124], v[57:58], -v[2:3]
	v_mul_f64 v[125:126], v[0:1], v[57:58]
	global_store_dwordx4 v[149:150], v[107:110], off
	v_add_f64 v[12:13], v[111:112], v[115:116]
	v_add_f64 v[14:15], v[113:114], v[117:118]
	v_fma_f64 v[107:108], -v[4:5], v[63:64], v[119:120]
	v_fma_f64 v[109:110], -v[6:7], v[63:64], v[121:122]
	global_store_dwordx4 v[151:152], v[8:11], off
	v_mul_f64 v[115:116], v[87:88], -v[2:3]
	v_mul_f64 v[8:9], v[6:7], v[83:84]
	v_mul_f64 v[10:11], v[83:84], -v[4:5]
	v_mul_f64 v[117:118], v[0:1], v[87:88]
	v_mul_f64 v[119:120], v[6:7], v[40:41]
	v_mul_f64 v[121:122], v[47:48], -v[2:3]
	v_fma_f64 v[111:112], v[0:1], v[69:70], v[123:124]
	v_fma_f64 v[113:114], v[2:3], v[69:70], v[125:126]
	v_mul_f64 v[123:124], v[40:41], -v[4:5]
	v_mul_f64 v[125:126], v[0:1], v[47:48]
	v_fma_f64 v[127:128], -v[4:5], v[81:82], v[8:9]
	v_fma_f64 v[129:130], -v[6:7], v[81:82], v[10:11]
	v_fma_f64 v[115:116], v[0:1], v[91:92], v[115:116]
	v_fma_f64 v[117:118], v[2:3], v[91:92], v[117:118]
	v_fma_f64 v[119:120], -v[4:5], v[38:39], v[119:120]
	v_fma_f64 v[121:122], v[0:1], v[42:43], v[121:122]
	v_add_f64 v[8:9], v[107:108], v[111:112]
	v_add_f64 v[10:11], v[109:110], v[113:114]
	v_mul_f64 v[111:112], v[6:7], v[73:74]
	v_mul_f64 v[113:114], v[77:78], -v[2:3]
	global_store_dwordx4 v[85:86], v[12:15], off
	v_fma_f64 v[85:86], -v[6:7], v[38:39], v[123:124]
	v_fma_f64 v[109:110], v[2:3], v[42:43], v[125:126]
	v_add_f64 v[12:13], v[127:128], v[115:116]
	v_add_f64 v[14:15], v[129:130], v[117:118]
	;; [unrolled: 1-line block ×3, first 2 shown]
	v_mul_f64 v[115:116], v[73:74], -v[4:5]
	v_mul_f64 v[117:118], v[0:1], v[77:78]
	v_mul_f64 v[119:120], v[6:7], v[61:62]
	v_mul_f64 v[121:122], v[61:62], -v[4:5]
	v_mul_f64 v[123:124], v[59:60], -v[2:3]
	v_mul_f64 v[125:126], v[0:1], v[59:60]
	v_fma_f64 v[111:112], -v[4:5], v[71:72], v[111:112]
	v_fma_f64 v[113:114], v[0:1], v[75:76], v[113:114]
	v_add_f64 v[109:110], v[85:86], v[109:110]
	v_fma_f64 v[85:86], -v[6:7], v[71:72], v[115:116]
	v_fma_f64 v[115:116], v[2:3], v[75:76], v[117:118]
	v_fma_f64 v[117:118], -v[4:5], v[67:68], v[119:120]
	v_fma_f64 v[119:120], -v[6:7], v[67:68], v[121:122]
	v_fma_f64 v[121:122], v[0:1], v[65:66], v[123:124]
	v_fma_f64 v[123:124], v[2:3], v[65:66], v[125:126]
	v_mul_f64 v[125:126], v[51:52], -v[4:5]
	v_mul_f64 v[129:130], v[0:1], v[49:50]
	v_mul_f64 v[131:132], v[6:7], v[28:29]
	v_mul_f64 v[133:134], v[28:29], -v[4:5]
	v_mul_f64 v[135:136], v[32:33], -v[2:3]
	v_mul_f64 v[137:138], v[0:1], v[32:33]
	v_add_f64 v[111:112], v[111:112], v[113:114]
	v_mul_f64 v[113:114], v[6:7], v[51:52]
	v_mul_f64 v[127:128], v[49:50], -v[2:3]
	v_fma_f64 v[125:126], -v[6:7], v[53:54], v[125:126]
	v_fma_f64 v[129:130], v[2:3], v[79:80], v[129:130]
	v_fma_f64 v[131:132], -v[4:5], v[30:31], v[131:132]
	v_fma_f64 v[133:134], -v[6:7], v[30:31], v[133:134]
	v_fma_f64 v[135:136], v[0:1], v[34:35], v[135:136]
	v_fma_f64 v[137:138], v[2:3], v[34:35], v[137:138]
	v_fma_f64 v[139:140], -v[4:5], v[53:54], v[113:114]
	v_fma_f64 v[127:128], v[0:1], v[79:80], v[127:128]
	v_add_f64 v[113:114], v[85:86], v[115:116]
	v_add_f64 v[115:116], v[117:118], v[121:122]
	;; [unrolled: 1-line block ×6, first 2 shown]
	global_store_dwordx4 v[36:37], v[8:11], off
	v_add_f64 v[119:120], v[139:140], v[127:128]
	v_mov_b32_e32 v8, 0
	v_mov_b32_e32 v10, 0
	;; [unrolled: 1-line block ×4, first 2 shown]
	global_store_dwordx4 v[89:90], v[12:15], off
	global_store_dwordx4 v[97:98], v[107:110], off
	;; [unrolled: 1-line block ×6, first 2 shown]
	s_and_saveexec_b64 s[4:5], s[2:3]
	s_cbranch_execz .LBB298_16
; %bb.15:                               ;   in Loop: Header=BB298_5 Depth=1
	v_add_u32_e32 v12, v104, v105
	v_add_u32_e32 v45, s28, v12
	v_lshlrev_b64 v[8:9], 4, v[45:46]
	v_mov_b32_e32 v10, s9
	v_add_co_u32_e32 v13, vcc, s8, v8
	v_addc_co_u32_e32 v14, vcc, v10, v9, vcc
	global_load_dwordx4 v[8:11], v[13:14], off
	v_mul_f64 v[36:37], v[22:23], -v[4:5]
	v_mul_f64 v[85:86], v[6:7], v[22:23]
	v_mul_f64 v[89:90], v[0:1], v[22:23]
	v_mul_f64 v[97:98], v[22:23], -v[2:3]
	v_add_u32_e32 v45, s29, v12
	v_mov_b32_e32 v15, s9
	v_fma_f64 v[36:37], -v[6:7], v[20:21], v[36:37]
	v_fma_f64 v[85:86], -v[4:5], v[20:21], v[85:86]
	v_fma_f64 v[89:90], v[2:3], v[20:21], v[89:90]
	v_fma_f64 v[97:98], v[0:1], v[20:21], v[97:98]
	v_mul_f64 v[4:5], v[36:37], v[93:94]
	v_mul_f64 v[6:7], v[93:94], -v[85:86]
	v_mul_f64 v[93:94], v[95:96], -v[89:90]
	v_mul_f64 v[95:96], v[97:98], v[95:96]
	v_fma_f64 v[4:5], -v[85:86], v[101:102], v[4:5]
	v_fma_f64 v[6:7], -v[36:37], v[101:102], v[6:7]
	v_fma_f64 v[93:94], v[97:98], v[99:100], v[93:94]
	v_fma_f64 v[95:96], v[89:90], v[99:100], v[95:96]
	v_mul_f64 v[101:102], v[36:37], v[83:84]
	v_add_f64 v[93:94], v[4:5], -v[93:94]
	v_add_f64 v[95:96], v[6:7], -v[95:96]
	v_lshlrev_b64 v[4:5], 4, v[45:46]
	v_add_u32_e32 v45, s30, v12
	v_add_co_u32_e32 v99, vcc, s8, v4
	v_addc_co_u32_e32 v100, vcc, v15, v5, vcc
	global_load_dwordx4 v[4:7], v[99:100], off
	s_waitcnt vmcnt(1)
	v_add_f64 v[8:9], v[93:94], v[8:9]
	v_add_f64 v[10:11], v[95:96], v[10:11]
	v_lshlrev_b64 v[93:94], 4, v[45:46]
	v_mul_f64 v[95:96], v[57:58], -v[89:90]
	v_add_co_u32_e32 v93, vcc, s8, v93
	v_addc_co_u32_e32 v94, vcc, v15, v94, vcc
	v_mul_f64 v[57:58], v[97:98], v[57:58]
	global_store_dwordx4 v[13:14], v[8:11], off
	global_load_dwordx4 v[8:11], v[93:94], off
	v_mul_f64 v[13:14], v[36:37], v[55:56]
	v_mul_f64 v[55:56], v[55:56], -v[85:86]
	v_add_u32_e32 v45, s31, v12
	v_fma_f64 v[57:58], v[89:90], v[69:70], v[57:58]
	v_fma_f64 v[13:14], -v[85:86], v[63:64], v[13:14]
	v_fma_f64 v[55:56], -v[36:37], v[63:64], v[55:56]
	v_fma_f64 v[63:64], v[97:98], v[69:70], v[95:96]
	v_mul_f64 v[69:70], v[83:84], -v[85:86]
	v_mul_f64 v[83:84], v[87:88], -v[89:90]
	v_mul_f64 v[87:88], v[97:98], v[87:88]
	v_fma_f64 v[95:96], -v[85:86], v[81:82], v[101:102]
	v_add_f64 v[55:56], v[55:56], -v[57:58]
	v_add_f64 v[13:14], v[13:14], -v[63:64]
	v_fma_f64 v[57:58], -v[36:37], v[81:82], v[69:70]
	v_fma_f64 v[63:64], v[97:98], v[91:92], v[83:84]
	v_fma_f64 v[69:70], v[89:90], v[91:92], v[87:88]
	v_mul_f64 v[81:82], v[77:78], -v[89:90]
	v_mul_f64 v[77:78], v[97:98], v[77:78]
	v_add_f64 v[57:58], v[57:58], -v[69:70]
	v_mul_f64 v[69:70], v[36:37], v[73:74]
	v_mul_f64 v[73:74], v[73:74], -v[85:86]
	s_waitcnt vmcnt(2)
	v_add_f64 v[6:7], v[55:56], v[6:7]
	v_add_f64 v[55:56], v[95:96], -v[63:64]
	v_add_f64 v[4:5], v[13:14], v[4:5]
	v_lshlrev_b64 v[13:14], 4, v[45:46]
	v_add_u32_e32 v45, s33, v12
	v_add_co_u32_e32 v13, vcc, s8, v13
	v_addc_co_u32_e32 v14, vcc, v15, v14, vcc
	v_mul_f64 v[63:64], v[47:48], -v[89:90]
	global_store_dwordx4 v[99:100], v[4:7], off
	global_load_dwordx4 v[4:7], v[13:14], off
	v_mul_f64 v[47:48], v[97:98], v[47:48]
	s_waitcnt vmcnt(2)
	v_add_f64 v[8:9], v[55:56], v[8:9]
	v_add_f64 v[10:11], v[57:58], v[10:11]
	v_lshlrev_b64 v[55:56], 4, v[45:46]
	v_mul_f64 v[57:58], v[36:37], v[40:41]
	v_add_co_u32_e32 v55, vcc, s8, v55
	v_addc_co_u32_e32 v56, vcc, v15, v56, vcc
	v_mul_f64 v[40:41], v[40:41], -v[85:86]
	global_store_dwordx4 v[93:94], v[8:11], off
	global_load_dwordx4 v[8:11], v[55:56], off
	v_fma_f64 v[57:58], -v[85:86], v[38:39], v[57:58]
	v_add_u32_e32 v45, s34, v12
	v_fma_f64 v[38:39], -v[36:37], v[38:39], v[40:41]
	v_fma_f64 v[40:41], v[97:98], v[42:43], v[63:64]
	v_fma_f64 v[42:43], v[89:90], v[42:43], v[47:48]
	v_fma_f64 v[47:48], -v[85:86], v[71:72], v[69:70]
	v_fma_f64 v[63:64], -v[36:37], v[71:72], v[73:74]
	v_fma_f64 v[69:70], v[97:98], v[75:76], v[81:82]
	v_fma_f64 v[71:72], v[89:90], v[75:76], v[77:78]
	v_add_f64 v[40:41], v[57:58], -v[40:41]
	v_add_f64 v[38:39], v[38:39], -v[42:43]
	;; [unrolled: 1-line block ×4, first 2 shown]
	s_waitcnt vmcnt(2)
	v_add_f64 v[4:5], v[40:41], v[4:5]
	v_add_f64 v[6:7], v[38:39], v[6:7]
	v_lshlrev_b64 v[38:39], 4, v[45:46]
	v_mul_f64 v[40:41], v[97:98], v[59:60]
	v_add_co_u32_e32 v38, vcc, s8, v38
	v_addc_co_u32_e32 v39, vcc, v15, v39, vcc
	v_add_u32_e32 v45, s35, v12
	v_fma_f64 v[40:41], v[89:90], v[65:66], v[40:41]
	s_waitcnt vmcnt(0)
	v_add_f64 v[8:9], v[42:43], v[8:9]
	v_add_f64 v[10:11], v[47:48], v[10:11]
	global_store_dwordx4 v[13:14], v[4:7], off
	global_store_dwordx4 v[55:56], v[8:11], off
	global_load_dwordx4 v[4:7], v[38:39], off
	v_mul_f64 v[8:9], v[36:37], v[61:62]
	v_mul_f64 v[10:11], v[61:62], -v[85:86]
	v_mul_f64 v[13:14], v[59:60], -v[89:90]
	v_fma_f64 v[8:9], -v[85:86], v[67:68], v[8:9]
	v_fma_f64 v[10:11], -v[36:37], v[67:68], v[10:11]
	v_fma_f64 v[13:14], v[97:98], v[65:66], v[13:14]
	v_add_f64 v[10:11], v[10:11], -v[40:41]
	v_add_f64 v[8:9], v[8:9], -v[13:14]
	v_mul_f64 v[13:14], v[51:52], -v[85:86]
	v_mul_f64 v[40:41], v[97:98], v[49:50]
	v_fma_f64 v[13:14], -v[36:37], v[53:54], v[13:14]
	v_fma_f64 v[40:41], v[89:90], v[79:80], v[40:41]
	v_add_f64 v[14:15], v[13:14], -v[40:41]
	v_ashrrev_i32_e32 v13, 31, v12
	s_waitcnt vmcnt(0)
	v_add_f64 v[4:5], v[8:9], v[4:5]
	v_add_f64 v[6:7], v[10:11], v[6:7]
	v_lshlrev_b64 v[8:9], 4, v[45:46]
	v_mov_b32_e32 v10, s9
	v_add_co_u32_e32 v8, vcc, s8, v8
	v_addc_co_u32_e32 v9, vcc, v10, v9, vcc
	v_mul_f64 v[10:11], v[36:37], v[51:52]
	global_store_dwordx4 v[38:39], v[4:7], off
	global_load_dwordx4 v[4:7], v[8:9], off
	v_mul_f64 v[38:39], v[49:50], -v[89:90]
	v_add_u32_e32 v45, s36, v12
	v_fma_f64 v[10:11], -v[85:86], v[53:54], v[10:11]
	v_fma_f64 v[38:39], v[97:98], v[79:80], v[38:39]
	v_add_f64 v[10:11], v[10:11], -v[38:39]
	v_mov_b32_e32 v38, s9
	v_mov_b32_e32 v39, s15
	s_waitcnt vmcnt(0)
	v_add_f64 v[4:5], v[10:11], v[4:5]
	v_add_f64 v[6:7], v[14:15], v[6:7]
	v_lshlrev_b64 v[10:11], 4, v[12:13]
	v_lshlrev_b64 v[12:13], 4, v[45:46]
	v_add_co_u32_e32 v14, vcc, s8, v12
	v_addc_co_u32_e32 v15, vcc, v38, v13, vcc
	global_store_dwordx4 v[8:9], v[4:7], off
	v_add_co_u32_e32 v8, vcc, s14, v10
	v_addc_co_u32_e32 v9, vcc, v39, v11, vcc
	global_load_dwordx4 v[4:7], v[14:15], off
	global_load_dwordx4 v[10:13], v[8:9], off
	v_mul_f64 v[8:9], v[2:3], -v[22:23]
	v_mul_f64 v[2:3], v[2:3], v[20:21]
	v_fma_f64 v[8:9], v[20:21], v[0:1], v[8:9]
	v_fma_f64 v[0:1], v[22:23], v[0:1], v[2:3]
	v_mul_f64 v[20:21], v[36:37], v[28:29]
	v_mul_f64 v[22:23], v[28:29], -v[85:86]
	v_mul_f64 v[28:29], v[32:33], -v[89:90]
	v_mul_f64 v[32:33], v[97:98], v[32:33]
	v_mul_f64 v[2:3], v[18:19], v[8:9]
	v_mul_f64 v[18:19], v[18:19], -v[0:1]
	v_fma_f64 v[0:1], v[0:1], v[16:17], v[2:3]
	v_fma_f64 v[2:3], v[8:9], v[16:17], v[18:19]
	v_fma_f64 v[8:9], -v[85:86], v[30:31], v[20:21]
	v_fma_f64 v[16:17], -v[36:37], v[30:31], v[22:23]
	v_fma_f64 v[18:19], v[97:98], v[34:35], v[28:29]
	v_fma_f64 v[20:21], v[89:90], v[34:35], v[32:33]
	v_mul_f64 v[22:23], v[24:25], -v[0:1]
	v_mul_f64 v[24:25], v[24:25], v[2:3]
	v_add_f64 v[8:9], v[8:9], -v[18:19]
	v_add_f64 v[16:17], v[16:17], -v[20:21]
	v_fma_f64 v[18:19], v[2:3], v[26:27], v[22:23]
	v_fma_f64 v[20:21], v[0:1], v[26:27], v[24:25]
	s_waitcnt vmcnt(1)
	v_add_f64 v[0:1], v[8:9], v[4:5]
	v_add_f64 v[2:3], v[16:17], v[6:7]
	s_waitcnt vmcnt(0)
	v_add_f64 v[10:11], v[10:11], -v[18:19]
	v_add_f64 v[8:9], v[12:13], -v[20:21]
	global_store_dwordx4 v[14:15], v[0:3], off
.LBB298_16:                             ;   in Loop: Header=BB298_5 Depth=1
	s_or_b64 exec, exec, s[4:5]
	v_mov_b32_e32 v2, v8
	v_mov_b32_e32 v0, v10
	v_mov_b32_e32 v3, v9
	v_mov_b32_e32 v1, v11
                                        ; implicit-def: $vgpr4_vgpr5
                                        ; implicit-def: $vgpr12_vgpr13
                                        ; implicit-def: $vgpr8_vgpr9
                                        ; implicit-def: $vgpr47_vgpr48
                                        ; implicit-def: $vgpr49_vgpr50
                                        ; implicit-def: $vgpr36
                                        ; implicit-def: $vgpr34
                                        ; implicit-def: $vgpr32
                                        ; implicit-def: $vgpr30
                                        ; implicit-def: $vgpr28
                                        ; implicit-def: $vgpr26
                                        ; implicit-def: $vgpr24
.LBB298_17:                             ;   in Loop: Header=BB298_5 Depth=1
	s_or_saveexec_b64 s[2:3], s[20:21]
	v_mov_b32_e32 v10, s27
	s_xor_b64 exec, exec, s[2:3]
	s_cbranch_execz .LBB298_4
; %bb.18:                               ;   in Loop: Header=BB298_5 Depth=1
	v_mul_f64 v[10:11], v[2:3], v[2:3]
	v_lshlrev_b64 v[16:17], 4, v[45:46]
	v_mov_b32_e32 v35, v46
	v_mov_b32_e32 v37, v46
	v_lshlrev_b64 v[20:21], 4, v[34:35]
	v_mov_b32_e32 v25, s9
	v_lshlrev_b64 v[18:19], 4, v[36:37]
	v_add_co_u32_e32 v73, vcc, s8, v16
	v_fma_f64 v[10:11], v[0:1], v[0:1], v[10:11]
	v_addc_co_u32_e32 v74, vcc, v25, v17, vcc
	v_mov_b32_e32 v40, s9
	v_add_co_u32_e32 v75, vcc, s8, v18
	v_mov_b32_e32 v33, v46
	v_addc_co_u32_e32 v76, vcc, v40, v19, vcc
	v_div_scale_f64 v[38:39], s[4:5], v[10:11], v[10:11], 1.0
	v_mov_b32_e32 v41, s9
	v_lshlrev_b64 v[22:23], 4, v[32:33]
	v_add_co_u32_e32 v77, vcc, s8, v20
	v_mov_b32_e32 v31, v46
	v_addc_co_u32_e32 v78, vcc, v41, v21, vcc
	v_mov_b32_e32 v42, s9
	v_lshlrev_b64 v[30:31], 4, v[30:31]
	v_add_co_u32_e32 v79, vcc, s8, v22
	v_mov_b32_e32 v29, v46
	v_addc_co_u32_e32 v80, vcc, v42, v23, vcc
	v_rcp_f64_e32 v[34:35], v[38:39]
	v_mov_b32_e32 v43, s9
	v_lshlrev_b64 v[28:29], 4, v[28:29]
	v_add_co_u32_e32 v81, vcc, s8, v30
	v_mov_b32_e32 v27, v46
	v_addc_co_u32_e32 v82, vcc, v43, v31, vcc
	v_mov_b32_e32 v45, s9
	v_lshlrev_b64 v[32:33], 4, v[26:27]
	v_add_co_u32_e32 v83, vcc, s8, v28
	v_addc_co_u32_e32 v84, vcc, v45, v29, vcc
	v_mov_b32_e32 v25, v46
	v_mov_b32_e32 v51, s9
	v_add_co_u32_e32 v85, vcc, s8, v32
	v_lshlrev_b64 v[24:25], 4, v[24:25]
	v_addc_co_u32_e32 v86, vcc, v51, v33, vcc
	v_mov_b32_e32 v32, s9
	v_add_co_u32_e32 v87, vcc, s8, v24
	v_fma_f64 v[30:31], -v[38:39], v[34:35], 1.0
	global_load_dwordx4 v[16:19], v[73:74], off
	global_load_dwordx4 v[20:23], v[75:76], off
	;; [unrolled: 1-line block ×6, first 2 shown]
	v_addc_co_u32_e32 v88, vcc, v32, v25, vcc
	global_load_dwordx4 v[65:68], v[85:86], off
	global_load_dwordx4 v[69:72], v[87:88], off
	v_div_scale_f64 v[24:25], vcc, 1.0, v[10:11], 1.0
	v_fma_f64 v[30:31], v[34:35], v[30:31], v[34:35]
	v_fma_f64 v[32:33], -v[38:39], v[30:31], 1.0
	v_fma_f64 v[30:31], v[30:31], v[32:33], v[30:31]
	v_mul_f64 v[32:33], v[24:25], v[30:31]
	v_fma_f64 v[24:25], -v[38:39], v[32:33], v[24:25]
	v_div_fmas_f64 v[24:25], v[24:25], v[30:31], v[32:33]
	v_fma_f64 v[30:31], v[0:1], 0, -v[2:3]
	v_fma_f64 v[0:1], v[2:3], 0, v[0:1]
	v_div_fixup_f64 v[10:11], v[24:25], v[10:11], 1.0
	v_mul_f64 v[51:52], v[30:31], v[10:11]
	v_mul_f64 v[10:11], v[0:1], v[10:11]
	s_waitcnt vmcnt(7)
	v_mul_f64 v[0:1], v[51:52], -v[18:19]
	v_mul_f64 v[2:3], v[51:52], v[16:17]
	s_waitcnt vmcnt(6)
	v_mul_f64 v[24:25], v[51:52], -v[22:23]
	;; [unrolled: 3-line block ×8, first 2 shown]
	v_mul_f64 v[111:112], v[51:52], v[69:70]
	v_fma_f64 v[40:41], v[16:17], v[10:11], v[0:1]
	v_fma_f64 v[42:43], v[18:19], v[10:11], v[2:3]
	;; [unrolled: 1-line block ×16, first 2 shown]
	global_store_dwordx4 v[73:74], v[40:43], off
	global_store_dwordx4 v[75:76], v[36:39], off
	;; [unrolled: 1-line block ×8, first 2 shown]
	s_and_saveexec_b64 s[4:5], s[0:1]
	s_cbranch_execz .LBB298_3
; %bb.19:                               ;   in Loop: Header=BB298_5 Depth=1
	v_add_u32_e32 v65, v103, v105
	v_add_u32_e32 v45, s28, v65
	v_lshlrev_b64 v[53:54], 4, v[45:46]
	v_mov_b32_e32 v45, s9
	v_add_co_u32_e32 v61, vcc, s8, v53
	v_addc_co_u32_e32 v62, vcc, v45, v54, vcc
	global_load_dwordx4 v[53:56], v[61:62], off
	v_add_u32_e32 v45, s29, v65
	v_lshlrev_b64 v[57:58], 4, v[45:46]
	v_add_u32_e32 v45, s30, v65
	v_mov_b32_e32 v59, s9
	v_add_co_u32_e32 v63, vcc, s8, v57
	v_addc_co_u32_e32 v64, vcc, v59, v58, vcc
	global_load_dwordx4 v[57:60], v[63:64], off
	s_waitcnt vmcnt(1)
	v_fma_f64 v[53:54], -v[4:5], v[40:41], v[53:54]
	v_fma_f64 v[55:56], -v[6:7], v[40:41], v[55:56]
	v_fma_f64 v[40:41], v[6:7], v[42:43], v[53:54]
	v_fma_f64 v[42:43], -v[4:5], v[42:43], v[55:56]
	v_lshlrev_b64 v[53:54], 4, v[45:46]
	v_mov_b32_e32 v55, s9
	v_add_co_u32_e32 v53, vcc, s8, v53
	v_addc_co_u32_e32 v54, vcc, v55, v54, vcc
	v_add_u32_e32 v45, s31, v65
	global_store_dwordx4 v[61:62], v[40:43], off
	global_load_dwordx4 v[40:43], v[53:54], off
	s_waitcnt vmcnt(2)
	v_fma_f64 v[55:56], -v[4:5], v[36:37], v[57:58]
	v_fma_f64 v[57:58], -v[6:7], v[36:37], v[59:60]
	v_fma_f64 v[36:37], v[6:7], v[38:39], v[55:56]
	v_fma_f64 v[38:39], -v[4:5], v[38:39], v[57:58]
	v_lshlrev_b64 v[55:56], 4, v[45:46]
	v_add_u32_e32 v45, s33, v65
	v_mov_b32_e32 v57, s9
	v_add_co_u32_e32 v55, vcc, s8, v55
	v_addc_co_u32_e32 v56, vcc, v57, v56, vcc
	global_store_dwordx4 v[63:64], v[36:39], off
	global_load_dwordx4 v[36:39], v[55:56], off
	s_waitcnt vmcnt(2)
	v_fma_f64 v[40:41], -v[4:5], v[32:33], v[40:41]
	v_fma_f64 v[42:43], -v[6:7], v[32:33], v[42:43]
	v_fma_f64 v[32:33], v[6:7], v[34:35], v[40:41]
	v_fma_f64 v[34:35], -v[4:5], v[34:35], v[42:43]
	v_lshlrev_b64 v[40:41], 4, v[45:46]
	v_mov_b32_e32 v42, s9
	v_add_co_u32_e32 v40, vcc, s8, v40
	v_addc_co_u32_e32 v41, vcc, v42, v41, vcc
	v_add_u32_e32 v45, s34, v65
	global_store_dwordx4 v[53:54], v[32:35], off
	global_load_dwordx4 v[32:35], v[40:41], off
	s_waitcnt vmcnt(2)
	v_fma_f64 v[36:37], -v[4:5], v[28:29], v[36:37]
	v_fma_f64 v[38:39], -v[6:7], v[28:29], v[38:39]
	v_fma_f64 v[28:29], v[6:7], v[30:31], v[36:37]
	v_fma_f64 v[30:31], -v[4:5], v[30:31], v[38:39]
	s_waitcnt vmcnt(0)
	v_fma_f64 v[32:33], -v[4:5], v[24:25], v[32:33]
	v_fma_f64 v[34:35], -v[6:7], v[24:25], v[34:35]
	v_fma_f64 v[24:25], v[6:7], v[26:27], v[32:33]
	v_fma_f64 v[26:27], -v[4:5], v[26:27], v[34:35]
	v_lshlrev_b64 v[32:33], 4, v[45:46]
	global_store_dwordx4 v[55:56], v[28:31], off
	global_store_dwordx4 v[40:41], v[24:27], off
	v_add_co_u32_e32 v32, vcc, s8, v32
	v_addc_co_u32_e32 v33, vcc, v42, v33, vcc
	global_load_dwordx4 v[24:27], v[32:33], off
	v_add_u32_e32 v45, s35, v65
	s_waitcnt vmcnt(0)
	v_fma_f64 v[24:25], -v[4:5], v[20:21], v[24:25]
	v_fma_f64 v[26:27], -v[6:7], v[20:21], v[26:27]
	v_fma_f64 v[20:21], v[6:7], v[22:23], v[24:25]
	v_fma_f64 v[22:23], -v[4:5], v[22:23], v[26:27]
	v_lshlrev_b64 v[24:25], 4, v[45:46]
	v_mov_b32_e32 v26, s9
	v_add_co_u32_e32 v24, vcc, s8, v24
	v_addc_co_u32_e32 v25, vcc, v26, v25, vcc
	v_add_u32_e32 v45, s36, v65
	global_store_dwordx4 v[32:33], v[20:23], off
	global_load_dwordx4 v[20:23], v[24:25], off
	s_waitcnt vmcnt(0)
	v_fma_f64 v[20:21], -v[4:5], v[16:17], v[20:21]
	v_fma_f64 v[22:23], -v[6:7], v[16:17], v[22:23]
	v_fma_f64 v[16:17], v[6:7], v[18:19], v[20:21]
	v_fma_f64 v[18:19], -v[4:5], v[18:19], v[22:23]
	v_lshlrev_b64 v[20:21], 4, v[45:46]
	v_mov_b32_e32 v22, s9
	v_add_co_u32_e32 v20, vcc, s8, v20
	v_addc_co_u32_e32 v21, vcc, v22, v21, vcc
	global_store_dwordx4 v[24:25], v[16:19], off
	global_load_dwordx4 v[16:19], v[20:21], off
	s_waitcnt vmcnt(0)
	v_fma_f64 v[16:17], -v[4:5], v[0:1], v[16:17]
	v_fma_f64 v[18:19], -v[6:7], v[0:1], v[18:19]
	v_fma_f64 v[0:1], v[6:7], v[2:3], v[16:17]
	v_fma_f64 v[2:3], -v[4:5], v[2:3], v[18:19]
	global_store_dwordx4 v[20:21], v[0:3], off
	s_branch .LBB298_3
.LBB298_20:
	s_or_b64 exec, exec, s[18:19]
	s_branch .LBB298_22
.LBB298_21:
	v_mov_b32_e32 v105, 0
.LBB298_22:
	v_subrev_u32_e32 v2, s22, v105
	v_add_u32_e32 v0, v2, v44
	v_ashrrev_i32_e32 v1, 31, v0
	v_lshlrev_b64 v[0:1], 2, v[0:1]
	s_waitcnt lgkmcnt(0)
	v_mov_b32_e32 v3, s17
	v_add_co_u32_e32 v0, vcc, s16, v0
	v_addc_co_u32_e32 v1, vcc, v3, v1, vcc
	s_waitcnt vmcnt(0)
	buffer_wbinvl1_vol
	global_load_dword v0, v[0:1], off
	s_waitcnt vmcnt(0)
	v_mul_lo_u32 v0, v0, s22
	v_sub_u32_e32 v8, v2, v0
	v_cmp_lt_i32_e32 vcc, -1, v8
	s_and_b64 exec, exec, vcc
	s_cbranch_execz .LBB298_29
; %bb.23:
	s_lshl_b32 s4, s24, 3
	s_add_i32 s5, s4, s23
	s_add_i32 s6, s5, s23
	;; [unrolled: 1-line block ×7, first 2 shown]
	s_lshl_b32 s18, s22, 1
	s_mov_b64 s[0:1], 0
	v_mov_b32_e32 v9, s17
	v_mov_b32_e32 v10, s11
	;; [unrolled: 1-line block ×3, first 2 shown]
	s_branch .LBB298_25
.LBB298_24:                             ;   in Loop: Header=BB298_25 Depth=1
	s_or_b64 exec, exec, s[2:3]
	v_sub_u32_e32 v8, v8, v4
	v_cmp_gt_i32_e32 vcc, 0, v8
	s_or_b64 s[0:1], vcc, s[0:1]
	s_andn2_b64 exec, exec, s[0:1]
	s_cbranch_execz .LBB298_29
.LBB298_25:                             ; =>This Inner Loop Header: Depth=1
	v_add_u32_e32 v6, v8, v44
	v_ashrrev_i32_e32 v7, 31, v6
	s_waitcnt vmcnt(0)
	v_lshlrev_b64 v[0:1], 2, v[6:7]
	v_add_co_u32_e32 v0, vcc, s16, v0
	v_addc_co_u32_e32 v1, vcc, v9, v1, vcc
	global_load_dword v4, v[0:1], off
	v_lshlrev_b64 v[0:1], 4, v[6:7]
	v_add_co_u32_e32 v0, vcc, s10, v0
	v_addc_co_u32_e32 v1, vcc, v10, v1, vcc
	global_load_dwordx4 v[0:3], v[0:1], off
	s_waitcnt vmcnt(1)
	v_cmp_ne_u32_e32 vcc, 1, v4
	s_and_saveexec_b64 s[2:3], vcc
	s_xor_b64 s[2:3], exec, s[2:3]
	s_cbranch_execz .LBB298_27
; %bb.26:                               ;   in Loop: Header=BB298_25 Depth=1
	v_add_u32_e32 v7, v103, v8
	v_add_u32_e32 v4, s4, v7
	v_lshlrev_b64 v[11:12], 4, v[4:5]
	v_mov_b32_e32 v4, s9
	v_add_co_u32_e32 v11, vcc, s8, v11
	v_addc_co_u32_e32 v12, vcc, v4, v12, vcc
	v_add_u32_e32 v4, s5, v7
	v_lshlrev_b64 v[19:20], 4, v[4:5]
	v_add_u32_e32 v4, s6, v7
	v_lshlrev_b64 v[23:24], 4, v[4:5]
	;; [unrolled: 2-line block ×8, first 2 shown]
	v_mov_b32_e32 v4, s9
	v_add_co_u32_e32 v49, vcc, s8, v15
	v_addc_co_u32_e32 v50, vcc, v4, v16, vcc
	global_load_dwordx4 v[11:14], v[11:12], off
	v_add_co_u32_e32 v19, vcc, s8, v19
	global_load_dwordx4 v[15:18], v[49:50], off
	v_addc_co_u32_e32 v20, vcc, v4, v20, vcc
	global_load_dwordx4 v[19:22], v[19:20], off
	v_mov_b32_e32 v7, s9
	v_add_co_u32_e32 v35, vcc, s8, v23
	v_addc_co_u32_e32 v36, vcc, v7, v24, vcc
	v_mov_b32_e32 v27, s9
	v_add_co_u32_e32 v37, vcc, s8, v25
	v_addc_co_u32_e32 v38, vcc, v27, v26, vcc
	;; [unrolled: 3-line block ×5, first 2 shown]
	v_add_u32_e32 v4, s5, v6
	v_mov_b32_e32 v54, s9
	v_add_co_u32_e32 v53, vcc, s8, v41
	v_lshlrev_b64 v[55:56], 4, v[4:5]
	v_addc_co_u32_e32 v54, vcc, v54, v42, vcc
	v_mov_b32_e32 v57, s9
	global_load_dwordx4 v[23:26], v[35:36], off
	global_load_dwordx4 v[27:30], v[37:38], off
	;; [unrolled: 1-line block ×3, first 2 shown]
	s_nop 0
	global_load_dwordx4 v[35:38], v[47:48], off
	global_load_dwordx4 v[39:42], v[51:52], off
	s_nop 0
	global_load_dwordx4 v[45:48], v[53:54], off
	v_add_co_u32_e32 v51, vcc, s8, v55
	v_addc_co_u32_e32 v52, vcc, v57, v56, vcc
	v_add_u32_e32 v4, s6, v6
	s_waitcnt vmcnt(7)
	v_fma_f64 v[15:16], -v[0:1], v[11:12], v[15:16]
	v_fma_f64 v[17:18], -v[2:3], v[11:12], v[17:18]
	v_fma_f64 v[15:16], v[2:3], v[13:14], v[15:16]
	v_fma_f64 v[17:18], -v[0:1], v[13:14], v[17:18]
	global_store_dwordx4 v[49:50], v[15:18], off
	global_load_dwordx4 v[15:18], v[51:52], off
	v_lshlrev_b64 v[49:50], 4, v[4:5]
	v_add_u32_e32 v4, s7, v6
	v_add_co_u32_e32 v49, vcc, s8, v49
	v_addc_co_u32_e32 v50, vcc, v7, v50, vcc
	s_waitcnt vmcnt(0)
	v_fma_f64 v[15:16], -v[0:1], v[19:20], v[15:16]
	v_fma_f64 v[17:18], -v[2:3], v[19:20], v[17:18]
	v_fma_f64 v[15:16], v[2:3], v[21:22], v[15:16]
	v_fma_f64 v[17:18], -v[0:1], v[21:22], v[17:18]
	global_store_dwordx4 v[51:52], v[15:18], off
	global_load_dwordx4 v[15:18], v[49:50], off
	v_lshlrev_b64 v[51:52], 4, v[4:5]
	v_add_u32_e32 v4, s12, v6
	v_add_co_u32_e32 v51, vcc, s8, v51
	v_addc_co_u32_e32 v52, vcc, v7, v52, vcc
	;; [unrolled: 11-line block ×5, first 2 shown]
	v_lshlrev_b64 v[6:7], 4, v[4:5]
	v_subrev_u32_e32 v4, s22, v8
	v_add_co_u32_e32 v6, vcc, s8, v6
	v_addc_co_u32_e32 v7, vcc, v43, v7, vcc
	v_mov_b32_e32 v43, s11
	s_waitcnt vmcnt(0)
	v_fma_f64 v[15:16], -v[0:1], v[35:36], v[15:16]
	v_fma_f64 v[17:18], -v[2:3], v[35:36], v[17:18]
	v_fma_f64 v[15:16], v[2:3], v[37:38], v[15:16]
	v_fma_f64 v[17:18], -v[0:1], v[37:38], v[17:18]
	global_store_dwordx4 v[51:52], v[15:18], off
	global_load_dwordx4 v[15:18], v[49:50], off
	v_mov_b32_e32 v52, s9
	s_waitcnt vmcnt(0)
	v_fma_f64 v[15:16], -v[0:1], v[39:40], v[15:16]
	v_fma_f64 v[17:18], -v[2:3], v[39:40], v[17:18]
	v_fma_f64 v[15:16], v[2:3], v[41:42], v[15:16]
	v_fma_f64 v[17:18], -v[0:1], v[41:42], v[17:18]
	global_store_dwordx4 v[49:50], v[15:18], off
	global_load_dwordx4 v[15:18], v[6:7], off
	v_add_u32_e32 v49, v4, v44
	v_ashrrev_i32_e32 v50, 31, v49
	v_lshlrev_b64 v[50:51], 4, v[49:50]
	v_add_u32_e32 v4, s4, v49
	v_add_co_u32_e32 v50, vcc, s10, v50
	v_addc_co_u32_e32 v51, vcc, v43, v51, vcc
	s_waitcnt vmcnt(0)
	v_fma_f64 v[15:16], -v[0:1], v[45:46], v[15:16]
	v_fma_f64 v[17:18], -v[2:3], v[45:46], v[17:18]
	v_fma_f64 v[15:16], v[2:3], v[47:48], v[15:16]
	v_fma_f64 v[17:18], -v[0:1], v[47:48], v[17:18]
	global_load_dwordx4 v[0:3], v[50:51], off
	v_lshlrev_b64 v[50:51], 4, v[4:5]
	v_add_u32_e32 v4, s5, v49
	v_add_co_u32_e32 v50, vcc, s8, v50
	v_addc_co_u32_e32 v51, vcc, v52, v51, vcc
	global_store_dwordx4 v[6:7], v[15:18], off
	global_load_dwordx4 v[15:18], v[50:51], off
	s_waitcnt vmcnt(0)
	v_fma_f64 v[6:7], -v[0:1], v[11:12], v[15:16]
	v_fma_f64 v[15:16], -v[2:3], v[11:12], v[17:18]
	v_mov_b32_e32 v17, s9
	v_fma_f64 v[11:12], v[2:3], v[13:14], v[6:7]
	v_fma_f64 v[13:14], -v[0:1], v[13:14], v[15:16]
	v_lshlrev_b64 v[6:7], 4, v[4:5]
	v_mov_b32_e32 v15, s9
	v_add_co_u32_e32 v6, vcc, s8, v6
	v_addc_co_u32_e32 v7, vcc, v15, v7, vcc
	v_add_u32_e32 v4, s6, v49
	global_store_dwordx4 v[50:51], v[11:14], off
	global_load_dwordx4 v[11:14], v[6:7], off
	v_lshlrev_b64 v[15:16], 4, v[4:5]
	v_add_u32_e32 v4, s7, v49
	v_add_co_u32_e32 v15, vcc, s8, v15
	v_addc_co_u32_e32 v16, vcc, v17, v16, vcc
	s_waitcnt vmcnt(0)
	v_fma_f64 v[11:12], -v[0:1], v[19:20], v[11:12]
	v_fma_f64 v[13:14], -v[2:3], v[19:20], v[13:14]
	v_fma_f64 v[11:12], v[2:3], v[21:22], v[11:12]
	v_fma_f64 v[13:14], -v[0:1], v[21:22], v[13:14]
	global_store_dwordx4 v[6:7], v[11:14], off
	global_load_dwordx4 v[11:14], v[15:16], off
	s_waitcnt vmcnt(0)
	v_fma_f64 v[6:7], -v[0:1], v[23:24], v[11:12]
	v_fma_f64 v[13:14], -v[2:3], v[23:24], v[13:14]
	v_fma_f64 v[11:12], v[2:3], v[25:26], v[6:7]
	v_fma_f64 v[13:14], -v[0:1], v[25:26], v[13:14]
	v_lshlrev_b64 v[6:7], 4, v[4:5]
	v_add_u32_e32 v4, s12, v49
	v_add_co_u32_e32 v6, vcc, s8, v6
	v_addc_co_u32_e32 v7, vcc, v17, v7, vcc
	global_store_dwordx4 v[15:16], v[11:14], off
	global_load_dwordx4 v[11:14], v[6:7], off
	v_lshlrev_b64 v[15:16], 4, v[4:5]
	v_add_u32_e32 v4, s13, v49
	v_add_co_u32_e32 v15, vcc, s8, v15
	v_addc_co_u32_e32 v16, vcc, v17, v16, vcc
	s_waitcnt vmcnt(0)
	v_fma_f64 v[11:12], -v[0:1], v[27:28], v[11:12]
	v_fma_f64 v[13:14], -v[2:3], v[27:28], v[13:14]
	v_fma_f64 v[11:12], v[2:3], v[29:30], v[11:12]
	v_fma_f64 v[13:14], -v[0:1], v[29:30], v[13:14]
	global_store_dwordx4 v[6:7], v[11:14], off
	global_load_dwordx4 v[11:14], v[15:16], off
	s_waitcnt vmcnt(0)
	v_fma_f64 v[6:7], -v[0:1], v[31:32], v[11:12]
	v_fma_f64 v[13:14], -v[2:3], v[31:32], v[13:14]
	v_fma_f64 v[11:12], v[2:3], v[33:34], v[6:7]
	v_fma_f64 v[13:14], -v[0:1], v[33:34], v[13:14]
	v_lshlrev_b64 v[6:7], 4, v[4:5]
	v_add_u32_e32 v4, s14, v49
	v_add_co_u32_e32 v6, vcc, s8, v6
	v_addc_co_u32_e32 v7, vcc, v17, v7, vcc
	global_store_dwordx4 v[15:16], v[11:14], off
	global_load_dwordx4 v[11:14], v[6:7], off
	v_lshlrev_b64 v[15:16], 4, v[4:5]
	v_add_u32_e32 v4, s15, v49
	v_add_co_u32_e32 v15, vcc, s8, v15
	v_addc_co_u32_e32 v16, vcc, v17, v16, vcc
	s_waitcnt vmcnt(0)
	v_fma_f64 v[11:12], -v[0:1], v[35:36], v[11:12]
	v_fma_f64 v[13:14], -v[2:3], v[35:36], v[13:14]
	v_fma_f64 v[11:12], v[2:3], v[37:38], v[11:12]
	v_fma_f64 v[13:14], -v[0:1], v[37:38], v[13:14]
	global_store_dwordx4 v[6:7], v[11:14], off
	global_load_dwordx4 v[11:14], v[15:16], off
	s_waitcnt vmcnt(0)
	v_fma_f64 v[6:7], -v[0:1], v[39:40], v[11:12]
	v_fma_f64 v[13:14], -v[2:3], v[39:40], v[13:14]
	v_fma_f64 v[11:12], v[2:3], v[41:42], v[6:7]
	v_fma_f64 v[13:14], -v[0:1], v[41:42], v[13:14]
	v_lshlrev_b64 v[6:7], 4, v[4:5]
	v_add_co_u32_e32 v6, vcc, s8, v6
	v_addc_co_u32_e32 v7, vcc, v17, v7, vcc
	global_store_dwordx4 v[15:16], v[11:14], off
	global_load_dwordx4 v[11:14], v[6:7], off
	s_waitcnt vmcnt(0)
	v_fma_f64 v[11:12], -v[0:1], v[45:46], v[11:12]
	v_fma_f64 v[13:14], -v[2:3], v[45:46], v[13:14]
	v_fma_f64 v[11:12], v[2:3], v[47:48], v[11:12]
	v_fma_f64 v[13:14], -v[0:1], v[47:48], v[13:14]
                                        ; implicit-def: $vgpr0_vgpr1
	global_store_dwordx4 v[6:7], v[11:14], off
                                        ; implicit-def: $vgpr6
.LBB298_27:                             ;   in Loop: Header=BB298_25 Depth=1
	s_or_saveexec_b64 s[2:3], s[2:3]
	v_mov_b32_e32 v4, s18
	s_xor_b64 exec, exec, s[2:3]
	s_cbranch_execz .LBB298_24
; %bb.28:                               ;   in Loop: Header=BB298_25 Depth=1
	v_add_u32_e32 v7, v103, v8
	v_add_u32_e32 v4, s4, v7
	v_lshlrev_b64 v[11:12], 4, v[4:5]
	v_mov_b32_e32 v4, s9
	v_add_co_u32_e32 v19, vcc, s8, v11
	v_addc_co_u32_e32 v20, vcc, v4, v12, vcc
	v_add_u32_e32 v4, s4, v6
	v_lshlrev_b64 v[11:12], 4, v[4:5]
	v_mov_b32_e32 v4, s9
	v_add_co_u32_e32 v21, vcc, s8, v11
	v_addc_co_u32_e32 v22, vcc, v4, v12, vcc
	global_load_dwordx4 v[11:14], v[19:20], off
	global_load_dwordx4 v[15:18], v[21:22], off
	v_add_u32_e32 v4, s5, v7
	v_lshlrev_b64 v[19:20], 4, v[4:5]
	v_add_u32_e32 v4, s5, v6
	v_mov_b32_e32 v25, s9
	v_lshlrev_b64 v[23:24], 4, v[4:5]
	v_add_co_u32_e32 v19, vcc, s8, v19
	v_addc_co_u32_e32 v20, vcc, v25, v20, vcc
	v_mov_b32_e32 v26, s9
	v_add_co_u32_e32 v23, vcc, s8, v23
	v_addc_co_u32_e32 v24, vcc, v26, v24, vcc
	v_add_u32_e32 v4, s6, v7
	s_waitcnt vmcnt(0)
	v_fma_f64 v[15:16], -v[0:1], v[11:12], v[15:16]
	v_fma_f64 v[17:18], -v[2:3], v[11:12], v[17:18]
	v_fma_f64 v[11:12], v[2:3], v[13:14], v[15:16]
	v_fma_f64 v[13:14], -v[0:1], v[13:14], v[17:18]
	global_store_dwordx4 v[21:22], v[11:14], off
	global_load_dwordx4 v[11:14], v[19:20], off
	s_nop 0
	global_load_dwordx4 v[15:18], v[23:24], off
	v_lshlrev_b64 v[19:20], 4, v[4:5]
	v_add_u32_e32 v4, s6, v6
	v_lshlrev_b64 v[21:22], 4, v[4:5]
	v_add_co_u32_e32 v19, vcc, s8, v19
	v_addc_co_u32_e32 v20, vcc, v25, v20, vcc
	v_add_co_u32_e32 v21, vcc, s8, v21
	v_addc_co_u32_e32 v22, vcc, v26, v22, vcc
	v_add_u32_e32 v4, s7, v7
	s_waitcnt vmcnt(0)
	v_fma_f64 v[15:16], -v[0:1], v[11:12], v[15:16]
	v_fma_f64 v[17:18], -v[2:3], v[11:12], v[17:18]
	v_fma_f64 v[11:12], v[2:3], v[13:14], v[15:16]
	v_fma_f64 v[13:14], -v[0:1], v[13:14], v[17:18]
	global_store_dwordx4 v[23:24], v[11:14], off
	global_load_dwordx4 v[11:14], v[19:20], off
	s_nop 0
	global_load_dwordx4 v[15:18], v[21:22], off
	v_lshlrev_b64 v[19:20], 4, v[4:5]
	v_add_u32_e32 v4, s7, v6
	v_lshlrev_b64 v[23:24], 4, v[4:5]
	v_add_co_u32_e32 v19, vcc, s8, v19
	v_addc_co_u32_e32 v20, vcc, v25, v20, vcc
	;; [unrolled: 17-line block ×5, first 2 shown]
	v_add_co_u32_e32 v21, vcc, s8, v21
	v_addc_co_u32_e32 v22, vcc, v26, v22, vcc
	v_add_u32_e32 v4, s15, v7
	s_waitcnt vmcnt(0)
	v_fma_f64 v[15:16], -v[0:1], v[11:12], v[15:16]
	v_fma_f64 v[17:18], -v[2:3], v[11:12], v[17:18]
	v_fma_f64 v[11:12], v[2:3], v[13:14], v[15:16]
	v_fma_f64 v[13:14], -v[0:1], v[13:14], v[17:18]
	global_store_dwordx4 v[23:24], v[11:14], off
	global_load_dwordx4 v[11:14], v[19:20], off
	s_nop 0
	global_load_dwordx4 v[15:18], v[21:22], off
	v_lshlrev_b64 v[19:20], 4, v[4:5]
	v_add_u32_e32 v4, s15, v6
	v_mov_b32_e32 v23, s9
	v_lshlrev_b64 v[6:7], 4, v[4:5]
	v_add_co_u32_e32 v19, vcc, s8, v19
	v_addc_co_u32_e32 v20, vcc, v23, v20, vcc
	v_mov_b32_e32 v24, s9
	v_add_co_u32_e32 v6, vcc, s8, v6
	v_addc_co_u32_e32 v7, vcc, v24, v7, vcc
	v_mov_b32_e32 v4, s22
	s_waitcnt vmcnt(0)
	v_fma_f64 v[15:16], -v[0:1], v[11:12], v[15:16]
	v_fma_f64 v[17:18], -v[2:3], v[11:12], v[17:18]
	v_fma_f64 v[11:12], v[2:3], v[13:14], v[15:16]
	v_fma_f64 v[13:14], -v[0:1], v[13:14], v[17:18]
	global_store_dwordx4 v[21:22], v[11:14], off
	global_load_dwordx4 v[11:14], v[19:20], off
	s_nop 0
	global_load_dwordx4 v[15:18], v[6:7], off
	s_waitcnt vmcnt(0)
	v_fma_f64 v[15:16], -v[0:1], v[11:12], v[15:16]
	v_fma_f64 v[17:18], -v[2:3], v[11:12], v[17:18]
	v_fma_f64 v[11:12], v[2:3], v[13:14], v[15:16]
	v_fma_f64 v[13:14], -v[0:1], v[13:14], v[17:18]
	global_store_dwordx4 v[6:7], v[11:14], off
	s_branch .LBB298_24
.LBB298_29:
	s_endpgm
	.section	.rodata,"a",@progbits
	.p2align	6, 0x0
	.amdhsa_kernel _ZN9rocsparseL19gtsv_LBM_rhs_kernelILj256ELj8ELj8E21rocsparse_complex_numIdEEEviiiPKT2_S5_S5_PS3_S5_PKi
		.amdhsa_group_segment_fixed_size 0
		.amdhsa_private_segment_fixed_size 0
		.amdhsa_kernarg_size 64
		.amdhsa_user_sgpr_count 6
		.amdhsa_user_sgpr_private_segment_buffer 1
		.amdhsa_user_sgpr_dispatch_ptr 0
		.amdhsa_user_sgpr_queue_ptr 0
		.amdhsa_user_sgpr_kernarg_segment_ptr 1
		.amdhsa_user_sgpr_dispatch_id 0
		.amdhsa_user_sgpr_flat_scratch_init 0
		.amdhsa_user_sgpr_private_segment_size 0
		.amdhsa_uses_dynamic_stack 0
		.amdhsa_system_sgpr_private_segment_wavefront_offset 0
		.amdhsa_system_sgpr_workgroup_id_x 1
		.amdhsa_system_sgpr_workgroup_id_y 1
		.amdhsa_system_sgpr_workgroup_id_z 0
		.amdhsa_system_sgpr_workgroup_info 0
		.amdhsa_system_vgpr_workitem_id 0
		.amdhsa_next_free_vgpr 161
		.amdhsa_next_free_sgpr 37
		.amdhsa_reserve_vcc 1
		.amdhsa_reserve_flat_scratch 0
		.amdhsa_float_round_mode_32 0
		.amdhsa_float_round_mode_16_64 0
		.amdhsa_float_denorm_mode_32 3
		.amdhsa_float_denorm_mode_16_64 3
		.amdhsa_dx10_clamp 1
		.amdhsa_ieee_mode 1
		.amdhsa_fp16_overflow 0
		.amdhsa_exception_fp_ieee_invalid_op 0
		.amdhsa_exception_fp_denorm_src 0
		.amdhsa_exception_fp_ieee_div_zero 0
		.amdhsa_exception_fp_ieee_overflow 0
		.amdhsa_exception_fp_ieee_underflow 0
		.amdhsa_exception_fp_ieee_inexact 0
		.amdhsa_exception_int_div_zero 0
	.end_amdhsa_kernel
	.section	.text._ZN9rocsparseL19gtsv_LBM_rhs_kernelILj256ELj8ELj8E21rocsparse_complex_numIdEEEviiiPKT2_S5_S5_PS3_S5_PKi,"axG",@progbits,_ZN9rocsparseL19gtsv_LBM_rhs_kernelILj256ELj8ELj8E21rocsparse_complex_numIdEEEviiiPKT2_S5_S5_PS3_S5_PKi,comdat
.Lfunc_end298:
	.size	_ZN9rocsparseL19gtsv_LBM_rhs_kernelILj256ELj8ELj8E21rocsparse_complex_numIdEEEviiiPKT2_S5_S5_PS3_S5_PKi, .Lfunc_end298-_ZN9rocsparseL19gtsv_LBM_rhs_kernelILj256ELj8ELj8E21rocsparse_complex_numIdEEEviiiPKT2_S5_S5_PS3_S5_PKi
                                        ; -- End function
	.set _ZN9rocsparseL19gtsv_LBM_rhs_kernelILj256ELj8ELj8E21rocsparse_complex_numIdEEEviiiPKT2_S5_S5_PS3_S5_PKi.num_vgpr, 161
	.set _ZN9rocsparseL19gtsv_LBM_rhs_kernelILj256ELj8ELj8E21rocsparse_complex_numIdEEEviiiPKT2_S5_S5_PS3_S5_PKi.num_agpr, 0
	.set _ZN9rocsparseL19gtsv_LBM_rhs_kernelILj256ELj8ELj8E21rocsparse_complex_numIdEEEviiiPKT2_S5_S5_PS3_S5_PKi.numbered_sgpr, 37
	.set _ZN9rocsparseL19gtsv_LBM_rhs_kernelILj256ELj8ELj8E21rocsparse_complex_numIdEEEviiiPKT2_S5_S5_PS3_S5_PKi.num_named_barrier, 0
	.set _ZN9rocsparseL19gtsv_LBM_rhs_kernelILj256ELj8ELj8E21rocsparse_complex_numIdEEEviiiPKT2_S5_S5_PS3_S5_PKi.private_seg_size, 0
	.set _ZN9rocsparseL19gtsv_LBM_rhs_kernelILj256ELj8ELj8E21rocsparse_complex_numIdEEEviiiPKT2_S5_S5_PS3_S5_PKi.uses_vcc, 1
	.set _ZN9rocsparseL19gtsv_LBM_rhs_kernelILj256ELj8ELj8E21rocsparse_complex_numIdEEEviiiPKT2_S5_S5_PS3_S5_PKi.uses_flat_scratch, 0
	.set _ZN9rocsparseL19gtsv_LBM_rhs_kernelILj256ELj8ELj8E21rocsparse_complex_numIdEEEviiiPKT2_S5_S5_PS3_S5_PKi.has_dyn_sized_stack, 0
	.set _ZN9rocsparseL19gtsv_LBM_rhs_kernelILj256ELj8ELj8E21rocsparse_complex_numIdEEEviiiPKT2_S5_S5_PS3_S5_PKi.has_recursion, 0
	.set _ZN9rocsparseL19gtsv_LBM_rhs_kernelILj256ELj8ELj8E21rocsparse_complex_numIdEEEviiiPKT2_S5_S5_PS3_S5_PKi.has_indirect_call, 0
	.section	.AMDGPU.csdata,"",@progbits
; Kernel info:
; codeLenInByte = 8768
; TotalNumSgprs: 41
; NumVgprs: 161
; ScratchSize: 0
; MemoryBound: 1
; FloatMode: 240
; IeeeMode: 1
; LDSByteSize: 0 bytes/workgroup (compile time only)
; SGPRBlocks: 5
; VGPRBlocks: 40
; NumSGPRsForWavesPerEU: 41
; NumVGPRsForWavesPerEU: 161
; Occupancy: 1
; WaveLimiterHint : 0
; COMPUTE_PGM_RSRC2:SCRATCH_EN: 0
; COMPUTE_PGM_RSRC2:USER_SGPR: 6
; COMPUTE_PGM_RSRC2:TRAP_HANDLER: 0
; COMPUTE_PGM_RSRC2:TGID_X_EN: 1
; COMPUTE_PGM_RSRC2:TGID_Y_EN: 1
; COMPUTE_PGM_RSRC2:TGID_Z_EN: 0
; COMPUTE_PGM_RSRC2:TIDIG_COMP_CNT: 0
	.section	.text._ZN9rocsparseL19gtsv_LBM_rhs_kernelILj256ELj8ELj4E21rocsparse_complex_numIdEEEviiiPKT2_S5_S5_PS3_S5_PKi,"axG",@progbits,_ZN9rocsparseL19gtsv_LBM_rhs_kernelILj256ELj8ELj4E21rocsparse_complex_numIdEEEviiiPKT2_S5_S5_PS3_S5_PKi,comdat
	.globl	_ZN9rocsparseL19gtsv_LBM_rhs_kernelILj256ELj8ELj4E21rocsparse_complex_numIdEEEviiiPKT2_S5_S5_PS3_S5_PKi ; -- Begin function _ZN9rocsparseL19gtsv_LBM_rhs_kernelILj256ELj8ELj4E21rocsparse_complex_numIdEEEviiiPKT2_S5_S5_PS3_S5_PKi
	.p2align	8
	.type	_ZN9rocsparseL19gtsv_LBM_rhs_kernelILj256ELj8ELj4E21rocsparse_complex_numIdEEEviiiPKT2_S5_S5_PS3_S5_PKi,@function
_ZN9rocsparseL19gtsv_LBM_rhs_kernelILj256ELj8ELj4E21rocsparse_complex_numIdEEEviiiPKT2_S5_S5_PS3_S5_PKi: ; @_ZN9rocsparseL19gtsv_LBM_rhs_kernelILj256ELj8ELj4E21rocsparse_complex_numIdEEEviiiPKT2_S5_S5_PS3_S5_PKi
; %bb.0:
	s_load_dword s23, s[4:5], 0x0
	v_lshl_or_b32 v28, s6, 8, v0
	s_waitcnt lgkmcnt(0)
	s_lshr_b32 s22, s23, 3
	v_cmp_gt_i32_e32 vcc, s22, v28
	s_and_saveexec_b64 s[0:1], vcc
	s_cbranch_execz .LBB299_29
; %bb.1:
	s_load_dwordx4 s[8:11], s[4:5], 0x28
	s_load_dwordx2 s[16:17], s[4:5], 0x38
	s_cmp_lt_i32 s23, 1
	v_add_u32_e32 v65, s22, v28
	s_mul_i32 s24, s7, s23
	s_cbranch_scc1 .LBB299_21
; %bb.2:
	s_load_dwordx4 s[12:15], s[4:5], 0x10
	s_load_dwordx2 s[6:7], s[4:5], 0x20
	v_ashrrev_i32_e32 v29, 31, v28
	v_lshlrev_b64 v[0:1], 4, v[28:29]
	s_lshl_b32 s28, s24, 2
	s_waitcnt lgkmcnt(0)
	v_mov_b32_e32 v2, s15
	v_add_co_u32_e32 v0, vcc, s14, v0
	v_addc_co_u32_e32 v1, vcc, v2, v1, vcc
	global_load_dwordx4 v[0:3], v[0:1], off
	s_add_i32 s29, s28, s23
	s_add_i32 s30, s29, s23
	s_mul_i32 s25, s22, 7
	s_mul_i32 s26, s22, 6
	s_lshl_b32 s27, s22, 1
	v_add_u32_e32 v67, s22, v65
	s_add_i32 s31, s30, s23
	v_mov_b32_e32 v30, 0
	s_mov_b64 s[18:19], 0
	v_mov_b32_e32 v68, s7
	v_mov_b32_e32 v66, 0
	s_branch .LBB299_5
.LBB299_3:                              ;   in Loop: Header=BB299_5 Depth=1
	s_or_b64 exec, exec, s[4:5]
	v_fma_f64 v[0:1], v[6:7], v[8:9], v[33:34]
	v_fma_f64 v[2:3], v[4:5], v[8:9], v[31:32]
	v_mov_b32_e32 v10, s22
	v_mul_f64 v[4:5], v[35:36], -v[0:1]
	v_mul_f64 v[6:7], v[35:36], v[2:3]
	v_fma_f64 v[2:3], v[2:3], v[14:15], v[4:5]
	v_fma_f64 v[4:5], v[0:1], v[14:15], v[6:7]
	v_add_f64 v[0:1], v[16:17], -v[2:3]
	v_add_f64 v[2:3], v[18:19], -v[4:5]
.LBB299_4:                              ;   in Loop: Header=BB299_5 Depth=1
	s_or_b64 exec, exec, s[2:3]
	v_add_u32_e32 v66, v10, v66
	v_cmp_le_i32_e32 vcc, s23, v66
	s_or_b64 s[18:19], vcc, s[18:19]
	s_andn2_b64 exec, exec, s[18:19]
	s_cbranch_execz .LBB299_20
.LBB299_5:                              ; =>This Inner Loop Header: Depth=1
	v_add_u32_e32 v25, v66, v28
	v_ashrrev_i32_e32 v26, 31, v25
	v_lshlrev_b64 v[4:5], 4, v[25:26]
	v_mov_b32_e32 v16, 0
	v_add_co_u32_e32 v4, vcc, s6, v4
	v_addc_co_u32_e32 v5, vcc, v68, v5, vcc
	global_load_dwordx4 v[8:11], v[4:5], off
	v_mov_b32_e32 v4, 0
	v_mov_b32_e32 v6, 0
	;; [unrolled: 1-line block ×5, first 2 shown]
	v_cmp_gt_u32_e64 s[0:1], s25, v66
	s_and_saveexec_b64 s[2:3], s[0:1]
	s_cbranch_execz .LBB299_7
; %bb.6:                                ;   in Loop: Header=BB299_5 Depth=1
	v_add_u32_e32 v4, v65, v66
	v_ashrrev_i32_e32 v5, 31, v4
	v_lshlrev_b64 v[4:5], 4, v[4:5]
	v_mov_b32_e32 v6, s13
	v_add_co_u32_e32 v4, vcc, s12, v4
	v_addc_co_u32_e32 v5, vcc, v6, v5, vcc
	global_load_dwordx4 v[4:7], v[4:5], off
.LBB299_7:                              ;   in Loop: Header=BB299_5 Depth=1
	s_or_b64 exec, exec, s[2:3]
	v_mov_b32_e32 v18, 0
	v_mov_b32_e32 v19, 0
	s_and_saveexec_b64 s[2:3], s[0:1]
	s_cbranch_execz .LBB299_9
; %bb.8:                                ;   in Loop: Header=BB299_5 Depth=1
	v_add_u32_e32 v12, v65, v66
	v_ashrrev_i32_e32 v13, 31, v12
	v_lshlrev_b64 v[12:13], 4, v[12:13]
	v_mov_b32_e32 v14, s15
	v_add_co_u32_e32 v12, vcc, s14, v12
	v_addc_co_u32_e32 v13, vcc, v14, v13, vcc
	global_load_dwordx4 v[16:19], v[12:13], off
.LBB299_9:                              ;   in Loop: Header=BB299_5 Depth=1
	s_or_b64 exec, exec, s[2:3]
	v_mov_b32_e32 v20, 0
	v_mov_b32_e32 v12, 0
	;; [unrolled: 1-line block ×6, first 2 shown]
	s_and_saveexec_b64 s[2:3], s[0:1]
	s_cbranch_execz .LBB299_11
; %bb.10:                               ;   in Loop: Header=BB299_5 Depth=1
	v_add_u32_e32 v12, v65, v66
	v_ashrrev_i32_e32 v13, 31, v12
	v_lshlrev_b64 v[12:13], 4, v[12:13]
	v_mov_b32_e32 v14, s7
	v_add_co_u32_e32 v12, vcc, s6, v12
	v_addc_co_u32_e32 v13, vcc, v14, v13, vcc
	global_load_dwordx4 v[12:15], v[12:13], off
.LBB299_11:                             ;   in Loop: Header=BB299_5 Depth=1
	s_or_b64 exec, exec, s[2:3]
	v_mov_b32_e32 v22, 0
	v_mov_b32_e32 v23, 0
	v_cmp_gt_u32_e64 s[2:3], s26, v66
	s_and_saveexec_b64 s[4:5], s[2:3]
	s_cbranch_execz .LBB299_13
; %bb.12:                               ;   in Loop: Header=BB299_5 Depth=1
	v_add_u32_e32 v20, v67, v66
	v_ashrrev_i32_e32 v21, 31, v20
	v_lshlrev_b64 v[20:21], 4, v[20:21]
	v_mov_b32_e32 v22, s13
	v_add_co_u32_e32 v20, vcc, s12, v20
	v_addc_co_u32_e32 v21, vcc, v22, v21, vcc
	global_load_dwordx4 v[20:23], v[20:21], off
.LBB299_13:                             ;   in Loop: Header=BB299_5 Depth=1
	s_or_b64 exec, exec, s[4:5]
	v_lshlrev_b64 v[26:27], 2, v[25:26]
	v_mov_b32_e32 v24, s17
	v_add_co_u32_e32 v26, vcc, s16, v26
	v_addc_co_u32_e32 v27, vcc, v24, v27, vcc
	global_load_dword v26, v[26:27], off
	s_waitcnt vmcnt(1)
	v_mul_f64 v[31:32], v[10:11], -v[6:7]
	v_mul_f64 v[33:34], v[10:11], v[4:5]
	v_cmp_ne_u32_e32 vcc, s25, v66
	v_add_u32_e32 v29, s28, v25
	v_add_u32_e32 v24, s29, v25
	;; [unrolled: 1-line block ×4, first 2 shown]
	s_waitcnt vmcnt(0)
	v_cmp_ne_u32_e64 s[4:5], 1, v26
	s_and_b64 s[4:5], vcc, s[4:5]
	s_and_saveexec_b64 s[20:21], s[4:5]
	s_xor_b64 s[20:21], exec, s[20:21]
	s_cbranch_execz .LBB299_17
; %bb.14:                               ;   in Loop: Header=BB299_5 Depth=1
	v_mul_f64 v[25:26], v[0:1], v[18:19]
	v_mul_f64 v[38:39], v[18:19], -v[2:3]
	v_fma_f64 v[33:34], v[6:7], v[8:9], v[33:34]
	v_fma_f64 v[31:32], v[4:5], v[8:9], v[31:32]
	v_add_u32_e32 v71, v65, v66
	v_mov_b32_e32 v36, s9
	v_mov_b32_e32 v63, s9
	;; [unrolled: 1-line block ×3, first 2 shown]
	v_fma_f64 v[25:26], v[2:3], v[16:17], v[25:26]
	v_fma_f64 v[38:39], v[0:1], v[16:17], v[38:39]
	v_mov_b32_e32 v75, s9
	v_mov_b32_e32 v76, s9
	v_add_f64 v[26:27], v[25:26], -v[33:34]
	v_add_f64 v[33:34], v[38:39], -v[31:32]
	v_mov_b32_e32 v25, s9
	v_mul_f64 v[31:32], v[26:27], v[26:27]
	v_fma_f64 v[59:60], v[33:34], 0, -v[26:27]
	v_fma_f64 v[26:27], v[26:27], 0, v[33:34]
	v_fma_f64 v[38:39], v[33:34], v[33:34], v[31:32]
	v_lshlrev_b64 v[31:32], 4, v[29:30]
	v_add_u32_e32 v29, s28, v71
	v_add_co_u32_e32 v57, vcc, s8, v31
	v_lshlrev_b64 v[45:46], 4, v[29:30]
	v_addc_co_u32_e32 v58, vcc, v25, v32, vcc
	v_div_scale_f64 v[49:50], s[4:5], v[38:39], v[38:39], 1.0
	v_add_co_u32_e32 v31, vcc, s8, v45
	v_addc_co_u32_e32 v32, vcc, v36, v46, vcc
	global_load_dwordx4 v[41:44], v[57:58], off
	global_load_dwordx4 v[45:48], v[31:32], off
	v_mov_b32_e32 v25, v30
	v_lshlrev_b64 v[24:25], 4, v[24:25]
	v_mov_b32_e32 v29, s9
	v_add_co_u32_e64 v81, s[4:5], s8, v24
	v_addc_co_u32_e64 v82, s[4:5], v29, v25, s[4:5]
	v_add_u32_e32 v29, s29, v71
	v_rcp_f64_e32 v[51:52], v[49:50]
	v_fma_f64 v[53:54], -v[49:50], v[51:52], 1.0
	v_fma_f64 v[51:52], v[51:52], v[53:54], v[51:52]
	v_div_scale_f64 v[53:54], vcc, 1.0, v[38:39], 1.0
	v_fma_f64 v[55:56], -v[49:50], v[51:52], 1.0
	v_fma_f64 v[51:52], v[51:52], v[55:56], v[51:52]
	v_mul_f64 v[55:56], v[53:54], v[51:52]
	v_fma_f64 v[49:50], -v[49:50], v[55:56], v[53:54]
	v_lshlrev_b64 v[53:54], 4, v[29:30]
	v_add_u32_e32 v29, s30, v71
	v_div_fmas_f64 v[24:25], v[49:50], v[51:52], v[55:56]
	global_load_dwordx4 v[49:52], v[81:82], off
	v_add_co_u32_e32 v83, vcc, s8, v53
	v_addc_co_u32_e32 v84, vcc, v36, v54, vcc
	global_load_dwordx4 v[53:56], v[83:84], off
	v_mov_b32_e32 v36, v30
	v_div_fixup_f64 v[39:40], v[24:25], v[38:39], 1.0
	v_mov_b32_e32 v38, v30
	v_mul_f64 v[24:25], v[59:60], v[39:40]
	v_mul_f64 v[26:27], v[26:27], v[39:40]
	s_waitcnt vmcnt(3)
	v_mul_f64 v[33:34], v[24:25], v[41:42]
	s_waitcnt vmcnt(2)
	v_mul_f64 v[39:40], v[24:25], v[45:46]
	v_mul_f64 v[59:60], v[24:25], -v[43:44]
	v_mul_f64 v[61:62], v[24:25], -v[47:48]
	v_fma_f64 v[33:34], v[43:44], v[26:27], v[33:34]
	v_fma_f64 v[39:40], v[47:48], v[26:27], v[39:40]
	v_lshlrev_b64 v[43:44], 4, v[37:38]
	v_lshlrev_b64 v[47:48], 4, v[35:36]
	v_fma_f64 v[37:38], v[41:42], v[26:27], v[59:60]
	v_fma_f64 v[35:36], v[45:46], v[26:27], v[61:62]
	v_add_co_u32_e32 v85, vcc, s8, v43
	v_mul_f64 v[45:46], v[16:17], v[33:34]
	v_mul_f64 v[59:60], v[39:40], -v[10:11]
	v_mul_f64 v[61:62], v[8:9], v[39:40]
	v_mul_f64 v[41:42], v[33:34], -v[18:19]
	v_add_co_u32_e64 v87, s[4:5], s8, v47
	v_addc_co_u32_e32 v86, vcc, v63, v44, vcc
	v_fma_f64 v[69:70], v[18:19], v[37:38], v[45:46]
	v_fma_f64 v[45:46], v[8:9], v[35:36], v[59:60]
	;; [unrolled: 1-line block ×3, first 2 shown]
	v_addc_co_u32_e64 v88, vcc, v72, v48, s[4:5]
	v_fma_f64 v[63:64], v[16:17], v[37:38], v[41:42]
	v_lshlrev_b64 v[61:62], 4, v[29:30]
	v_add_u32_e32 v29, s31, v71
	global_load_dwordx4 v[41:44], v[85:86], off
	v_lshlrev_b64 v[73:74], 4, v[29:30]
	v_add_f64 v[47:48], v[69:70], -v[59:60]
	global_load_dwordx4 v[69:72], v[87:88], off
	v_add_co_u32_e32 v89, vcc, s8, v61
	v_addc_co_u32_e32 v90, vcc, v75, v62, vcc
	v_add_f64 v[45:46], v[63:64], -v[45:46]
	v_add_co_u32_e32 v91, vcc, s8, v73
	v_addc_co_u32_e32 v92, vcc, v76, v74, vcc
	global_load_dwordx4 v[73:76], v[89:90], off
	global_load_dwordx4 v[77:80], v[91:92], off
	s_nop 0
	global_store_dwordx4 v[57:58], v[45:48], off
	s_waitcnt vmcnt(6)
	v_mul_f64 v[45:46], v[24:25], -v[51:52]
	v_fma_f64 v[57:58], v[49:50], v[26:27], v[45:46]
	v_mul_f64 v[45:46], v[24:25], v[49:50]
	v_fma_f64 v[61:62], v[51:52], v[26:27], v[45:46]
	s_waitcnt vmcnt(5)
	v_mul_f64 v[45:46], v[24:25], -v[55:56]
	v_mul_f64 v[47:48], v[16:17], v[61:62]
	v_fma_f64 v[59:60], v[53:54], v[26:27], v[45:46]
	v_mul_f64 v[45:46], v[24:25], v[53:54]
	v_fma_f64 v[47:48], v[18:19], v[57:58], v[47:48]
	v_fma_f64 v[63:64], v[55:56], v[26:27], v[45:46]
	v_mul_f64 v[45:46], v[61:62], -v[18:19]
	v_mul_f64 v[49:50], v[63:64], -v[10:11]
	v_mul_f64 v[51:52], v[8:9], v[63:64]
	v_fma_f64 v[45:46], v[16:17], v[57:58], v[45:46]
	v_fma_f64 v[49:50], v[8:9], v[59:60], v[49:50]
	;; [unrolled: 1-line block ×3, first 2 shown]
	v_add_f64 v[45:46], v[45:46], -v[49:50]
	v_add_f64 v[47:48], v[47:48], -v[51:52]
	s_waitcnt vmcnt(3)
	v_mul_f64 v[51:52], v[24:25], v[69:70]
	v_mul_f64 v[49:50], v[24:25], -v[71:72]
	global_store_dwordx4 v[81:82], v[45:48], off
	v_fma_f64 v[51:52], v[71:72], v[26:27], v[51:52]
	v_mul_f64 v[45:46], v[24:25], -v[43:44]
	v_mul_f64 v[47:48], v[24:25], v[41:42]
	v_fma_f64 v[49:50], v[69:70], v[26:27], v[49:50]
	s_waitcnt vmcnt(2)
	v_mul_f64 v[55:56], v[24:25], v[77:78]
	v_mul_f64 v[53:54], v[24:25], -v[79:80]
	v_fma_f64 v[41:42], v[41:42], v[26:27], v[45:46]
	v_fma_f64 v[45:46], v[43:44], v[26:27], v[47:48]
	v_mul_f64 v[43:44], v[24:25], -v[75:76]
	v_mul_f64 v[47:48], v[24:25], v[73:74]
	v_fma_f64 v[55:56], v[79:80], v[26:27], v[55:56]
	v_fma_f64 v[53:54], v[77:78], v[26:27], v[53:54]
	v_mul_f64 v[69:70], v[45:46], -v[18:19]
	v_fma_f64 v[43:44], v[73:74], v[26:27], v[43:44]
	v_mul_f64 v[73:74], v[51:52], -v[18:19]
	v_fma_f64 v[47:48], v[75:76], v[26:27], v[47:48]
	v_mul_f64 v[71:72], v[16:17], v[45:46]
	v_mul_f64 v[77:78], v[55:56], -v[10:11]
	v_fma_f64 v[69:70], v[16:17], v[41:42], v[69:70]
	v_fma_f64 v[73:74], v[16:17], v[49:50], v[73:74]
	v_mul_f64 v[16:17], v[16:17], v[51:52]
	v_fma_f64 v[71:72], v[18:19], v[41:42], v[71:72]
	v_mul_f64 v[75:76], v[8:9], v[47:48]
	v_fma_f64 v[77:78], v[8:9], v[53:54], v[77:78]
	v_fma_f64 v[18:19], v[18:19], v[49:50], v[16:17]
	v_mul_f64 v[16:17], v[47:48], -v[10:11]
	v_fma_f64 v[75:76], v[10:11], v[43:44], v[75:76]
	v_fma_f64 v[16:17], v[8:9], v[43:44], v[16:17]
	v_mul_f64 v[8:9], v[8:9], v[55:56]
	v_fma_f64 v[79:80], v[10:11], v[53:54], v[8:9]
	v_add_f64 v[8:9], v[69:70], -v[16:17]
	v_add_f64 v[10:11], v[71:72], -v[75:76]
	;; [unrolled: 1-line block ×3, first 2 shown]
	v_mul_f64 v[69:70], v[6:7], v[33:34]
	v_mul_f64 v[71:72], v[33:34], -v[4:5]
	v_mul_f64 v[73:74], v[6:7], v[61:62]
	v_mul_f64 v[75:76], v[0:1], v[63:64]
	v_add_f64 v[18:19], v[18:19], -v[79:80]
	v_mul_f64 v[79:80], v[0:1], v[55:56]
	global_store_dwordx4 v[85:86], v[8:11], off
	v_fma_f64 v[69:70], -v[4:5], v[37:38], v[69:70]
	v_mul_f64 v[8:9], v[39:40], -v[2:3]
	v_mul_f64 v[10:11], v[0:1], v[39:40]
	v_fma_f64 v[71:72], -v[6:7], v[37:38], v[71:72]
	global_store_dwordx4 v[87:88], v[16:19], off
	v_fma_f64 v[73:74], -v[4:5], v[57:58], v[73:74]
	v_mul_f64 v[16:17], v[61:62], -v[4:5]
	v_mul_f64 v[18:19], v[63:64], -v[2:3]
	v_fma_f64 v[79:80], v[2:3], v[53:54], v[79:80]
	v_fma_f64 v[8:9], v[0:1], v[35:36], v[8:9]
	;; [unrolled: 1-line block ×3, first 2 shown]
	v_fma_f64 v[77:78], -v[6:7], v[57:58], v[16:17]
	v_fma_f64 v[16:17], v[0:1], v[59:60], v[18:19]
	v_fma_f64 v[18:19], v[2:3], v[59:60], v[75:76]
	v_add_f64 v[8:9], v[69:70], v[8:9]
	v_add_f64 v[10:11], v[71:72], v[10:11]
	v_mul_f64 v[69:70], v[6:7], v[45:46]
	v_mul_f64 v[71:72], v[45:46], -v[4:5]
	v_mul_f64 v[75:76], v[0:1], v[47:48]
	v_add_f64 v[16:17], v[73:74], v[16:17]
	v_mul_f64 v[73:74], v[47:48], -v[2:3]
	v_add_f64 v[18:19], v[77:78], v[18:19]
	v_mul_f64 v[77:78], v[55:56], -v[2:3]
	v_fma_f64 v[69:70], -v[4:5], v[41:42], v[69:70]
	v_fma_f64 v[71:72], -v[6:7], v[41:42], v[71:72]
	v_fma_f64 v[75:76], v[2:3], v[43:44], v[75:76]
	v_fma_f64 v[73:74], v[0:1], v[43:44], v[73:74]
	;; [unrolled: 1-line block ×3, first 2 shown]
	v_add_f64 v[71:72], v[71:72], v[75:76]
	v_mul_f64 v[75:76], v[51:52], -v[4:5]
	v_add_f64 v[69:70], v[69:70], v[73:74]
	v_mul_f64 v[73:74], v[6:7], v[51:52]
	global_store_dwordx4 v[31:32], v[8:11], off
	global_store_dwordx4 v[83:84], v[16:19], off
	;; [unrolled: 1-line block ×3, first 2 shown]
	v_fma_f64 v[75:76], -v[6:7], v[49:50], v[75:76]
	v_mov_b32_e32 v8, 0
	v_fma_f64 v[73:74], -v[4:5], v[49:50], v[73:74]
	v_mov_b32_e32 v10, 0
	v_mov_b32_e32 v9, 0
	;; [unrolled: 1-line block ×3, first 2 shown]
	v_add_f64 v[75:76], v[75:76], v[79:80]
	v_add_f64 v[73:74], v[73:74], v[77:78]
	global_store_dwordx4 v[91:92], v[73:76], off
	s_and_saveexec_b64 s[4:5], s[2:3]
	s_cbranch_execz .LBB299_16
; %bb.15:                               ;   in Loop: Header=BB299_5 Depth=1
	v_add_u32_e32 v31, v67, v66
	v_add_u32_e32 v29, s28, v31
	v_lshlrev_b64 v[8:9], 4, v[29:30]
	v_add_u32_e32 v29, s29, v31
	v_mov_b32_e32 v10, s9
	v_add_co_u32_e32 v69, vcc, s8, v8
	v_lshlrev_b64 v[16:17], 4, v[29:30]
	v_addc_co_u32_e32 v70, vcc, v10, v9, vcc
	v_mov_b32_e32 v18, s9
	v_add_co_u32_e32 v71, vcc, s8, v16
	global_load_dwordx4 v[8:11], v[69:70], off
	v_addc_co_u32_e32 v72, vcc, v18, v17, vcc
	global_load_dwordx4 v[16:19], v[71:72], off
	v_mul_f64 v[73:74], v[22:23], -v[4:5]
	v_mul_f64 v[75:76], v[6:7], v[22:23]
	v_mul_f64 v[77:78], v[0:1], v[22:23]
	v_mul_f64 v[79:80], v[22:23], -v[2:3]
	v_add_u32_e32 v29, s30, v31
	v_mov_b32_e32 v85, s9
	v_fma_f64 v[73:74], -v[6:7], v[20:21], v[73:74]
	v_fma_f64 v[75:76], -v[4:5], v[20:21], v[75:76]
	v_fma_f64 v[77:78], v[2:3], v[20:21], v[77:78]
	v_fma_f64 v[79:80], v[0:1], v[20:21], v[79:80]
	v_mul_f64 v[4:5], v[73:74], v[33:34]
	v_mul_f64 v[6:7], v[33:34], -v[75:76]
	v_mul_f64 v[32:33], v[39:40], -v[77:78]
	v_mul_f64 v[39:40], v[79:80], v[39:40]
	v_mul_f64 v[81:82], v[73:74], v[61:62]
	v_mul_f64 v[61:62], v[61:62], -v[75:76]
	v_mul_f64 v[83:84], v[63:64], -v[77:78]
	v_mul_f64 v[63:64], v[79:80], v[63:64]
	v_fma_f64 v[4:5], -v[75:76], v[37:38], v[4:5]
	v_fma_f64 v[6:7], -v[73:74], v[37:38], v[6:7]
	v_fma_f64 v[33:34], v[79:80], v[35:36], v[32:33]
	v_fma_f64 v[35:36], v[77:78], v[35:36], v[39:40]
	v_fma_f64 v[37:38], -v[75:76], v[57:58], v[81:82]
	v_fma_f64 v[39:40], -v[73:74], v[57:58], v[61:62]
	v_fma_f64 v[57:58], v[79:80], v[59:60], v[83:84]
	v_fma_f64 v[59:60], v[77:78], v[59:60], v[63:64]
	v_ashrrev_i32_e32 v32, 31, v31
	v_lshlrev_b64 v[61:62], 4, v[31:32]
	v_add_f64 v[4:5], v[4:5], -v[33:34]
	v_add_f64 v[6:7], v[6:7], -v[35:36]
	v_mov_b32_e32 v63, s9
	v_mov_b32_e32 v64, s15
	v_add_f64 v[32:33], v[37:38], -v[57:58]
	v_add_f64 v[34:35], v[39:40], -v[59:60]
	v_lshlrev_b64 v[36:37], 4, v[29:30]
	v_add_u32_e32 v29, s31, v31
	v_lshlrev_b64 v[38:39], 4, v[29:30]
	v_add_co_u32_e32 v31, vcc, s8, v36
	s_waitcnt vmcnt(1)
	v_add_f64 v[4:5], v[4:5], v[8:9]
	v_add_f64 v[6:7], v[6:7], v[10:11]
	s_waitcnt vmcnt(0)
	v_add_f64 v[8:9], v[32:33], v[16:17]
	v_add_f64 v[10:11], v[34:35], v[18:19]
	v_addc_co_u32_e32 v32, vcc, v85, v37, vcc
	v_add_co_u32_e32 v33, vcc, s8, v38
	v_addc_co_u32_e32 v34, vcc, v63, v39, vcc
	v_add_co_u32_e32 v16, vcc, s14, v61
	global_store_dwordx4 v[69:70], v[4:7], off
	global_store_dwordx4 v[71:72], v[8:11], off
	v_addc_co_u32_e32 v17, vcc, v64, v62, vcc
	global_load_dwordx4 v[4:7], v[31:32], off
	global_load_dwordx4 v[8:11], v[33:34], off
	v_mul_f64 v[35:36], v[2:3], -v[22:23]
	global_load_dwordx4 v[16:19], v[16:17], off
	v_mul_f64 v[2:3], v[2:3], v[20:21]
	v_mul_f64 v[37:38], v[79:80], v[47:48]
	v_fma_f64 v[20:21], v[20:21], v[0:1], v[35:36]
	v_mul_f64 v[35:36], v[47:48], -v[77:78]
	v_fma_f64 v[0:1], v[22:23], v[0:1], v[2:3]
	v_mul_f64 v[2:3], v[73:74], v[45:46]
	v_mul_f64 v[22:23], v[45:46], -v[75:76]
	v_mul_f64 v[45:46], v[73:74], v[51:52]
	v_mul_f64 v[47:48], v[51:52], -v[75:76]
	v_mul_f64 v[51:52], v[55:56], -v[77:78]
	v_mul_f64 v[39:40], v[14:15], v[20:21]
	v_mul_f64 v[55:56], v[79:80], v[55:56]
	v_mul_f64 v[14:15], v[14:15], -v[0:1]
	v_fma_f64 v[2:3], -v[75:76], v[41:42], v[2:3]
	v_fma_f64 v[22:23], -v[73:74], v[41:42], v[22:23]
	v_fma_f64 v[0:1], v[0:1], v[12:13], v[39:40]
	v_fma_f64 v[39:40], v[79:80], v[53:54], v[51:52]
	;; [unrolled: 1-line block ×5, first 2 shown]
	v_fma_f64 v[35:36], -v[75:76], v[49:50], v[45:46]
	v_fma_f64 v[37:38], -v[73:74], v[49:50], v[47:48]
	v_fma_f64 v[41:42], v[77:78], v[53:54], v[55:56]
	v_mul_f64 v[43:44], v[24:25], -v[0:1]
	v_mul_f64 v[24:25], v[24:25], v[12:13]
	v_add_f64 v[2:3], v[2:3], -v[14:15]
	v_add_f64 v[14:15], v[22:23], -v[20:21]
	;; [unrolled: 1-line block ×4, first 2 shown]
	v_fma_f64 v[12:13], v[12:13], v[26:27], v[43:44]
	v_fma_f64 v[24:25], v[0:1], v[26:27], v[24:25]
	s_waitcnt vmcnt(2)
	v_add_f64 v[0:1], v[2:3], v[4:5]
	v_add_f64 v[2:3], v[14:15], v[6:7]
	s_waitcnt vmcnt(1)
	v_add_f64 v[4:5], v[20:21], v[8:9]
	v_add_f64 v[6:7], v[22:23], v[10:11]
	s_waitcnt vmcnt(0)
	v_add_f64 v[10:11], v[16:17], -v[12:13]
	v_add_f64 v[8:9], v[18:19], -v[24:25]
	global_store_dwordx4 v[31:32], v[0:3], off
	global_store_dwordx4 v[33:34], v[4:7], off
.LBB299_16:                             ;   in Loop: Header=BB299_5 Depth=1
	s_or_b64 exec, exec, s[4:5]
	v_mov_b32_e32 v2, v8
	v_mov_b32_e32 v0, v10
	;; [unrolled: 1-line block ×4, first 2 shown]
                                        ; implicit-def: $vgpr4_vgpr5
                                        ; implicit-def: $vgpr16_vgpr17
                                        ; implicit-def: $vgpr8_vgpr9
                                        ; implicit-def: $vgpr31_vgpr32
                                        ; implicit-def: $vgpr33_vgpr34
                                        ; implicit-def: $vgpr24
                                        ; implicit-def: $vgpr37
                                        ; implicit-def: $vgpr35
.LBB299_17:                             ;   in Loop: Header=BB299_5 Depth=1
	s_or_saveexec_b64 s[2:3], s[20:21]
	v_mov_b32_e32 v10, s27
	s_xor_b64 exec, exec, s[2:3]
	s_cbranch_execz .LBB299_4
; %bb.18:                               ;   in Loop: Header=BB299_5 Depth=1
	v_mul_f64 v[10:11], v[2:3], v[2:3]
	v_mov_b32_e32 v25, v30
	v_lshlrev_b64 v[12:13], 4, v[24:25]
	v_mov_b32_e32 v22, s9
	v_mov_b32_e32 v38, v30
	;; [unrolled: 1-line block ×3, first 2 shown]
	v_lshlrev_b64 v[20:21], 4, v[37:38]
	v_mov_b32_e32 v36, v30
	v_fma_f64 v[14:15], v[0:1], v[0:1], v[10:11]
	v_lshlrev_b64 v[10:11], 4, v[29:30]
	v_mov_b32_e32 v29, s9
	v_add_co_u32_e32 v45, vcc, s8, v10
	v_addc_co_u32_e32 v46, vcc, v22, v11, vcc
	v_add_co_u32_e32 v47, vcc, s8, v12
	v_div_scale_f64 v[26:27], s[4:5], v[14:15], v[14:15], 1.0
	v_addc_co_u32_e32 v48, vcc, v23, v13, vcc
	v_lshlrev_b64 v[35:36], 4, v[35:36]
	v_add_co_u32_e32 v49, vcc, s8, v20
	v_addc_co_u32_e32 v50, vcc, v29, v21, vcc
	v_mov_b32_e32 v41, s9
	v_add_co_u32_e32 v53, vcc, s8, v35
	v_addc_co_u32_e32 v54, vcc, v41, v36, vcc
	global_load_dwordx4 v[10:13], v[45:46], off
	global_load_dwordx4 v[20:23], v[47:48], off
	;; [unrolled: 1-line block ×4, first 2 shown]
	v_rcp_f64_e32 v[24:25], v[26:27]
	v_div_scale_f64 v[35:36], vcc, 1.0, v[14:15], 1.0
	v_fma_f64 v[51:52], -v[26:27], v[24:25], 1.0
	v_fma_f64 v[24:25], v[24:25], v[51:52], v[24:25]
	v_fma_f64 v[51:52], -v[26:27], v[24:25], 1.0
	v_fma_f64 v[24:25], v[24:25], v[51:52], v[24:25]
	v_mul_f64 v[51:52], v[35:36], v[24:25]
	v_fma_f64 v[26:27], -v[26:27], v[51:52], v[35:36]
	v_div_fmas_f64 v[24:25], v[26:27], v[24:25], v[51:52]
	v_fma_f64 v[26:27], v[0:1], 0, -v[2:3]
	v_fma_f64 v[0:1], v[2:3], 0, v[0:1]
	v_div_fixup_f64 v[14:15], v[24:25], v[14:15], 1.0
	v_mul_f64 v[35:36], v[26:27], v[14:15]
	v_mul_f64 v[14:15], v[0:1], v[14:15]
	s_waitcnt vmcnt(3)
	v_mul_f64 v[0:1], v[35:36], -v[12:13]
	v_mul_f64 v[2:3], v[35:36], v[10:11]
	s_waitcnt vmcnt(2)
	v_mul_f64 v[51:52], v[35:36], -v[22:23]
	;; [unrolled: 3-line block ×4, first 2 shown]
	v_mul_f64 v[63:64], v[35:36], v[41:42]
	v_fma_f64 v[24:25], v[10:11], v[14:15], v[0:1]
	v_fma_f64 v[26:27], v[12:13], v[14:15], v[2:3]
	;; [unrolled: 1-line block ×8, first 2 shown]
	global_store_dwordx4 v[45:46], v[24:27], off
	global_store_dwordx4 v[47:48], v[20:23], off
	;; [unrolled: 1-line block ×4, first 2 shown]
	s_and_saveexec_b64 s[4:5], s[0:1]
	s_cbranch_execz .LBB299_3
; %bb.19:                               ;   in Loop: Header=BB299_5 Depth=1
	v_add_u32_e32 v51, v65, v66
	v_add_u32_e32 v29, s28, v51
	v_lshlrev_b64 v[37:38], 4, v[29:30]
	v_mov_b32_e32 v29, s9
	v_add_co_u32_e32 v45, vcc, s8, v37
	v_addc_co_u32_e32 v46, vcc, v29, v38, vcc
	v_add_u32_e32 v29, s29, v51
	v_lshlrev_b64 v[41:42], 4, v[29:30]
	v_mov_b32_e32 v29, s9
	v_add_co_u32_e32 v47, vcc, s8, v41
	global_load_dwordx4 v[37:40], v[45:46], off
	v_addc_co_u32_e32 v48, vcc, v29, v42, vcc
	global_load_dwordx4 v[41:44], v[47:48], off
	v_add_u32_e32 v29, s30, v51
	v_lshlrev_b64 v[49:50], 4, v[29:30]
	v_add_u32_e32 v29, s31, v51
	v_mov_b32_e32 v53, s9
	v_lshlrev_b64 v[51:52], 4, v[29:30]
	v_mov_b32_e32 v54, s9
	s_waitcnt vmcnt(1)
	v_fma_f64 v[37:38], -v[4:5], v[24:25], v[37:38]
	v_fma_f64 v[39:40], -v[6:7], v[24:25], v[39:40]
	s_waitcnt vmcnt(0)
	v_fma_f64 v[41:42], -v[4:5], v[20:21], v[41:42]
	v_fma_f64 v[43:44], -v[6:7], v[20:21], v[43:44]
	v_fma_f64 v[24:25], v[6:7], v[26:27], v[37:38]
	v_fma_f64 v[26:27], -v[4:5], v[26:27], v[39:40]
	v_add_co_u32_e32 v37, vcc, s8, v49
	v_fma_f64 v[20:21], v[6:7], v[22:23], v[41:42]
	v_fma_f64 v[22:23], -v[4:5], v[22:23], v[43:44]
	v_addc_co_u32_e32 v38, vcc, v53, v50, vcc
	v_add_co_u32_e32 v39, vcc, s8, v51
	global_store_dwordx4 v[45:46], v[24:27], off
	v_addc_co_u32_e32 v40, vcc, v54, v52, vcc
	global_load_dwordx4 v[24:27], v[37:38], off
	s_nop 0
	global_store_dwordx4 v[47:48], v[20:23], off
	global_load_dwordx4 v[20:23], v[39:40], off
	s_waitcnt vmcnt(2)
	v_fma_f64 v[24:25], -v[4:5], v[10:11], v[24:25]
	v_fma_f64 v[26:27], -v[6:7], v[10:11], v[26:27]
	s_waitcnt vmcnt(0)
	v_fma_f64 v[20:21], -v[4:5], v[0:1], v[20:21]
	v_fma_f64 v[22:23], -v[6:7], v[0:1], v[22:23]
	v_fma_f64 v[10:11], v[6:7], v[12:13], v[24:25]
	v_fma_f64 v[12:13], -v[4:5], v[12:13], v[26:27]
	v_fma_f64 v[0:1], v[6:7], v[2:3], v[20:21]
	v_fma_f64 v[2:3], -v[4:5], v[2:3], v[22:23]
	global_store_dwordx4 v[37:38], v[10:13], off
	global_store_dwordx4 v[39:40], v[0:3], off
	s_branch .LBB299_3
.LBB299_20:
	s_or_b64 exec, exec, s[18:19]
	s_branch .LBB299_22
.LBB299_21:
	v_mov_b32_e32 v66, 0
.LBB299_22:
	v_subrev_u32_e32 v2, s22, v66
	v_add_u32_e32 v0, v2, v28
	v_ashrrev_i32_e32 v1, 31, v0
	v_lshlrev_b64 v[0:1], 2, v[0:1]
	s_waitcnt lgkmcnt(0)
	v_mov_b32_e32 v3, s17
	v_add_co_u32_e32 v0, vcc, s16, v0
	v_addc_co_u32_e32 v1, vcc, v3, v1, vcc
	s_waitcnt vmcnt(0)
	buffer_wbinvl1_vol
	global_load_dword v0, v[0:1], off
	s_waitcnt vmcnt(0)
	v_mul_lo_u32 v0, v0, s22
	v_sub_u32_e32 v8, v2, v0
	v_cmp_lt_i32_e32 vcc, -1, v8
	s_and_b64 exec, exec, vcc
	s_cbranch_execz .LBB299_29
; %bb.23:
	s_lshl_b32 s4, s24, 2
	s_add_i32 s5, s4, s23
	s_add_i32 s6, s5, s23
	;; [unrolled: 1-line block ×3, first 2 shown]
	s_lshl_b32 s12, s22, 1
	s_mov_b64 s[0:1], 0
	v_mov_b32_e32 v9, s17
	v_mov_b32_e32 v10, s11
	;; [unrolled: 1-line block ×3, first 2 shown]
	s_branch .LBB299_25
.LBB299_24:                             ;   in Loop: Header=BB299_25 Depth=1
	s_or_b64 exec, exec, s[2:3]
	v_sub_u32_e32 v8, v8, v4
	v_cmp_gt_i32_e32 vcc, 0, v8
	s_or_b64 s[0:1], vcc, s[0:1]
	s_andn2_b64 exec, exec, s[0:1]
	s_cbranch_execz .LBB299_29
.LBB299_25:                             ; =>This Inner Loop Header: Depth=1
	v_add_u32_e32 v6, v8, v28
	v_ashrrev_i32_e32 v7, 31, v6
	s_waitcnt vmcnt(0)
	v_lshlrev_b64 v[0:1], 2, v[6:7]
	v_add_co_u32_e32 v0, vcc, s16, v0
	v_addc_co_u32_e32 v1, vcc, v9, v1, vcc
	global_load_dword v4, v[0:1], off
	v_lshlrev_b64 v[0:1], 4, v[6:7]
	v_add_co_u32_e32 v0, vcc, s10, v0
	v_addc_co_u32_e32 v1, vcc, v10, v1, vcc
	global_load_dwordx4 v[0:3], v[0:1], off
	s_waitcnt vmcnt(1)
	v_cmp_ne_u32_e32 vcc, 1, v4
	s_and_saveexec_b64 s[2:3], vcc
	s_xor_b64 s[2:3], exec, s[2:3]
	s_cbranch_execz .LBB299_27
; %bb.26:                               ;   in Loop: Header=BB299_25 Depth=1
	v_add_u32_e32 v7, v65, v8
	v_add_u32_e32 v4, s4, v7
	v_lshlrev_b64 v[11:12], 4, v[4:5]
	v_mov_b32_e32 v4, s9
	v_add_co_u32_e32 v11, vcc, s8, v11
	v_addc_co_u32_e32 v12, vcc, v4, v12, vcc
	v_add_u32_e32 v4, s5, v7
	v_lshlrev_b64 v[19:20], 4, v[4:5]
	v_add_u32_e32 v4, s6, v7
	v_lshlrev_b64 v[23:24], 4, v[4:5]
	;; [unrolled: 2-line block ×4, first 2 shown]
	v_mov_b32_e32 v4, s9
	v_add_co_u32_e32 v33, vcc, s8, v15
	v_addc_co_u32_e32 v34, vcc, v4, v16, vcc
	global_load_dwordx4 v[11:14], v[11:12], off
	v_add_co_u32_e32 v19, vcc, s8, v19
	global_load_dwordx4 v[15:18], v[33:34], off
	v_addc_co_u32_e32 v20, vcc, v4, v20, vcc
	global_load_dwordx4 v[19:22], v[19:20], off
	v_mov_b32_e32 v7, s9
	v_add_co_u32_e32 v35, vcc, s8, v23
	v_addc_co_u32_e32 v36, vcc, v7, v24, vcc
	v_add_u32_e32 v4, s5, v6
	v_mov_b32_e32 v27, s9
	v_add_co_u32_e32 v37, vcc, s8, v25
	v_lshlrev_b64 v[39:40], 4, v[4:5]
	v_addc_co_u32_e32 v38, vcc, v27, v26, vcc
	v_mov_b32_e32 v41, s9
	global_load_dwordx4 v[23:26], v[35:36], off
	global_load_dwordx4 v[29:32], v[37:38], off
	v_add_co_u32_e32 v35, vcc, s8, v39
	v_addc_co_u32_e32 v36, vcc, v41, v40, vcc
	v_add_u32_e32 v4, s6, v6
	s_waitcnt vmcnt(3)
	v_fma_f64 v[15:16], -v[0:1], v[11:12], v[15:16]
	v_fma_f64 v[17:18], -v[2:3], v[11:12], v[17:18]
	v_fma_f64 v[15:16], v[2:3], v[13:14], v[15:16]
	v_fma_f64 v[17:18], -v[0:1], v[13:14], v[17:18]
	global_store_dwordx4 v[33:34], v[15:18], off
	global_load_dwordx4 v[15:18], v[35:36], off
	v_lshlrev_b64 v[33:34], 4, v[4:5]
	v_add_u32_e32 v4, s7, v6
	v_add_co_u32_e32 v33, vcc, s8, v33
	v_addc_co_u32_e32 v34, vcc, v7, v34, vcc
	v_lshlrev_b64 v[6:7], 4, v[4:5]
	v_subrev_u32_e32 v4, s22, v8
	v_add_co_u32_e32 v6, vcc, s8, v6
	v_addc_co_u32_e32 v7, vcc, v27, v7, vcc
	v_mov_b32_e32 v27, s11
	s_waitcnt vmcnt(0)
	v_fma_f64 v[15:16], -v[0:1], v[19:20], v[15:16]
	v_fma_f64 v[17:18], -v[2:3], v[19:20], v[17:18]
	v_fma_f64 v[15:16], v[2:3], v[21:22], v[15:16]
	v_fma_f64 v[17:18], -v[0:1], v[21:22], v[17:18]
	global_store_dwordx4 v[35:36], v[15:18], off
	global_load_dwordx4 v[15:18], v[33:34], off
	v_mov_b32_e32 v36, s9
	s_waitcnt vmcnt(0)
	v_fma_f64 v[15:16], -v[0:1], v[23:24], v[15:16]
	v_fma_f64 v[17:18], -v[2:3], v[23:24], v[17:18]
	v_fma_f64 v[15:16], v[2:3], v[25:26], v[15:16]
	v_fma_f64 v[17:18], -v[0:1], v[25:26], v[17:18]
	global_store_dwordx4 v[33:34], v[15:18], off
	global_load_dwordx4 v[15:18], v[6:7], off
	v_add_u32_e32 v33, v4, v28
	v_ashrrev_i32_e32 v34, 31, v33
	v_lshlrev_b64 v[34:35], 4, v[33:34]
	v_add_u32_e32 v4, s4, v33
	v_add_co_u32_e32 v34, vcc, s10, v34
	v_addc_co_u32_e32 v35, vcc, v27, v35, vcc
	s_waitcnt vmcnt(0)
	v_fma_f64 v[15:16], -v[0:1], v[29:30], v[15:16]
	v_fma_f64 v[17:18], -v[2:3], v[29:30], v[17:18]
	v_fma_f64 v[15:16], v[2:3], v[31:32], v[15:16]
	v_fma_f64 v[17:18], -v[0:1], v[31:32], v[17:18]
	global_load_dwordx4 v[0:3], v[34:35], off
	v_lshlrev_b64 v[34:35], 4, v[4:5]
	v_add_u32_e32 v4, s5, v33
	v_add_co_u32_e32 v34, vcc, s8, v34
	v_addc_co_u32_e32 v35, vcc, v36, v35, vcc
	global_store_dwordx4 v[6:7], v[15:18], off
	global_load_dwordx4 v[15:18], v[34:35], off
	s_waitcnt vmcnt(0)
	v_fma_f64 v[6:7], -v[0:1], v[11:12], v[15:16]
	v_fma_f64 v[15:16], -v[2:3], v[11:12], v[17:18]
	v_mov_b32_e32 v17, s9
	v_fma_f64 v[11:12], v[2:3], v[13:14], v[6:7]
	v_fma_f64 v[13:14], -v[0:1], v[13:14], v[15:16]
	v_lshlrev_b64 v[6:7], 4, v[4:5]
	v_mov_b32_e32 v15, s9
	v_add_co_u32_e32 v6, vcc, s8, v6
	v_addc_co_u32_e32 v7, vcc, v15, v7, vcc
	v_add_u32_e32 v4, s6, v33
	global_store_dwordx4 v[34:35], v[11:14], off
	global_load_dwordx4 v[11:14], v[6:7], off
	v_lshlrev_b64 v[15:16], 4, v[4:5]
	v_add_u32_e32 v4, s7, v33
	v_add_co_u32_e32 v15, vcc, s8, v15
	v_addc_co_u32_e32 v16, vcc, v17, v16, vcc
	s_waitcnt vmcnt(0)
	v_fma_f64 v[11:12], -v[0:1], v[19:20], v[11:12]
	v_fma_f64 v[13:14], -v[2:3], v[19:20], v[13:14]
	v_fma_f64 v[11:12], v[2:3], v[21:22], v[11:12]
	v_fma_f64 v[13:14], -v[0:1], v[21:22], v[13:14]
	global_store_dwordx4 v[6:7], v[11:14], off
	global_load_dwordx4 v[11:14], v[15:16], off
	s_waitcnt vmcnt(0)
	v_fma_f64 v[6:7], -v[0:1], v[23:24], v[11:12]
	v_fma_f64 v[13:14], -v[2:3], v[23:24], v[13:14]
	v_fma_f64 v[11:12], v[2:3], v[25:26], v[6:7]
	v_fma_f64 v[13:14], -v[0:1], v[25:26], v[13:14]
	v_lshlrev_b64 v[6:7], 4, v[4:5]
	v_add_co_u32_e32 v6, vcc, s8, v6
	v_addc_co_u32_e32 v7, vcc, v17, v7, vcc
	global_store_dwordx4 v[15:16], v[11:14], off
	global_load_dwordx4 v[11:14], v[6:7], off
	s_waitcnt vmcnt(0)
	v_fma_f64 v[11:12], -v[0:1], v[29:30], v[11:12]
	v_fma_f64 v[13:14], -v[2:3], v[29:30], v[13:14]
	v_fma_f64 v[11:12], v[2:3], v[31:32], v[11:12]
	v_fma_f64 v[13:14], -v[0:1], v[31:32], v[13:14]
                                        ; implicit-def: $vgpr0_vgpr1
	global_store_dwordx4 v[6:7], v[11:14], off
                                        ; implicit-def: $vgpr6
.LBB299_27:                             ;   in Loop: Header=BB299_25 Depth=1
	s_or_saveexec_b64 s[2:3], s[2:3]
	v_mov_b32_e32 v4, s12
	s_xor_b64 exec, exec, s[2:3]
	s_cbranch_execz .LBB299_24
; %bb.28:                               ;   in Loop: Header=BB299_25 Depth=1
	v_add_u32_e32 v7, v65, v8
	v_add_u32_e32 v4, s4, v7
	v_lshlrev_b64 v[11:12], 4, v[4:5]
	v_mov_b32_e32 v4, s9
	v_add_co_u32_e32 v19, vcc, s8, v11
	v_addc_co_u32_e32 v20, vcc, v4, v12, vcc
	v_add_u32_e32 v4, s4, v6
	v_lshlrev_b64 v[11:12], 4, v[4:5]
	v_mov_b32_e32 v4, s9
	v_add_co_u32_e32 v21, vcc, s8, v11
	v_addc_co_u32_e32 v22, vcc, v4, v12, vcc
	global_load_dwordx4 v[11:14], v[19:20], off
	global_load_dwordx4 v[15:18], v[21:22], off
	v_add_u32_e32 v4, s5, v7
	v_lshlrev_b64 v[19:20], 4, v[4:5]
	v_add_u32_e32 v4, s5, v6
	v_mov_b32_e32 v25, s9
	v_lshlrev_b64 v[23:24], 4, v[4:5]
	v_add_co_u32_e32 v19, vcc, s8, v19
	v_addc_co_u32_e32 v20, vcc, v25, v20, vcc
	v_mov_b32_e32 v26, s9
	v_add_co_u32_e32 v23, vcc, s8, v23
	v_addc_co_u32_e32 v24, vcc, v26, v24, vcc
	v_add_u32_e32 v4, s6, v7
	s_waitcnt vmcnt(0)
	v_fma_f64 v[15:16], -v[0:1], v[11:12], v[15:16]
	v_fma_f64 v[17:18], -v[2:3], v[11:12], v[17:18]
	v_fma_f64 v[11:12], v[2:3], v[13:14], v[15:16]
	v_fma_f64 v[13:14], -v[0:1], v[13:14], v[17:18]
	global_store_dwordx4 v[21:22], v[11:14], off
	global_load_dwordx4 v[11:14], v[19:20], off
	s_nop 0
	global_load_dwordx4 v[15:18], v[23:24], off
	v_lshlrev_b64 v[19:20], 4, v[4:5]
	v_add_u32_e32 v4, s6, v6
	v_lshlrev_b64 v[21:22], 4, v[4:5]
	v_add_co_u32_e32 v19, vcc, s8, v19
	v_addc_co_u32_e32 v20, vcc, v25, v20, vcc
	v_add_co_u32_e32 v21, vcc, s8, v21
	v_addc_co_u32_e32 v22, vcc, v26, v22, vcc
	v_add_u32_e32 v4, s7, v7
	s_waitcnt vmcnt(0)
	v_fma_f64 v[15:16], -v[0:1], v[11:12], v[15:16]
	v_fma_f64 v[17:18], -v[2:3], v[11:12], v[17:18]
	v_fma_f64 v[11:12], v[2:3], v[13:14], v[15:16]
	v_fma_f64 v[13:14], -v[0:1], v[13:14], v[17:18]
	global_store_dwordx4 v[23:24], v[11:14], off
	global_load_dwordx4 v[11:14], v[19:20], off
	s_nop 0
	global_load_dwordx4 v[15:18], v[21:22], off
	v_lshlrev_b64 v[19:20], 4, v[4:5]
	v_add_u32_e32 v4, s7, v6
	v_mov_b32_e32 v23, s9
	v_lshlrev_b64 v[6:7], 4, v[4:5]
	v_add_co_u32_e32 v19, vcc, s8, v19
	v_addc_co_u32_e32 v20, vcc, v23, v20, vcc
	v_mov_b32_e32 v24, s9
	v_add_co_u32_e32 v6, vcc, s8, v6
	v_addc_co_u32_e32 v7, vcc, v24, v7, vcc
	v_mov_b32_e32 v4, s22
	s_waitcnt vmcnt(0)
	v_fma_f64 v[15:16], -v[0:1], v[11:12], v[15:16]
	v_fma_f64 v[17:18], -v[2:3], v[11:12], v[17:18]
	v_fma_f64 v[11:12], v[2:3], v[13:14], v[15:16]
	v_fma_f64 v[13:14], -v[0:1], v[13:14], v[17:18]
	global_store_dwordx4 v[21:22], v[11:14], off
	global_load_dwordx4 v[11:14], v[19:20], off
	s_nop 0
	global_load_dwordx4 v[15:18], v[6:7], off
	s_waitcnt vmcnt(0)
	v_fma_f64 v[15:16], -v[0:1], v[11:12], v[15:16]
	v_fma_f64 v[17:18], -v[2:3], v[11:12], v[17:18]
	v_fma_f64 v[11:12], v[2:3], v[13:14], v[15:16]
	v_fma_f64 v[13:14], -v[0:1], v[13:14], v[17:18]
	global_store_dwordx4 v[6:7], v[11:14], off
	s_branch .LBB299_24
.LBB299_29:
	s_endpgm
	.section	.rodata,"a",@progbits
	.p2align	6, 0x0
	.amdhsa_kernel _ZN9rocsparseL19gtsv_LBM_rhs_kernelILj256ELj8ELj4E21rocsparse_complex_numIdEEEviiiPKT2_S5_S5_PS3_S5_PKi
		.amdhsa_group_segment_fixed_size 0
		.amdhsa_private_segment_fixed_size 0
		.amdhsa_kernarg_size 64
		.amdhsa_user_sgpr_count 6
		.amdhsa_user_sgpr_private_segment_buffer 1
		.amdhsa_user_sgpr_dispatch_ptr 0
		.amdhsa_user_sgpr_queue_ptr 0
		.amdhsa_user_sgpr_kernarg_segment_ptr 1
		.amdhsa_user_sgpr_dispatch_id 0
		.amdhsa_user_sgpr_flat_scratch_init 0
		.amdhsa_user_sgpr_private_segment_size 0
		.amdhsa_uses_dynamic_stack 0
		.amdhsa_system_sgpr_private_segment_wavefront_offset 0
		.amdhsa_system_sgpr_workgroup_id_x 1
		.amdhsa_system_sgpr_workgroup_id_y 1
		.amdhsa_system_sgpr_workgroup_id_z 0
		.amdhsa_system_sgpr_workgroup_info 0
		.amdhsa_system_vgpr_workitem_id 0
		.amdhsa_next_free_vgpr 93
		.amdhsa_next_free_sgpr 32
		.amdhsa_reserve_vcc 1
		.amdhsa_reserve_flat_scratch 0
		.amdhsa_float_round_mode_32 0
		.amdhsa_float_round_mode_16_64 0
		.amdhsa_float_denorm_mode_32 3
		.amdhsa_float_denorm_mode_16_64 3
		.amdhsa_dx10_clamp 1
		.amdhsa_ieee_mode 1
		.amdhsa_fp16_overflow 0
		.amdhsa_exception_fp_ieee_invalid_op 0
		.amdhsa_exception_fp_denorm_src 0
		.amdhsa_exception_fp_ieee_div_zero 0
		.amdhsa_exception_fp_ieee_overflow 0
		.amdhsa_exception_fp_ieee_underflow 0
		.amdhsa_exception_fp_ieee_inexact 0
		.amdhsa_exception_int_div_zero 0
	.end_amdhsa_kernel
	.section	.text._ZN9rocsparseL19gtsv_LBM_rhs_kernelILj256ELj8ELj4E21rocsparse_complex_numIdEEEviiiPKT2_S5_S5_PS3_S5_PKi,"axG",@progbits,_ZN9rocsparseL19gtsv_LBM_rhs_kernelILj256ELj8ELj4E21rocsparse_complex_numIdEEEviiiPKT2_S5_S5_PS3_S5_PKi,comdat
.Lfunc_end299:
	.size	_ZN9rocsparseL19gtsv_LBM_rhs_kernelILj256ELj8ELj4E21rocsparse_complex_numIdEEEviiiPKT2_S5_S5_PS3_S5_PKi, .Lfunc_end299-_ZN9rocsparseL19gtsv_LBM_rhs_kernelILj256ELj8ELj4E21rocsparse_complex_numIdEEEviiiPKT2_S5_S5_PS3_S5_PKi
                                        ; -- End function
	.set _ZN9rocsparseL19gtsv_LBM_rhs_kernelILj256ELj8ELj4E21rocsparse_complex_numIdEEEviiiPKT2_S5_S5_PS3_S5_PKi.num_vgpr, 93
	.set _ZN9rocsparseL19gtsv_LBM_rhs_kernelILj256ELj8ELj4E21rocsparse_complex_numIdEEEviiiPKT2_S5_S5_PS3_S5_PKi.num_agpr, 0
	.set _ZN9rocsparseL19gtsv_LBM_rhs_kernelILj256ELj8ELj4E21rocsparse_complex_numIdEEEviiiPKT2_S5_S5_PS3_S5_PKi.numbered_sgpr, 32
	.set _ZN9rocsparseL19gtsv_LBM_rhs_kernelILj256ELj8ELj4E21rocsparse_complex_numIdEEEviiiPKT2_S5_S5_PS3_S5_PKi.num_named_barrier, 0
	.set _ZN9rocsparseL19gtsv_LBM_rhs_kernelILj256ELj8ELj4E21rocsparse_complex_numIdEEEviiiPKT2_S5_S5_PS3_S5_PKi.private_seg_size, 0
	.set _ZN9rocsparseL19gtsv_LBM_rhs_kernelILj256ELj8ELj4E21rocsparse_complex_numIdEEEviiiPKT2_S5_S5_PS3_S5_PKi.uses_vcc, 1
	.set _ZN9rocsparseL19gtsv_LBM_rhs_kernelILj256ELj8ELj4E21rocsparse_complex_numIdEEEviiiPKT2_S5_S5_PS3_S5_PKi.uses_flat_scratch, 0
	.set _ZN9rocsparseL19gtsv_LBM_rhs_kernelILj256ELj8ELj4E21rocsparse_complex_numIdEEEviiiPKT2_S5_S5_PS3_S5_PKi.has_dyn_sized_stack, 0
	.set _ZN9rocsparseL19gtsv_LBM_rhs_kernelILj256ELj8ELj4E21rocsparse_complex_numIdEEEviiiPKT2_S5_S5_PS3_S5_PKi.has_recursion, 0
	.set _ZN9rocsparseL19gtsv_LBM_rhs_kernelILj256ELj8ELj4E21rocsparse_complex_numIdEEEviiiPKT2_S5_S5_PS3_S5_PKi.has_indirect_call, 0
	.section	.AMDGPU.csdata,"",@progbits
; Kernel info:
; codeLenInByte = 5184
; TotalNumSgprs: 36
; NumVgprs: 93
; ScratchSize: 0
; MemoryBound: 1
; FloatMode: 240
; IeeeMode: 1
; LDSByteSize: 0 bytes/workgroup (compile time only)
; SGPRBlocks: 4
; VGPRBlocks: 23
; NumSGPRsForWavesPerEU: 36
; NumVGPRsForWavesPerEU: 93
; Occupancy: 2
; WaveLimiterHint : 0
; COMPUTE_PGM_RSRC2:SCRATCH_EN: 0
; COMPUTE_PGM_RSRC2:USER_SGPR: 6
; COMPUTE_PGM_RSRC2:TRAP_HANDLER: 0
; COMPUTE_PGM_RSRC2:TGID_X_EN: 1
; COMPUTE_PGM_RSRC2:TGID_Y_EN: 1
; COMPUTE_PGM_RSRC2:TGID_Z_EN: 0
; COMPUTE_PGM_RSRC2:TIDIG_COMP_CNT: 0
	.section	.text._ZN9rocsparseL19gtsv_LBM_rhs_kernelILj256ELj8ELj2E21rocsparse_complex_numIdEEEviiiPKT2_S5_S5_PS3_S5_PKi,"axG",@progbits,_ZN9rocsparseL19gtsv_LBM_rhs_kernelILj256ELj8ELj2E21rocsparse_complex_numIdEEEviiiPKT2_S5_S5_PS3_S5_PKi,comdat
	.globl	_ZN9rocsparseL19gtsv_LBM_rhs_kernelILj256ELj8ELj2E21rocsparse_complex_numIdEEEviiiPKT2_S5_S5_PS3_S5_PKi ; -- Begin function _ZN9rocsparseL19gtsv_LBM_rhs_kernelILj256ELj8ELj2E21rocsparse_complex_numIdEEEviiiPKT2_S5_S5_PS3_S5_PKi
	.p2align	8
	.type	_ZN9rocsparseL19gtsv_LBM_rhs_kernelILj256ELj8ELj2E21rocsparse_complex_numIdEEEviiiPKT2_S5_S5_PS3_S5_PKi,@function
_ZN9rocsparseL19gtsv_LBM_rhs_kernelILj256ELj8ELj2E21rocsparse_complex_numIdEEEviiiPKT2_S5_S5_PS3_S5_PKi: ; @_ZN9rocsparseL19gtsv_LBM_rhs_kernelILj256ELj8ELj2E21rocsparse_complex_numIdEEEviiiPKT2_S5_S5_PS3_S5_PKi
; %bb.0:
	s_load_dword s25, s[4:5], 0x0
	v_lshl_or_b32 v24, s6, 8, v0
	s_waitcnt lgkmcnt(0)
	s_lshr_b32 s24, s25, 3
	v_cmp_gt_i32_e32 vcc, s24, v24
	s_and_saveexec_b64 s[0:1], vcc
	s_cbranch_execz .LBB300_29
; %bb.1:
	s_load_dwordx4 s[8:11], s[4:5], 0x28
	s_load_dwordx2 s[16:17], s[4:5], 0x38
	s_cmp_lt_i32 s25, 1
	v_add_u32_e32 v47, s24, v24
	s_mul_i32 s26, s7, s25
	s_cbranch_scc1 .LBB300_21
; %bb.2:
	s_load_dwordx4 s[12:15], s[4:5], 0x10
	s_load_dwordx2 s[18:19], s[4:5], 0x20
	v_ashrrev_i32_e32 v25, 31, v24
	v_lshlrev_b64 v[0:1], 4, v[24:25]
	s_lshl_b32 s30, s26, 1
	s_waitcnt lgkmcnt(0)
	v_mov_b32_e32 v2, s15
	v_add_co_u32_e32 v0, vcc, s14, v0
	v_addc_co_u32_e32 v1, vcc, v2, v1, vcc
	global_load_dwordx4 v[4:7], v[0:1], off
	s_mul_i32 s27, s24, 7
	s_mul_i32 s28, s24, 6
	s_lshl_b32 s29, s24, 1
	v_add_u32_e32 v49, s24, v47
	s_add_i32 s31, s30, s25
	v_mov_b32_e32 v26, 0
	s_mov_b64 s[20:21], 0
	v_mov_b32_e32 v50, s19
	v_mov_b32_e32 v48, 0
	s_branch .LBB300_5
.LBB300_3:                              ;   in Loop: Header=BB300_5 Depth=1
	s_or_b64 exec, exec, s[4:5]
	v_fma_f64 v[2:3], v[2:3], v[8:9], v[29:30]
	v_fma_f64 v[0:1], v[0:1], v[8:9], v[27:28]
	v_mul_f64 v[4:5], v[20:21], -v[2:3]
	v_mul_f64 v[6:7], v[20:21], v[0:1]
	v_fma_f64 v[0:1], v[0:1], v[10:11], v[4:5]
	v_fma_f64 v[2:3], v[2:3], v[10:11], v[6:7]
	v_mov_b32_e32 v10, s24
	v_add_f64 v[4:5], v[12:13], -v[0:1]
	v_add_f64 v[6:7], v[14:15], -v[2:3]
.LBB300_4:                              ;   in Loop: Header=BB300_5 Depth=1
	s_or_b64 exec, exec, s[2:3]
	v_add_u32_e32 v48, v10, v48
	v_cmp_le_i32_e32 vcc, s25, v48
	s_or_b64 s[20:21], vcc, s[20:21]
	s_andn2_b64 exec, exec, s[20:21]
	s_cbranch_execz .LBB300_20
.LBB300_5:                              ; =>This Inner Loop Header: Depth=1
	v_add_u32_e32 v31, v48, v24
	v_ashrrev_i32_e32 v32, 31, v31
	v_lshlrev_b64 v[0:1], 4, v[31:32]
	v_mov_b32_e32 v12, 0
	v_add_co_u32_e32 v0, vcc, s18, v0
	v_addc_co_u32_e32 v1, vcc, v50, v1, vcc
	global_load_dwordx4 v[8:11], v[0:1], off
	v_mov_b32_e32 v0, 0
	v_mov_b32_e32 v2, 0
	;; [unrolled: 1-line block ×5, first 2 shown]
	v_cmp_gt_u32_e64 s[0:1], s27, v48
	s_and_saveexec_b64 s[2:3], s[0:1]
	s_cbranch_execz .LBB300_7
; %bb.6:                                ;   in Loop: Header=BB300_5 Depth=1
	v_add_u32_e32 v0, v47, v48
	v_ashrrev_i32_e32 v1, 31, v0
	v_lshlrev_b64 v[0:1], 4, v[0:1]
	v_mov_b32_e32 v2, s13
	v_add_co_u32_e32 v0, vcc, s12, v0
	v_addc_co_u32_e32 v1, vcc, v2, v1, vcc
	global_load_dwordx4 v[0:3], v[0:1], off
.LBB300_7:                              ;   in Loop: Header=BB300_5 Depth=1
	s_or_b64 exec, exec, s[2:3]
	v_mov_b32_e32 v14, 0
	v_mov_b32_e32 v15, 0
	s_and_saveexec_b64 s[2:3], s[0:1]
	s_cbranch_execz .LBB300_9
; %bb.8:                                ;   in Loop: Header=BB300_5 Depth=1
	v_add_u32_e32 v12, v47, v48
	v_ashrrev_i32_e32 v13, 31, v12
	v_lshlrev_b64 v[12:13], 4, v[12:13]
	v_mov_b32_e32 v14, s15
	v_add_co_u32_e32 v12, vcc, s14, v12
	v_addc_co_u32_e32 v13, vcc, v14, v13, vcc
	global_load_dwordx4 v[12:15], v[12:13], off
.LBB300_9:                              ;   in Loop: Header=BB300_5 Depth=1
	s_or_b64 exec, exec, s[2:3]
	v_mov_b32_e32 v20, 0
	v_mov_b32_e32 v16, 0
	;; [unrolled: 1-line block ×6, first 2 shown]
	s_and_saveexec_b64 s[2:3], s[0:1]
	s_cbranch_execz .LBB300_11
; %bb.10:                               ;   in Loop: Header=BB300_5 Depth=1
	v_add_u32_e32 v16, v47, v48
	v_ashrrev_i32_e32 v17, 31, v16
	v_lshlrev_b64 v[16:17], 4, v[16:17]
	v_mov_b32_e32 v18, s19
	v_add_co_u32_e32 v16, vcc, s18, v16
	v_addc_co_u32_e32 v17, vcc, v18, v17, vcc
	global_load_dwordx4 v[16:19], v[16:17], off
.LBB300_11:                             ;   in Loop: Header=BB300_5 Depth=1
	s_or_b64 exec, exec, s[2:3]
	v_mov_b32_e32 v22, 0
	v_mov_b32_e32 v23, 0
	v_cmp_gt_u32_e64 s[2:3], s28, v48
	s_and_saveexec_b64 s[4:5], s[2:3]
	s_cbranch_execz .LBB300_13
; %bb.12:                               ;   in Loop: Header=BB300_5 Depth=1
	v_add_u32_e32 v20, v49, v48
	v_ashrrev_i32_e32 v21, 31, v20
	v_lshlrev_b64 v[20:21], 4, v[20:21]
	v_mov_b32_e32 v22, s13
	v_add_co_u32_e32 v20, vcc, s12, v20
	v_addc_co_u32_e32 v21, vcc, v22, v21, vcc
	global_load_dwordx4 v[20:23], v[20:21], off
.LBB300_13:                             ;   in Loop: Header=BB300_5 Depth=1
	s_or_b64 exec, exec, s[4:5]
	v_lshlrev_b64 v[27:28], 2, v[31:32]
	v_mov_b32_e32 v25, s17
	v_add_co_u32_e32 v27, vcc, s16, v27
	v_addc_co_u32_e32 v28, vcc, v25, v28, vcc
	global_load_dword v32, v[27:28], off
	s_waitcnt vmcnt(1)
	v_mul_f64 v[27:28], v[10:11], -v[2:3]
	v_mul_f64 v[29:30], v[10:11], v[0:1]
	v_cmp_ne_u32_e32 vcc, s27, v48
	v_add_u32_e32 v25, s30, v31
	v_add_u32_e32 v31, s31, v31
	s_waitcnt vmcnt(0)
	v_cmp_ne_u32_e64 s[4:5], 1, v32
	s_and_b64 s[4:5], vcc, s[4:5]
	s_and_saveexec_b64 s[6:7], s[4:5]
	s_xor_b64 s[22:23], exec, s[6:7]
	s_cbranch_execz .LBB300_17
; %bb.14:                               ;   in Loop: Header=BB300_5 Depth=1
	v_mul_f64 v[32:33], v[4:5], v[14:15]
	v_mul_f64 v[34:35], v[14:15], -v[6:7]
	v_fma_f64 v[29:30], v[2:3], v[8:9], v[29:30]
	v_fma_f64 v[27:28], v[0:1], v[8:9], v[27:28]
	v_lshlrev_b64 v[39:40], 4, v[25:26]
	v_mov_b32_e32 v53, s9
	v_add_u32_e32 v54, v47, v48
	v_add_u32_e32 v25, s30, v54
	v_fma_f64 v[32:33], v[6:7], v[12:13], v[32:33]
	v_fma_f64 v[34:35], v[4:5], v[12:13], v[34:35]
	v_mov_b32_e32 v58, s9
	v_mov_b32_e32 v57, s9
	;; [unrolled: 1-line block ×3, first 2 shown]
	v_add_f64 v[29:30], v[32:33], -v[29:30]
	v_add_f64 v[27:28], v[34:35], -v[27:28]
	v_mul_f64 v[32:33], v[29:30], v[29:30]
	v_fma_f64 v[35:36], v[27:28], v[27:28], v[32:33]
	v_mov_b32_e32 v32, v26
	v_lshlrev_b64 v[43:44], 4, v[31:32]
	v_div_scale_f64 v[41:42], s[4:5], v[35:36], v[35:36], 1.0
	v_div_scale_f64 v[45:46], vcc, 1.0, v[35:36], 1.0
	v_add_co_u32_e64 v55, s[4:5], s8, v39
	v_addc_co_u32_e64 v56, s[4:5], v53, v40, s[4:5]
	v_lshlrev_b64 v[39:40], 4, v[25:26]
	v_add_u32_e32 v25, s31, v54
	v_add_co_u32_e64 v61, s[6:7], s8, v39
	v_addc_co_u32_e64 v62, s[6:7], v58, v40, s[6:7]
	v_add_co_u32_e64 v59, s[4:5], s8, v43
	v_rcp_f64_e32 v[33:34], v[41:42]
	v_addc_co_u32_e64 v60, s[4:5], v57, v44, s[4:5]
	v_lshlrev_b64 v[43:44], 4, v[25:26]
	v_add_co_u32_e64 v63, s[4:5], s8, v43
	v_addc_co_u32_e64 v64, s[4:5], v64, v44, s[4:5]
	v_fma_f64 v[37:38], -v[41:42], v[33:34], 1.0
	v_fma_f64 v[37:38], v[33:34], v[37:38], v[33:34]
	global_load_dwordx4 v[31:34], v[55:56], off
	v_fma_f64 v[51:52], -v[41:42], v[37:38], 1.0
	v_fma_f64 v[51:52], v[37:38], v[51:52], v[37:38]
	global_load_dwordx4 v[37:40], v[61:62], off
	v_mul_f64 v[53:54], v[45:46], v[51:52]
	v_fma_f64 v[45:46], -v[41:42], v[53:54], v[45:46]
	global_load_dwordx4 v[41:44], v[59:60], off
	v_div_fmas_f64 v[45:46], v[45:46], v[51:52], v[53:54]
	global_load_dwordx4 v[51:54], v[63:64], off
	v_div_fixup_f64 v[35:36], v[45:46], v[35:36], 1.0
	v_fma_f64 v[45:46], v[27:28], 0, -v[29:30]
	v_fma_f64 v[27:28], v[29:30], 0, v[27:28]
	v_mul_f64 v[29:30], v[45:46], v[35:36]
	v_mul_f64 v[27:28], v[27:28], v[35:36]
	s_waitcnt vmcnt(3)
	v_mul_f64 v[35:36], v[29:30], -v[33:34]
	v_mul_f64 v[45:46], v[29:30], v[31:32]
	v_fma_f64 v[31:32], v[31:32], v[27:28], v[35:36]
	v_fma_f64 v[35:36], v[33:34], v[27:28], v[45:46]
	s_waitcnt vmcnt(2)
	v_mul_f64 v[33:34], v[29:30], -v[39:40]
	v_mul_f64 v[45:46], v[29:30], v[37:38]
	v_fma_f64 v[33:34], v[37:38], v[27:28], v[33:34]
	v_fma_f64 v[37:38], v[39:40], v[27:28], v[45:46]
	;; [unrolled: 5-line block ×3, first 2 shown]
	s_waitcnt vmcnt(0)
	v_mul_f64 v[41:42], v[29:30], -v[53:54]
	v_mul_f64 v[45:46], v[29:30], v[51:52]
	v_mul_f64 v[57:58], v[43:44], -v[14:15]
	v_fma_f64 v[41:42], v[51:52], v[27:28], v[41:42]
	v_mul_f64 v[51:52], v[35:36], -v[14:15]
	v_fma_f64 v[45:46], v[53:54], v[27:28], v[45:46]
	v_mul_f64 v[53:54], v[12:13], v[35:36]
	v_fma_f64 v[57:58], v[12:13], v[39:40], v[57:58]
	v_fma_f64 v[51:52], v[12:13], v[31:32], v[51:52]
	v_mul_f64 v[12:13], v[12:13], v[43:44]
	v_fma_f64 v[53:54], v[14:15], v[31:32], v[53:54]
	v_fma_f64 v[65:66], v[14:15], v[39:40], v[12:13]
	v_mul_f64 v[12:13], v[37:38], -v[10:11]
	v_mul_f64 v[14:15], v[8:9], v[37:38]
	v_fma_f64 v[12:13], v[8:9], v[33:34], v[12:13]
	v_fma_f64 v[14:15], v[10:11], v[33:34], v[14:15]
	v_add_f64 v[12:13], v[51:52], -v[12:13]
	v_mul_f64 v[51:52], v[45:46], -v[10:11]
	v_add_f64 v[14:15], v[53:54], -v[14:15]
	v_mul_f64 v[53:54], v[35:36], -v[0:1]
	v_fma_f64 v[51:52], v[8:9], v[41:42], v[51:52]
	v_mul_f64 v[8:9], v[8:9], v[45:46]
	global_store_dwordx4 v[55:56], v[12:15], off
	v_mul_f64 v[55:56], v[37:38], -v[6:7]
	v_mul_f64 v[14:15], v[2:3], v[35:36]
	v_fma_f64 v[53:54], -v[2:3], v[31:32], v[53:54]
	v_fma_f64 v[8:9], v[10:11], v[41:42], v[8:9]
	v_add_f64 v[10:11], v[57:58], -v[51:52]
	v_fma_f64 v[51:52], v[4:5], v[33:34], v[55:56]
	v_fma_f64 v[14:15], -v[0:1], v[31:32], v[14:15]
	v_mul_f64 v[55:56], v[2:3], v[43:44]
	v_mul_f64 v[57:58], v[4:5], v[45:46]
	v_add_f64 v[12:13], v[65:66], -v[8:9]
	v_mul_f64 v[8:9], v[4:5], v[37:38]
	v_add_f64 v[51:52], v[14:15], v[51:52]
	v_mul_f64 v[14:15], v[45:46], -v[6:7]
	v_fma_f64 v[55:56], -v[0:1], v[39:40], v[55:56]
	v_fma_f64 v[57:58], v[6:7], v[41:42], v[57:58]
	global_store_dwordx4 v[59:60], v[10:13], off
	v_fma_f64 v[8:9], v[6:7], v[33:34], v[8:9]
	v_mov_b32_e32 v10, 0
	v_mov_b32_e32 v11, 0
	v_fma_f64 v[14:15], v[4:5], v[41:42], v[14:15]
	v_add_f64 v[53:54], v[53:54], v[8:9]
	v_mul_f64 v[8:9], v[43:44], -v[0:1]
	v_add_f64 v[55:56], v[55:56], v[14:15]
	v_fma_f64 v[8:9], -v[2:3], v[39:40], v[8:9]
	v_add_f64 v[57:58], v[8:9], v[57:58]
	v_mov_b32_e32 v8, 0
	v_mov_b32_e32 v9, 0
	global_store_dwordx4 v[61:62], v[51:54], off
	global_store_dwordx4 v[63:64], v[55:58], off
	s_and_saveexec_b64 s[4:5], s[2:3]
	s_cbranch_execz .LBB300_16
; %bb.15:                               ;   in Loop: Header=BB300_5 Depth=1
	v_add_u32_e32 v51, v49, v48
	v_add_u32_e32 v25, s30, v51
	v_lshlrev_b64 v[8:9], 4, v[25:26]
	v_mov_b32_e32 v10, s9
	v_add_co_u32_e32 v55, vcc, s8, v8
	v_add_u32_e32 v25, s31, v51
	v_addc_co_u32_e32 v56, vcc, v10, v9, vcc
	v_lshlrev_b64 v[8:9], 4, v[25:26]
	v_ashrrev_i32_e32 v52, 31, v51
	v_add_co_u32_e32 v57, vcc, s8, v8
	v_lshlrev_b64 v[51:52], 4, v[51:52]
	v_addc_co_u32_e32 v58, vcc, v10, v9, vcc
	v_mov_b32_e32 v25, s15
	v_add_co_u32_e32 v51, vcc, s14, v51
	v_addc_co_u32_e32 v52, vcc, v25, v52, vcc
	global_load_dwordx4 v[8:11], v[55:56], off
	global_load_dwordx4 v[12:15], v[57:58], off
	v_mul_f64 v[59:60], v[22:23], -v[0:1]
	global_load_dwordx4 v[51:54], v[51:52], off
	v_mul_f64 v[61:62], v[2:3], v[22:23]
	v_mul_f64 v[63:64], v[4:5], v[22:23]
	v_mul_f64 v[65:66], v[22:23], -v[6:7]
	v_mul_f64 v[67:68], v[6:7], -v[22:23]
	v_mul_f64 v[69:70], v[6:7], v[20:21]
	v_fma_f64 v[2:3], -v[2:3], v[20:21], v[59:60]
	v_fma_f64 v[0:1], -v[0:1], v[20:21], v[61:62]
	v_fma_f64 v[6:7], v[6:7], v[20:21], v[63:64]
	v_fma_f64 v[59:60], v[4:5], v[20:21], v[65:66]
	;; [unrolled: 1-line block ×4, first 2 shown]
	v_mul_f64 v[22:23], v[2:3], v[35:36]
	v_mul_f64 v[65:66], v[2:3], v[43:44]
	v_mul_f64 v[35:36], v[35:36], -v[0:1]
	v_mul_f64 v[61:62], v[37:38], -v[6:7]
	v_mul_f64 v[37:38], v[59:60], v[37:38]
	v_mul_f64 v[63:64], v[18:19], v[20:21]
	v_mul_f64 v[18:19], v[18:19], -v[4:5]
	v_mul_f64 v[43:44], v[43:44], -v[0:1]
	;; [unrolled: 1-line block ×3, first 2 shown]
	v_mul_f64 v[45:46], v[59:60], v[45:46]
	v_fma_f64 v[22:23], -v[0:1], v[31:32], v[22:23]
	v_fma_f64 v[31:32], -v[2:3], v[31:32], v[35:36]
	;; [unrolled: 1-line block ×3, first 2 shown]
	v_fma_f64 v[4:5], v[4:5], v[16:17], v[63:64]
	v_fma_f64 v[16:17], v[20:21], v[16:17], v[18:19]
	;; [unrolled: 1-line block ×4, first 2 shown]
	v_fma_f64 v[2:3], -v[2:3], v[39:40], v[43:44]
	v_fma_f64 v[33:34], v[59:60], v[41:42], v[67:68]
	v_fma_f64 v[6:7], v[6:7], v[41:42], v[45:46]
	v_mul_f64 v[35:36], v[29:30], -v[4:5]
	v_mul_f64 v[29:30], v[29:30], v[16:17]
	v_add_f64 v[18:19], v[22:23], -v[18:19]
	v_add_f64 v[20:21], v[31:32], -v[20:21]
	;; [unrolled: 1-line block ×4, first 2 shown]
	v_fma_f64 v[16:17], v[16:17], v[27:28], v[35:36]
	v_fma_f64 v[27:28], v[4:5], v[27:28], v[29:30]
	s_waitcnt vmcnt(2)
	v_add_f64 v[0:1], v[18:19], v[8:9]
	v_add_f64 v[2:3], v[20:21], v[10:11]
	s_waitcnt vmcnt(1)
	v_add_f64 v[4:5], v[22:23], v[12:13]
	s_waitcnt vmcnt(0)
	v_add_f64 v[10:11], v[51:52], -v[16:17]
	v_add_f64 v[8:9], v[53:54], -v[27:28]
	v_add_f64 v[6:7], v[6:7], v[14:15]
	global_store_dwordx4 v[55:56], v[0:3], off
	global_store_dwordx4 v[57:58], v[4:7], off
.LBB300_16:                             ;   in Loop: Header=BB300_5 Depth=1
	s_or_b64 exec, exec, s[4:5]
	v_mov_b32_e32 v6, v8
	v_mov_b32_e32 v4, v10
	;; [unrolled: 1-line block ×4, first 2 shown]
                                        ; implicit-def: $vgpr0_vgpr1
                                        ; implicit-def: $vgpr12_vgpr13
                                        ; implicit-def: $vgpr8_vgpr9
                                        ; implicit-def: $vgpr27_vgpr28
                                        ; implicit-def: $vgpr29_vgpr30
                                        ; implicit-def: $vgpr31
.LBB300_17:                             ;   in Loop: Header=BB300_5 Depth=1
	s_or_saveexec_b64 s[2:3], s[22:23]
	v_mov_b32_e32 v10, s29
	s_xor_b64 exec, exec, s[2:3]
	s_cbranch_execz .LBB300_4
; %bb.18:                               ;   in Loop: Header=BB300_5 Depth=1
	v_mul_f64 v[10:11], v[6:7], v[6:7]
	v_lshlrev_b64 v[16:17], 4, v[25:26]
	v_mov_b32_e32 v32, v26
	v_mov_b32_e32 v18, s9
	v_lshlrev_b64 v[31:32], 4, v[31:32]
	v_add_co_u32_e32 v35, vcc, s8, v16
	v_addc_co_u32_e32 v36, vcc, v18, v17, vcc
	v_fma_f64 v[10:11], v[4:5], v[4:5], v[10:11]
	v_mov_b32_e32 v25, s9
	v_add_co_u32_e32 v39, vcc, s8, v31
	v_addc_co_u32_e32 v40, vcc, v25, v32, vcc
	global_load_dwordx4 v[16:19], v[35:36], off
	global_load_dwordx4 v[31:34], v[39:40], off
	v_div_scale_f64 v[20:21], s[4:5], v[10:11], v[10:11], 1.0
	v_rcp_f64_e32 v[22:23], v[20:21]
	v_fma_f64 v[37:38], -v[20:21], v[22:23], 1.0
	v_fma_f64 v[22:23], v[22:23], v[37:38], v[22:23]
	v_div_scale_f64 v[37:38], vcc, 1.0, v[10:11], 1.0
	v_fma_f64 v[41:42], -v[20:21], v[22:23], 1.0
	v_fma_f64 v[22:23], v[22:23], v[41:42], v[22:23]
	v_mul_f64 v[41:42], v[37:38], v[22:23]
	v_fma_f64 v[20:21], -v[20:21], v[41:42], v[37:38]
	v_div_fmas_f64 v[20:21], v[20:21], v[22:23], v[41:42]
	v_fma_f64 v[22:23], v[4:5], 0, -v[6:7]
	v_fma_f64 v[4:5], v[6:7], 0, v[4:5]
	v_div_fixup_f64 v[10:11], v[20:21], v[10:11], 1.0
	v_mul_f64 v[20:21], v[22:23], v[10:11]
	v_mul_f64 v[10:11], v[4:5], v[10:11]
	s_waitcnt vmcnt(1)
	v_mul_f64 v[4:5], v[20:21], -v[18:19]
	v_mul_f64 v[6:7], v[20:21], v[16:17]
	s_waitcnt vmcnt(0)
	v_mul_f64 v[22:23], v[20:21], -v[33:34]
	v_mul_f64 v[37:38], v[20:21], v[31:32]
	v_fma_f64 v[16:17], v[16:17], v[10:11], v[4:5]
	v_fma_f64 v[18:19], v[18:19], v[10:11], v[6:7]
	;; [unrolled: 1-line block ×4, first 2 shown]
	global_store_dwordx4 v[35:36], v[16:19], off
	global_store_dwordx4 v[39:40], v[4:7], off
	s_and_saveexec_b64 s[4:5], s[0:1]
	s_cbranch_execz .LBB300_3
; %bb.19:                               ;   in Loop: Header=BB300_5 Depth=1
	v_add_u32_e32 v35, v47, v48
	v_add_u32_e32 v25, s30, v35
	v_lshlrev_b64 v[22:23], 4, v[25:26]
	v_mov_b32_e32 v25, s9
	v_add_co_u32_e32 v22, vcc, s8, v22
	v_addc_co_u32_e32 v23, vcc, v25, v23, vcc
	v_add_u32_e32 v25, s31, v35
	v_lshlrev_b64 v[35:36], 4, v[25:26]
	v_mov_b32_e32 v25, s9
	v_add_co_u32_e32 v39, vcc, s8, v35
	global_load_dwordx4 v[31:34], v[22:23], off
	v_addc_co_u32_e32 v40, vcc, v25, v36, vcc
	global_load_dwordx4 v[35:38], v[39:40], off
	s_waitcnt vmcnt(1)
	v_fma_f64 v[31:32], -v[0:1], v[16:17], v[31:32]
	v_fma_f64 v[33:34], -v[2:3], v[16:17], v[33:34]
	s_waitcnt vmcnt(0)
	v_fma_f64 v[35:36], -v[0:1], v[4:5], v[35:36]
	v_fma_f64 v[37:38], -v[2:3], v[4:5], v[37:38]
	v_fma_f64 v[16:17], v[2:3], v[18:19], v[31:32]
	v_fma_f64 v[18:19], -v[0:1], v[18:19], v[33:34]
	v_fma_f64 v[4:5], v[2:3], v[6:7], v[35:36]
	v_fma_f64 v[6:7], -v[0:1], v[6:7], v[37:38]
	global_store_dwordx4 v[22:23], v[16:19], off
	global_store_dwordx4 v[39:40], v[4:7], off
	s_branch .LBB300_3
.LBB300_20:
	s_or_b64 exec, exec, s[20:21]
	s_branch .LBB300_22
.LBB300_21:
	v_mov_b32_e32 v48, 0
.LBB300_22:
	v_subrev_u32_e32 v2, s24, v48
	v_add_u32_e32 v0, v2, v24
	v_ashrrev_i32_e32 v1, 31, v0
	v_lshlrev_b64 v[0:1], 2, v[0:1]
	s_waitcnt lgkmcnt(0)
	v_mov_b32_e32 v3, s17
	v_add_co_u32_e32 v0, vcc, s16, v0
	v_addc_co_u32_e32 v1, vcc, v3, v1, vcc
	s_waitcnt vmcnt(0)
	buffer_wbinvl1_vol
	global_load_dword v0, v[0:1], off
	s_waitcnt vmcnt(0)
	v_mul_lo_u32 v0, v0, s24
	v_sub_u32_e32 v8, v2, v0
	v_cmp_lt_i32_e32 vcc, -1, v8
	s_and_b64 exec, exec, vcc
	s_cbranch_execz .LBB300_29
; %bb.23:
	s_lshl_b32 s4, s26, 1
	s_add_i32 s5, s4, s25
	s_lshl_b32 s6, s24, 1
	s_mov_b64 s[0:1], 0
	v_mov_b32_e32 v9, s17
	v_mov_b32_e32 v10, s11
	;; [unrolled: 1-line block ×3, first 2 shown]
	s_branch .LBB300_25
.LBB300_24:                             ;   in Loop: Header=BB300_25 Depth=1
	s_or_b64 exec, exec, s[2:3]
	v_sub_u32_e32 v8, v8, v4
	v_cmp_gt_i32_e32 vcc, 0, v8
	s_or_b64 s[0:1], vcc, s[0:1]
	s_andn2_b64 exec, exec, s[0:1]
	s_cbranch_execz .LBB300_29
.LBB300_25:                             ; =>This Inner Loop Header: Depth=1
	v_add_u32_e32 v6, v8, v24
	v_ashrrev_i32_e32 v7, 31, v6
	s_waitcnt vmcnt(0)
	v_lshlrev_b64 v[0:1], 2, v[6:7]
	v_add_co_u32_e32 v0, vcc, s16, v0
	v_addc_co_u32_e32 v1, vcc, v9, v1, vcc
	global_load_dword v4, v[0:1], off
	v_lshlrev_b64 v[0:1], 4, v[6:7]
	v_add_co_u32_e32 v0, vcc, s10, v0
	v_addc_co_u32_e32 v1, vcc, v10, v1, vcc
	global_load_dwordx4 v[0:3], v[0:1], off
	s_waitcnt vmcnt(1)
	v_cmp_ne_u32_e32 vcc, 1, v4
	s_and_saveexec_b64 s[2:3], vcc
	s_xor_b64 s[2:3], exec, s[2:3]
	s_cbranch_execz .LBB300_27
; %bb.26:                               ;   in Loop: Header=BB300_25 Depth=1
	v_add_u32_e32 v7, v47, v8
	v_add_u32_e32 v4, s4, v7
	v_lshlrev_b64 v[11:12], 4, v[4:5]
	v_mov_b32_e32 v4, s9
	v_add_co_u32_e32 v11, vcc, s8, v11
	v_addc_co_u32_e32 v12, vcc, v4, v12, vcc
	v_add_u32_e32 v4, s5, v7
	v_lshlrev_b64 v[19:20], 4, v[4:5]
	v_add_u32_e32 v4, s4, v6
	v_lshlrev_b64 v[15:16], 4, v[4:5]
	v_mov_b32_e32 v4, s9
	v_add_co_u32_e32 v25, vcc, s8, v15
	v_addc_co_u32_e32 v26, vcc, v4, v16, vcc
	global_load_dwordx4 v[11:14], v[11:12], off
	v_add_co_u32_e32 v19, vcc, s8, v19
	global_load_dwordx4 v[15:18], v[25:26], off
	v_addc_co_u32_e32 v20, vcc, v4, v20, vcc
	global_load_dwordx4 v[19:22], v[19:20], off
	v_add_u32_e32 v4, s5, v6
	v_lshlrev_b64 v[6:7], 4, v[4:5]
	v_mov_b32_e32 v23, s9
	v_add_co_u32_e32 v6, vcc, s8, v6
	v_addc_co_u32_e32 v7, vcc, v23, v7, vcc
	v_subrev_u32_e32 v4, s24, v8
	v_mov_b32_e32 v23, s11
	v_mov_b32_e32 v28, s9
	s_waitcnt vmcnt(1)
	v_fma_f64 v[15:16], -v[0:1], v[11:12], v[15:16]
	v_fma_f64 v[17:18], -v[2:3], v[11:12], v[17:18]
	v_fma_f64 v[15:16], v[2:3], v[13:14], v[15:16]
	v_fma_f64 v[17:18], -v[0:1], v[13:14], v[17:18]
	global_store_dwordx4 v[25:26], v[15:18], off
	global_load_dwordx4 v[15:18], v[6:7], off
	v_add_u32_e32 v25, v4, v24
	v_ashrrev_i32_e32 v26, 31, v25
	v_lshlrev_b64 v[26:27], 4, v[25:26]
	v_add_u32_e32 v4, s4, v25
	v_add_co_u32_e32 v26, vcc, s10, v26
	v_addc_co_u32_e32 v27, vcc, v23, v27, vcc
	s_waitcnt vmcnt(0)
	v_fma_f64 v[15:16], -v[0:1], v[19:20], v[15:16]
	v_fma_f64 v[17:18], -v[2:3], v[19:20], v[17:18]
	v_fma_f64 v[15:16], v[2:3], v[21:22], v[15:16]
	v_fma_f64 v[17:18], -v[0:1], v[21:22], v[17:18]
	global_load_dwordx4 v[0:3], v[26:27], off
	v_lshlrev_b64 v[26:27], 4, v[4:5]
	v_add_u32_e32 v4, s5, v25
	v_add_co_u32_e32 v26, vcc, s8, v26
	v_addc_co_u32_e32 v27, vcc, v28, v27, vcc
	global_store_dwordx4 v[6:7], v[15:18], off
	global_load_dwordx4 v[15:18], v[26:27], off
	s_waitcnt vmcnt(0)
	v_fma_f64 v[6:7], -v[0:1], v[11:12], v[15:16]
	v_fma_f64 v[15:16], -v[2:3], v[11:12], v[17:18]
	v_fma_f64 v[11:12], v[2:3], v[13:14], v[6:7]
	v_fma_f64 v[13:14], -v[0:1], v[13:14], v[15:16]
	v_lshlrev_b64 v[6:7], 4, v[4:5]
	v_mov_b32_e32 v15, s9
	v_add_co_u32_e32 v6, vcc, s8, v6
	v_addc_co_u32_e32 v7, vcc, v15, v7, vcc
	global_store_dwordx4 v[26:27], v[11:14], off
	global_load_dwordx4 v[11:14], v[6:7], off
	s_waitcnt vmcnt(0)
	v_fma_f64 v[11:12], -v[0:1], v[19:20], v[11:12]
	v_fma_f64 v[13:14], -v[2:3], v[19:20], v[13:14]
	v_fma_f64 v[11:12], v[2:3], v[21:22], v[11:12]
	v_fma_f64 v[13:14], -v[0:1], v[21:22], v[13:14]
                                        ; implicit-def: $vgpr0_vgpr1
	global_store_dwordx4 v[6:7], v[11:14], off
                                        ; implicit-def: $vgpr6
.LBB300_27:                             ;   in Loop: Header=BB300_25 Depth=1
	s_or_saveexec_b64 s[2:3], s[2:3]
	v_mov_b32_e32 v4, s6
	s_xor_b64 exec, exec, s[2:3]
	s_cbranch_execz .LBB300_24
; %bb.28:                               ;   in Loop: Header=BB300_25 Depth=1
	v_add_u32_e32 v7, v47, v8
	v_add_u32_e32 v4, s4, v7
	v_lshlrev_b64 v[11:12], 4, v[4:5]
	v_mov_b32_e32 v4, s9
	v_add_co_u32_e32 v19, vcc, s8, v11
	v_addc_co_u32_e32 v20, vcc, v4, v12, vcc
	v_add_u32_e32 v4, s4, v6
	v_lshlrev_b64 v[11:12], 4, v[4:5]
	v_mov_b32_e32 v4, s9
	v_add_co_u32_e32 v21, vcc, s8, v11
	v_addc_co_u32_e32 v22, vcc, v4, v12, vcc
	global_load_dwordx4 v[11:14], v[19:20], off
	global_load_dwordx4 v[15:18], v[21:22], off
	v_add_u32_e32 v4, s5, v7
	v_lshlrev_b64 v[19:20], 4, v[4:5]
	v_add_u32_e32 v4, s5, v6
	v_mov_b32_e32 v23, s9
	v_lshlrev_b64 v[6:7], 4, v[4:5]
	v_add_co_u32_e32 v19, vcc, s8, v19
	v_addc_co_u32_e32 v20, vcc, v23, v20, vcc
	v_mov_b32_e32 v25, s9
	v_add_co_u32_e32 v6, vcc, s8, v6
	v_addc_co_u32_e32 v7, vcc, v25, v7, vcc
	v_mov_b32_e32 v4, s24
	s_waitcnt vmcnt(0)
	v_fma_f64 v[15:16], -v[0:1], v[11:12], v[15:16]
	v_fma_f64 v[17:18], -v[2:3], v[11:12], v[17:18]
	v_fma_f64 v[11:12], v[2:3], v[13:14], v[15:16]
	v_fma_f64 v[13:14], -v[0:1], v[13:14], v[17:18]
	global_store_dwordx4 v[21:22], v[11:14], off
	global_load_dwordx4 v[11:14], v[19:20], off
	s_nop 0
	global_load_dwordx4 v[15:18], v[6:7], off
	s_waitcnt vmcnt(0)
	v_fma_f64 v[15:16], -v[0:1], v[11:12], v[15:16]
	v_fma_f64 v[17:18], -v[2:3], v[11:12], v[17:18]
	v_fma_f64 v[11:12], v[2:3], v[13:14], v[15:16]
	v_fma_f64 v[13:14], -v[0:1], v[13:14], v[17:18]
	global_store_dwordx4 v[6:7], v[11:14], off
	s_branch .LBB300_24
.LBB300_29:
	s_endpgm
	.section	.rodata,"a",@progbits
	.p2align	6, 0x0
	.amdhsa_kernel _ZN9rocsparseL19gtsv_LBM_rhs_kernelILj256ELj8ELj2E21rocsparse_complex_numIdEEEviiiPKT2_S5_S5_PS3_S5_PKi
		.amdhsa_group_segment_fixed_size 0
		.amdhsa_private_segment_fixed_size 0
		.amdhsa_kernarg_size 64
		.amdhsa_user_sgpr_count 6
		.amdhsa_user_sgpr_private_segment_buffer 1
		.amdhsa_user_sgpr_dispatch_ptr 0
		.amdhsa_user_sgpr_queue_ptr 0
		.amdhsa_user_sgpr_kernarg_segment_ptr 1
		.amdhsa_user_sgpr_dispatch_id 0
		.amdhsa_user_sgpr_flat_scratch_init 0
		.amdhsa_user_sgpr_private_segment_size 0
		.amdhsa_uses_dynamic_stack 0
		.amdhsa_system_sgpr_private_segment_wavefront_offset 0
		.amdhsa_system_sgpr_workgroup_id_x 1
		.amdhsa_system_sgpr_workgroup_id_y 1
		.amdhsa_system_sgpr_workgroup_id_z 0
		.amdhsa_system_sgpr_workgroup_info 0
		.amdhsa_system_vgpr_workitem_id 0
		.amdhsa_next_free_vgpr 71
		.amdhsa_next_free_sgpr 32
		.amdhsa_reserve_vcc 1
		.amdhsa_reserve_flat_scratch 0
		.amdhsa_float_round_mode_32 0
		.amdhsa_float_round_mode_16_64 0
		.amdhsa_float_denorm_mode_32 3
		.amdhsa_float_denorm_mode_16_64 3
		.amdhsa_dx10_clamp 1
		.amdhsa_ieee_mode 1
		.amdhsa_fp16_overflow 0
		.amdhsa_exception_fp_ieee_invalid_op 0
		.amdhsa_exception_fp_denorm_src 0
		.amdhsa_exception_fp_ieee_div_zero 0
		.amdhsa_exception_fp_ieee_overflow 0
		.amdhsa_exception_fp_ieee_underflow 0
		.amdhsa_exception_fp_ieee_inexact 0
		.amdhsa_exception_int_div_zero 0
	.end_amdhsa_kernel
	.section	.text._ZN9rocsparseL19gtsv_LBM_rhs_kernelILj256ELj8ELj2E21rocsparse_complex_numIdEEEviiiPKT2_S5_S5_PS3_S5_PKi,"axG",@progbits,_ZN9rocsparseL19gtsv_LBM_rhs_kernelILj256ELj8ELj2E21rocsparse_complex_numIdEEEviiiPKT2_S5_S5_PS3_S5_PKi,comdat
.Lfunc_end300:
	.size	_ZN9rocsparseL19gtsv_LBM_rhs_kernelILj256ELj8ELj2E21rocsparse_complex_numIdEEEviiiPKT2_S5_S5_PS3_S5_PKi, .Lfunc_end300-_ZN9rocsparseL19gtsv_LBM_rhs_kernelILj256ELj8ELj2E21rocsparse_complex_numIdEEEviiiPKT2_S5_S5_PS3_S5_PKi
                                        ; -- End function
	.set _ZN9rocsparseL19gtsv_LBM_rhs_kernelILj256ELj8ELj2E21rocsparse_complex_numIdEEEviiiPKT2_S5_S5_PS3_S5_PKi.num_vgpr, 71
	.set _ZN9rocsparseL19gtsv_LBM_rhs_kernelILj256ELj8ELj2E21rocsparse_complex_numIdEEEviiiPKT2_S5_S5_PS3_S5_PKi.num_agpr, 0
	.set _ZN9rocsparseL19gtsv_LBM_rhs_kernelILj256ELj8ELj2E21rocsparse_complex_numIdEEEviiiPKT2_S5_S5_PS3_S5_PKi.numbered_sgpr, 32
	.set _ZN9rocsparseL19gtsv_LBM_rhs_kernelILj256ELj8ELj2E21rocsparse_complex_numIdEEEviiiPKT2_S5_S5_PS3_S5_PKi.num_named_barrier, 0
	.set _ZN9rocsparseL19gtsv_LBM_rhs_kernelILj256ELj8ELj2E21rocsparse_complex_numIdEEEviiiPKT2_S5_S5_PS3_S5_PKi.private_seg_size, 0
	.set _ZN9rocsparseL19gtsv_LBM_rhs_kernelILj256ELj8ELj2E21rocsparse_complex_numIdEEEviiiPKT2_S5_S5_PS3_S5_PKi.uses_vcc, 1
	.set _ZN9rocsparseL19gtsv_LBM_rhs_kernelILj256ELj8ELj2E21rocsparse_complex_numIdEEEviiiPKT2_S5_S5_PS3_S5_PKi.uses_flat_scratch, 0
	.set _ZN9rocsparseL19gtsv_LBM_rhs_kernelILj256ELj8ELj2E21rocsparse_complex_numIdEEEviiiPKT2_S5_S5_PS3_S5_PKi.has_dyn_sized_stack, 0
	.set _ZN9rocsparseL19gtsv_LBM_rhs_kernelILj256ELj8ELj2E21rocsparse_complex_numIdEEEviiiPKT2_S5_S5_PS3_S5_PKi.has_recursion, 0
	.set _ZN9rocsparseL19gtsv_LBM_rhs_kernelILj256ELj8ELj2E21rocsparse_complex_numIdEEEviiiPKT2_S5_S5_PS3_S5_PKi.has_indirect_call, 0
	.section	.AMDGPU.csdata,"",@progbits
; Kernel info:
; codeLenInByte = 3396
; TotalNumSgprs: 36
; NumVgprs: 71
; ScratchSize: 0
; MemoryBound: 1
; FloatMode: 240
; IeeeMode: 1
; LDSByteSize: 0 bytes/workgroup (compile time only)
; SGPRBlocks: 4
; VGPRBlocks: 17
; NumSGPRsForWavesPerEU: 36
; NumVGPRsForWavesPerEU: 71
; Occupancy: 3
; WaveLimiterHint : 0
; COMPUTE_PGM_RSRC2:SCRATCH_EN: 0
; COMPUTE_PGM_RSRC2:USER_SGPR: 6
; COMPUTE_PGM_RSRC2:TRAP_HANDLER: 0
; COMPUTE_PGM_RSRC2:TGID_X_EN: 1
; COMPUTE_PGM_RSRC2:TGID_Y_EN: 1
; COMPUTE_PGM_RSRC2:TGID_Z_EN: 0
; COMPUTE_PGM_RSRC2:TIDIG_COMP_CNT: 0
	.section	.text._ZN9rocsparseL19gtsv_LBM_rhs_kernelILj256ELj8ELj1E21rocsparse_complex_numIdEEEviiiPKT2_S5_S5_PS3_S5_PKi,"axG",@progbits,_ZN9rocsparseL19gtsv_LBM_rhs_kernelILj256ELj8ELj1E21rocsparse_complex_numIdEEEviiiPKT2_S5_S5_PS3_S5_PKi,comdat
	.globl	_ZN9rocsparseL19gtsv_LBM_rhs_kernelILj256ELj8ELj1E21rocsparse_complex_numIdEEEviiiPKT2_S5_S5_PS3_S5_PKi ; -- Begin function _ZN9rocsparseL19gtsv_LBM_rhs_kernelILj256ELj8ELj1E21rocsparse_complex_numIdEEEviiiPKT2_S5_S5_PS3_S5_PKi
	.p2align	8
	.type	_ZN9rocsparseL19gtsv_LBM_rhs_kernelILj256ELj8ELj1E21rocsparse_complex_numIdEEEviiiPKT2_S5_S5_PS3_S5_PKi,@function
_ZN9rocsparseL19gtsv_LBM_rhs_kernelILj256ELj8ELj1E21rocsparse_complex_numIdEEEviiiPKT2_S5_S5_PS3_S5_PKi: ; @_ZN9rocsparseL19gtsv_LBM_rhs_kernelILj256ELj8ELj1E21rocsparse_complex_numIdEEEviiiPKT2_S5_S5_PS3_S5_PKi
; %bb.0:
	s_load_dword s24, s[4:5], 0x0
	v_lshl_or_b32 v24, s6, 8, v0
	s_waitcnt lgkmcnt(0)
	s_lshr_b32 s22, s24, 3
	v_cmp_gt_i32_e32 vcc, s22, v24
	s_and_saveexec_b64 s[0:1], vcc
	s_cbranch_execz .LBB301_29
; %bb.1:
	s_load_dwordx4 s[8:11], s[4:5], 0x28
	s_load_dwordx2 s[16:17], s[4:5], 0x38
	s_cmp_lt_i32 s24, 1
	s_mul_i32 s23, s24, s7
	s_cbranch_scc1 .LBB301_21
; %bb.2:
	s_load_dwordx4 s[12:15], s[4:5], 0x10
	s_load_dwordx2 s[6:7], s[4:5], 0x20
	v_ashrrev_i32_e32 v25, 31, v24
	v_lshlrev_b64 v[0:1], 4, v[24:25]
	v_add_u32_e32 v40, s22, v24
	s_waitcnt lgkmcnt(0)
	v_mov_b32_e32 v2, s15
	v_add_co_u32_e32 v0, vcc, s14, v0
	v_addc_co_u32_e32 v1, vcc, v2, v1, vcc
	global_load_dwordx4 v[0:3], v[0:1], off
	s_mul_i32 s25, s22, 7
	s_mul_i32 s26, s22, 6
	s_lshl_b32 s27, s22, 1
	v_add_u32_e32 v41, s22, v40
	v_add_u32_e32 v42, s23, v40
	v_mov_b32_e32 v26, 0
	s_mov_b64 s[18:19], 0
	v_mov_b32_e32 v43, s7
	v_mov_b32_e32 v39, 0
	s_branch .LBB301_5
.LBB301_3:                              ;   in Loop: Header=BB301_5 Depth=1
	s_or_b64 exec, exec, s[4:5]
	v_fma_f64 v[0:1], v[6:7], v[8:9], v[30:31]
	v_fma_f64 v[2:3], v[4:5], v[8:9], v[28:29]
	v_mul_f64 v[4:5], v[16:17], -v[0:1]
	v_mul_f64 v[6:7], v[16:17], v[2:3]
	v_fma_f64 v[2:3], v[2:3], v[10:11], v[4:5]
	v_fma_f64 v[4:5], v[0:1], v[10:11], v[6:7]
	v_mov_b32_e32 v10, s22
	v_add_f64 v[0:1], v[12:13], -v[2:3]
	v_add_f64 v[2:3], v[14:15], -v[4:5]
.LBB301_4:                              ;   in Loop: Header=BB301_5 Depth=1
	s_or_b64 exec, exec, s[2:3]
	v_add_u32_e32 v39, v10, v39
	v_cmp_le_i32_e32 vcc, s24, v39
	s_or_b64 s[18:19], vcc, s[18:19]
	s_andn2_b64 exec, exec, s[18:19]
	s_cbranch_execz .LBB301_20
.LBB301_5:                              ; =>This Inner Loop Header: Depth=1
	v_add_u32_e32 v27, v39, v24
	v_ashrrev_i32_e32 v28, 31, v27
	v_lshlrev_b64 v[4:5], 4, v[27:28]
	v_mov_b32_e32 v12, 0
	v_add_co_u32_e32 v4, vcc, s6, v4
	v_addc_co_u32_e32 v5, vcc, v43, v5, vcc
	global_load_dwordx4 v[8:11], v[4:5], off
	v_mov_b32_e32 v4, 0
	v_mov_b32_e32 v6, 0
	v_cmp_gt_u32_e64 s[0:1], s25, v39
	v_mov_b32_e32 v13, 0
	v_mov_b32_e32 v5, 0
	;; [unrolled: 1-line block ×3, first 2 shown]
	v_add_u32_e32 v22, v40, v39
	s_and_saveexec_b64 s[2:3], s[0:1]
	s_cbranch_execz .LBB301_7
; %bb.6:                                ;   in Loop: Header=BB301_5 Depth=1
	v_ashrrev_i32_e32 v23, 31, v22
	v_lshlrev_b64 v[4:5], 4, v[22:23]
	v_mov_b32_e32 v6, s13
	v_add_co_u32_e32 v4, vcc, s12, v4
	v_addc_co_u32_e32 v5, vcc, v6, v5, vcc
	global_load_dwordx4 v[4:7], v[4:5], off
.LBB301_7:                              ;   in Loop: Header=BB301_5 Depth=1
	s_or_b64 exec, exec, s[2:3]
	v_mov_b32_e32 v14, 0
	v_mov_b32_e32 v15, 0
	s_and_saveexec_b64 s[2:3], s[0:1]
	s_cbranch_execz .LBB301_9
; %bb.8:                                ;   in Loop: Header=BB301_5 Depth=1
	v_ashrrev_i32_e32 v23, 31, v22
	v_lshlrev_b64 v[12:13], 4, v[22:23]
	v_mov_b32_e32 v14, s15
	v_add_co_u32_e32 v12, vcc, s14, v12
	v_addc_co_u32_e32 v13, vcc, v14, v13, vcc
	global_load_dwordx4 v[12:15], v[12:13], off
.LBB301_9:                              ;   in Loop: Header=BB301_5 Depth=1
	s_or_b64 exec, exec, s[2:3]
	v_mov_b32_e32 v20, 0
	v_mov_b32_e32 v16, 0
	;; [unrolled: 1-line block ×6, first 2 shown]
	s_and_saveexec_b64 s[2:3], s[0:1]
	s_cbranch_execz .LBB301_11
; %bb.10:                               ;   in Loop: Header=BB301_5 Depth=1
	v_ashrrev_i32_e32 v23, 31, v22
	v_lshlrev_b64 v[16:17], 4, v[22:23]
	v_mov_b32_e32 v18, s7
	v_add_co_u32_e32 v16, vcc, s6, v16
	v_addc_co_u32_e32 v17, vcc, v18, v17, vcc
	global_load_dwordx4 v[16:19], v[16:17], off
.LBB301_11:                             ;   in Loop: Header=BB301_5 Depth=1
	s_or_b64 exec, exec, s[2:3]
	v_mov_b32_e32 v22, 0
	v_mov_b32_e32 v23, 0
	v_cmp_gt_u32_e64 s[2:3], s26, v39
	s_and_saveexec_b64 s[4:5], s[2:3]
	s_cbranch_execz .LBB301_13
; %bb.12:                               ;   in Loop: Header=BB301_5 Depth=1
	v_add_u32_e32 v20, v41, v39
	v_ashrrev_i32_e32 v21, 31, v20
	v_lshlrev_b64 v[20:21], 4, v[20:21]
	v_mov_b32_e32 v22, s13
	v_add_co_u32_e32 v20, vcc, s12, v20
	v_addc_co_u32_e32 v21, vcc, v22, v21, vcc
	global_load_dwordx4 v[20:23], v[20:21], off
.LBB301_13:                             ;   in Loop: Header=BB301_5 Depth=1
	s_or_b64 exec, exec, s[4:5]
	v_lshlrev_b64 v[28:29], 2, v[27:28]
	v_mov_b32_e32 v25, s17
	v_add_co_u32_e32 v28, vcc, s16, v28
	v_addc_co_u32_e32 v29, vcc, v25, v29, vcc
	global_load_dword v25, v[28:29], off
	s_waitcnt vmcnt(1)
	v_mul_f64 v[28:29], v[10:11], -v[6:7]
	v_mul_f64 v[30:31], v[10:11], v[4:5]
	v_cmp_ne_u32_e32 vcc, s25, v39
	s_waitcnt vmcnt(0)
	v_cmp_ne_u32_e64 s[4:5], 1, v25
	s_and_b64 s[4:5], vcc, s[4:5]
	v_add_u32_e32 v25, s23, v27
	s_and_saveexec_b64 s[20:21], s[4:5]
	s_xor_b64 s[20:21], exec, s[20:21]
	s_cbranch_execz .LBB301_17
; %bb.14:                               ;   in Loop: Header=BB301_5 Depth=1
	v_mul_f64 v[32:33], v[0:1], v[14:15]
	v_mul_f64 v[34:35], v[14:15], -v[2:3]
	v_fma_f64 v[30:31], v[6:7], v[8:9], v[30:31]
	v_fma_f64 v[27:28], v[4:5], v[8:9], v[28:29]
	v_lshlrev_b64 v[46:47], 4, v[25:26]
	v_add_u32_e32 v25, v42, v39
	v_mov_b32_e32 v51, s9
	v_fma_f64 v[32:33], v[2:3], v[12:13], v[32:33]
	v_fma_f64 v[34:35], v[0:1], v[12:13], v[34:35]
	v_add_f64 v[29:30], v[32:33], -v[30:31]
	v_add_f64 v[27:28], v[34:35], -v[27:28]
	v_mul_f64 v[31:32], v[29:30], v[29:30]
	v_fma_f64 v[31:32], v[27:28], v[27:28], v[31:32]
	v_div_scale_f64 v[37:38], s[4:5], v[31:32], v[31:32], 1.0
	v_div_scale_f64 v[44:45], vcc, 1.0, v[31:32], 1.0
	v_add_co_u32_e64 v50, s[4:5], s8, v46
	v_addc_co_u32_e64 v51, s[4:5], v51, v47, s[4:5]
	v_rcp_f64_e32 v[33:34], v[37:38]
	v_fma_f64 v[35:36], -v[37:38], v[33:34], 1.0
	v_fma_f64 v[33:34], v[33:34], v[35:36], v[33:34]
	v_fma_f64 v[35:36], -v[37:38], v[33:34], 1.0
	v_fma_f64 v[48:49], v[33:34], v[35:36], v[33:34]
	v_lshlrev_b64 v[33:34], 4, v[25:26]
	v_mov_b32_e32 v35, s9
	v_add_co_u32_e64 v54, s[4:5], s8, v33
	v_addc_co_u32_e64 v55, s[4:5], v35, v34, s[4:5]
	global_load_dwordx4 v[33:36], v[50:51], off
	v_mul_f64 v[52:53], v[44:45], v[48:49]
	v_fma_f64 v[37:38], -v[37:38], v[52:53], v[44:45]
	global_load_dwordx4 v[44:47], v[54:55], off
	v_div_fmas_f64 v[37:38], v[37:38], v[48:49], v[52:53]
	v_fma_f64 v[48:49], v[27:28], 0, -v[29:30]
	v_fma_f64 v[29:30], v[29:30], 0, v[27:28]
	v_div_fixup_f64 v[31:32], v[37:38], v[31:32], 1.0
	v_mul_f64 v[27:28], v[48:49], v[31:32]
	v_mul_f64 v[29:30], v[29:30], v[31:32]
	s_waitcnt vmcnt(1)
	v_mul_f64 v[31:32], v[27:28], v[33:34]
	v_mul_f64 v[48:49], v[27:28], -v[35:36]
	v_fma_f64 v[31:32], v[35:36], v[29:30], v[31:32]
	v_fma_f64 v[33:34], v[33:34], v[29:30], v[48:49]
	s_waitcnt vmcnt(0)
	v_mul_f64 v[37:38], v[27:28], v[44:45]
	v_mul_f64 v[52:53], v[27:28], -v[46:47]
	v_mul_f64 v[48:49], v[12:13], v[31:32]
	v_fma_f64 v[35:36], v[46:47], v[29:30], v[37:38]
	v_mul_f64 v[46:47], v[31:32], -v[14:15]
	v_fma_f64 v[37:38], v[44:45], v[29:30], v[52:53]
	v_fma_f64 v[14:15], v[14:15], v[33:34], v[48:49]
	v_mul_f64 v[48:49], v[31:32], -v[4:5]
	v_mul_f64 v[44:45], v[35:36], -v[10:11]
	v_mul_f64 v[52:53], v[8:9], v[35:36]
	v_fma_f64 v[12:13], v[12:13], v[33:34], v[46:47]
	v_mul_f64 v[46:47], v[6:7], v[31:32]
	v_fma_f64 v[48:49], -v[6:7], v[33:34], v[48:49]
	v_fma_f64 v[8:9], v[8:9], v[37:38], v[44:45]
	v_fma_f64 v[10:11], v[10:11], v[37:38], v[52:53]
	v_mul_f64 v[44:45], v[35:36], -v[2:3]
	v_mul_f64 v[52:53], v[0:1], v[35:36]
	v_fma_f64 v[46:47], -v[4:5], v[33:34], v[46:47]
	v_add_f64 v[12:13], v[12:13], -v[8:9]
	v_add_f64 v[14:15], v[14:15], -v[10:11]
	v_fma_f64 v[44:45], v[0:1], v[37:38], v[44:45]
	v_fma_f64 v[52:53], v[2:3], v[37:38], v[52:53]
	v_mov_b32_e32 v10, 0
	v_mov_b32_e32 v8, 0
	;; [unrolled: 1-line block ×4, first 2 shown]
	v_add_f64 v[44:45], v[46:47], v[44:45]
	v_add_f64 v[46:47], v[48:49], v[52:53]
	global_store_dwordx4 v[50:51], v[12:15], off
	global_store_dwordx4 v[54:55], v[44:47], off
	s_and_saveexec_b64 s[4:5], s[2:3]
	s_cbranch_execz .LBB301_16
; %bb.15:                               ;   in Loop: Header=BB301_5 Depth=1
	v_add_u32_e32 v12, v41, v39
	v_add_u32_e32 v25, s23, v12
	v_lshlrev_b64 v[8:9], 4, v[25:26]
	v_ashrrev_i32_e32 v13, 31, v12
	v_mov_b32_e32 v10, s9
	v_add_co_u32_e32 v44, vcc, s8, v8
	v_lshlrev_b64 v[12:13], 4, v[12:13]
	v_addc_co_u32_e32 v45, vcc, v10, v9, vcc
	v_mov_b32_e32 v14, s15
	v_add_co_u32_e32 v12, vcc, s14, v12
	v_addc_co_u32_e32 v13, vcc, v14, v13, vcc
	global_load_dwordx4 v[8:11], v[44:45], off
	v_mul_f64 v[46:47], v[2:3], -v[22:23]
	global_load_dwordx4 v[12:15], v[12:13], off
	v_mul_f64 v[48:49], v[2:3], v[20:21]
	v_mul_f64 v[50:51], v[22:23], -v[4:5]
	v_mul_f64 v[52:53], v[6:7], v[22:23]
	v_mul_f64 v[54:55], v[0:1], v[22:23]
	v_mul_f64 v[56:57], v[22:23], -v[2:3]
	v_fma_f64 v[46:47], v[20:21], v[0:1], v[46:47]
	v_fma_f64 v[22:23], v[22:23], v[0:1], v[48:49]
	v_fma_f64 v[6:7], -v[6:7], v[20:21], v[50:51]
	v_fma_f64 v[4:5], -v[4:5], v[20:21], v[52:53]
	v_fma_f64 v[2:3], v[2:3], v[20:21], v[54:55]
	v_fma_f64 v[0:1], v[0:1], v[20:21], v[56:57]
	v_mul_f64 v[20:21], v[18:19], v[46:47]
	v_mul_f64 v[18:19], v[18:19], -v[22:23]
	v_mul_f64 v[48:49], v[6:7], v[31:32]
	v_mul_f64 v[31:32], v[31:32], -v[4:5]
	v_mul_f64 v[50:51], v[35:36], -v[2:3]
	v_mul_f64 v[35:36], v[0:1], v[35:36]
	v_fma_f64 v[20:21], v[22:23], v[16:17], v[20:21]
	v_fma_f64 v[16:17], v[46:47], v[16:17], v[18:19]
	v_fma_f64 v[4:5], -v[4:5], v[33:34], v[48:49]
	v_fma_f64 v[6:7], -v[6:7], v[33:34], v[31:32]
	v_fma_f64 v[0:1], v[0:1], v[37:38], v[50:51]
	v_fma_f64 v[2:3], v[2:3], v[37:38], v[35:36]
	v_mul_f64 v[18:19], v[27:28], -v[20:21]
	v_mul_f64 v[22:23], v[27:28], v[16:17]
	v_add_f64 v[0:1], v[4:5], -v[0:1]
	v_add_f64 v[2:3], v[6:7], -v[2:3]
	v_fma_f64 v[4:5], v[16:17], v[29:30], v[18:19]
	v_fma_f64 v[6:7], v[20:21], v[29:30], v[22:23]
	s_waitcnt vmcnt(1)
	v_add_f64 v[0:1], v[0:1], v[8:9]
	v_add_f64 v[2:3], v[2:3], v[10:11]
	s_waitcnt vmcnt(0)
	v_add_f64 v[8:9], v[12:13], -v[4:5]
	v_add_f64 v[10:11], v[14:15], -v[6:7]
	global_store_dwordx4 v[44:45], v[0:3], off
.LBB301_16:                             ;   in Loop: Header=BB301_5 Depth=1
	s_or_b64 exec, exec, s[4:5]
	v_mov_b32_e32 v2, v10
	v_mov_b32_e32 v0, v8
	;; [unrolled: 1-line block ×4, first 2 shown]
                                        ; implicit-def: $vgpr4_vgpr5
                                        ; implicit-def: $vgpr12_vgpr13
                                        ; implicit-def: $vgpr8_vgpr9
                                        ; implicit-def: $vgpr28_vgpr29
                                        ; implicit-def: $vgpr30_vgpr31
.LBB301_17:                             ;   in Loop: Header=BB301_5 Depth=1
	s_or_saveexec_b64 s[2:3], s[20:21]
	v_mov_b32_e32 v10, s27
	s_xor_b64 exec, exec, s[2:3]
	s_cbranch_execz .LBB301_4
; %bb.18:                               ;   in Loop: Header=BB301_5 Depth=1
	v_mul_f64 v[10:11], v[2:3], v[2:3]
	v_lshlrev_b64 v[18:19], 4, v[25:26]
	v_mov_b32_e32 v20, s9
	v_add_co_u32_e32 v32, vcc, s8, v18
	v_addc_co_u32_e32 v33, vcc, v20, v19, vcc
	global_load_dwordx4 v[18:21], v[32:33], off
	v_fma_f64 v[10:11], v[0:1], v[0:1], v[10:11]
	v_div_scale_f64 v[16:17], s[4:5], v[10:11], v[10:11], 1.0
	v_rcp_f64_e32 v[22:23], v[16:17]
	v_fma_f64 v[34:35], -v[16:17], v[22:23], 1.0
	v_fma_f64 v[22:23], v[22:23], v[34:35], v[22:23]
	v_div_scale_f64 v[34:35], vcc, 1.0, v[10:11], 1.0
	v_fma_f64 v[36:37], -v[16:17], v[22:23], 1.0
	v_fma_f64 v[22:23], v[22:23], v[36:37], v[22:23]
	v_mul_f64 v[36:37], v[34:35], v[22:23]
	v_fma_f64 v[16:17], -v[16:17], v[36:37], v[34:35]
	v_div_fmas_f64 v[16:17], v[16:17], v[22:23], v[36:37]
	v_fma_f64 v[22:23], v[0:1], 0, -v[2:3]
	v_fma_f64 v[0:1], v[2:3], 0, v[0:1]
	v_div_fixup_f64 v[10:11], v[16:17], v[10:11], 1.0
	v_mul_f64 v[16:17], v[22:23], v[10:11]
	v_mul_f64 v[10:11], v[0:1], v[10:11]
	s_waitcnt vmcnt(0)
	v_mul_f64 v[0:1], v[16:17], -v[20:21]
	v_mul_f64 v[2:3], v[16:17], v[18:19]
	v_fma_f64 v[0:1], v[18:19], v[10:11], v[0:1]
	v_fma_f64 v[2:3], v[20:21], v[10:11], v[2:3]
	global_store_dwordx4 v[32:33], v[0:3], off
	s_and_saveexec_b64 s[4:5], s[0:1]
	s_cbranch_execz .LBB301_3
; %bb.19:                               ;   in Loop: Header=BB301_5 Depth=1
	v_add_u32_e32 v25, v42, v39
	v_lshlrev_b64 v[18:19], 4, v[25:26]
	v_mov_b32_e32 v20, s9
	v_add_co_u32_e32 v22, vcc, s8, v18
	v_addc_co_u32_e32 v23, vcc, v20, v19, vcc
	global_load_dwordx4 v[18:21], v[22:23], off
	s_waitcnt vmcnt(0)
	v_fma_f64 v[18:19], -v[4:5], v[0:1], v[18:19]
	v_fma_f64 v[20:21], -v[6:7], v[0:1], v[20:21]
	v_fma_f64 v[0:1], v[6:7], v[2:3], v[18:19]
	v_fma_f64 v[2:3], -v[4:5], v[2:3], v[20:21]
	global_store_dwordx4 v[22:23], v[0:3], off
	s_branch .LBB301_3
.LBB301_20:
	s_or_b64 exec, exec, s[18:19]
	s_branch .LBB301_22
.LBB301_21:
	v_mov_b32_e32 v39, 0
.LBB301_22:
	v_subrev_u32_e32 v2, s22, v39
	v_add_u32_e32 v0, v2, v24
	v_ashrrev_i32_e32 v1, 31, v0
	v_lshlrev_b64 v[0:1], 2, v[0:1]
	s_waitcnt lgkmcnt(0)
	v_mov_b32_e32 v3, s17
	v_add_co_u32_e32 v0, vcc, s16, v0
	v_addc_co_u32_e32 v1, vcc, v3, v1, vcc
	s_waitcnt vmcnt(0)
	buffer_wbinvl1_vol
	global_load_dword v0, v[0:1], off
	s_waitcnt vmcnt(0)
	v_mul_lo_u32 v0, v0, s22
	v_sub_u32_e32 v8, v2, v0
	v_cmp_lt_i32_e32 vcc, -1, v8
	s_and_b64 exec, exec, vcc
	s_cbranch_execz .LBB301_29
; %bb.23:
	s_add_i32 s0, s23, s22
	v_add_u32_e32 v9, s0, v24
	s_lshl_b32 s4, s22, 1
	s_mov_b64 s[0:1], 0
	v_mov_b32_e32 v10, s17
	v_mov_b32_e32 v11, s11
	;; [unrolled: 1-line block ×3, first 2 shown]
	s_branch .LBB301_25
.LBB301_24:                             ;   in Loop: Header=BB301_25 Depth=1
	s_or_b64 exec, exec, s[2:3]
	v_sub_u32_e32 v8, v8, v4
	v_cmp_gt_i32_e32 vcc, 0, v8
	s_or_b64 s[0:1], vcc, s[0:1]
	s_andn2_b64 exec, exec, s[0:1]
	s_cbranch_execz .LBB301_29
.LBB301_25:                             ; =>This Inner Loop Header: Depth=1
	v_add_u32_e32 v6, v8, v24
	v_ashrrev_i32_e32 v7, 31, v6
	s_waitcnt vmcnt(0)
	v_lshlrev_b64 v[0:1], 2, v[6:7]
	v_add_co_u32_e32 v0, vcc, s16, v0
	v_addc_co_u32_e32 v1, vcc, v10, v1, vcc
	global_load_dword v4, v[0:1], off
	v_lshlrev_b64 v[0:1], 4, v[6:7]
	v_add_co_u32_e32 v0, vcc, s10, v0
	v_addc_co_u32_e32 v1, vcc, v11, v1, vcc
	global_load_dwordx4 v[0:3], v[0:1], off
	s_waitcnt vmcnt(1)
	v_cmp_ne_u32_e32 vcc, 1, v4
	s_and_saveexec_b64 s[2:3], vcc
	s_xor_b64 s[2:3], exec, s[2:3]
	s_cbranch_execz .LBB301_27
; %bb.26:                               ;   in Loop: Header=BB301_25 Depth=1
	v_add_u32_e32 v4, v9, v8
	v_lshlrev_b64 v[12:13], 4, v[4:5]
	v_mov_b32_e32 v4, s9
	v_add_co_u32_e32 v20, vcc, s8, v12
	v_addc_co_u32_e32 v21, vcc, v4, v13, vcc
	v_add_u32_e32 v4, s23, v6
	v_lshlrev_b64 v[6:7], 4, v[4:5]
	v_mov_b32_e32 v4, s9
	v_add_co_u32_e32 v6, vcc, s8, v6
	v_addc_co_u32_e32 v7, vcc, v4, v7, vcc
	global_load_dwordx4 v[12:15], v[20:21], off
	global_load_dwordx4 v[16:19], v[6:7], off
	v_subrev_u32_e32 v4, s22, v8
	v_add_u32_e32 v20, v4, v24
	v_ashrrev_i32_e32 v21, 31, v20
	v_add_u32_e32 v4, s23, v20
	v_lshlrev_b64 v[20:21], 4, v[20:21]
	v_mov_b32_e32 v25, s11
	v_lshlrev_b64 v[22:23], 4, v[4:5]
	v_mov_b32_e32 v26, s9
	s_waitcnt vmcnt(0)
	v_fma_f64 v[16:17], -v[0:1], v[12:13], v[16:17]
	v_fma_f64 v[18:19], -v[2:3], v[12:13], v[18:19]
	v_fma_f64 v[16:17], v[2:3], v[14:15], v[16:17]
	v_fma_f64 v[18:19], -v[0:1], v[14:15], v[18:19]
	v_add_co_u32_e32 v0, vcc, s10, v20
	v_addc_co_u32_e32 v1, vcc, v25, v21, vcc
	v_add_co_u32_e32 v20, vcc, s8, v22
	v_addc_co_u32_e32 v21, vcc, v26, v23, vcc
	global_store_dwordx4 v[6:7], v[16:19], off
	global_load_dwordx4 v[0:3], v[0:1], off
	s_nop 0
	global_load_dwordx4 v[16:19], v[20:21], off
	s_waitcnt vmcnt(0)
	v_fma_f64 v[6:7], -v[0:1], v[12:13], v[16:17]
	v_fma_f64 v[16:17], -v[2:3], v[12:13], v[18:19]
	v_fma_f64 v[12:13], v[2:3], v[14:15], v[6:7]
	v_fma_f64 v[14:15], -v[0:1], v[14:15], v[16:17]
                                        ; implicit-def: $vgpr6
                                        ; implicit-def: $vgpr0_vgpr1
	global_store_dwordx4 v[20:21], v[12:15], off
.LBB301_27:                             ;   in Loop: Header=BB301_25 Depth=1
	s_or_saveexec_b64 s[2:3], s[2:3]
	v_mov_b32_e32 v4, s4
	s_xor_b64 exec, exec, s[2:3]
	s_cbranch_execz .LBB301_24
; %bb.28:                               ;   in Loop: Header=BB301_25 Depth=1
	v_add_u32_e32 v4, v9, v8
	v_lshlrev_b64 v[12:13], 4, v[4:5]
	v_mov_b32_e32 v4, s9
	v_add_co_u32_e32 v20, vcc, s8, v12
	v_addc_co_u32_e32 v21, vcc, v4, v13, vcc
	v_add_u32_e32 v4, s23, v6
	v_lshlrev_b64 v[6:7], 4, v[4:5]
	v_mov_b32_e32 v4, s9
	v_add_co_u32_e32 v6, vcc, s8, v6
	v_addc_co_u32_e32 v7, vcc, v4, v7, vcc
	global_load_dwordx4 v[12:15], v[20:21], off
	global_load_dwordx4 v[16:19], v[6:7], off
	v_mov_b32_e32 v4, s22
	s_waitcnt vmcnt(0)
	v_fma_f64 v[16:17], -v[0:1], v[12:13], v[16:17]
	v_fma_f64 v[18:19], -v[2:3], v[12:13], v[18:19]
	v_fma_f64 v[12:13], v[2:3], v[14:15], v[16:17]
	v_fma_f64 v[14:15], -v[0:1], v[14:15], v[18:19]
	global_store_dwordx4 v[6:7], v[12:15], off
	s_branch .LBB301_24
.LBB301_29:
	s_endpgm
	.section	.rodata,"a",@progbits
	.p2align	6, 0x0
	.amdhsa_kernel _ZN9rocsparseL19gtsv_LBM_rhs_kernelILj256ELj8ELj1E21rocsparse_complex_numIdEEEviiiPKT2_S5_S5_PS3_S5_PKi
		.amdhsa_group_segment_fixed_size 0
		.amdhsa_private_segment_fixed_size 0
		.amdhsa_kernarg_size 64
		.amdhsa_user_sgpr_count 6
		.amdhsa_user_sgpr_private_segment_buffer 1
		.amdhsa_user_sgpr_dispatch_ptr 0
		.amdhsa_user_sgpr_queue_ptr 0
		.amdhsa_user_sgpr_kernarg_segment_ptr 1
		.amdhsa_user_sgpr_dispatch_id 0
		.amdhsa_user_sgpr_flat_scratch_init 0
		.amdhsa_user_sgpr_private_segment_size 0
		.amdhsa_uses_dynamic_stack 0
		.amdhsa_system_sgpr_private_segment_wavefront_offset 0
		.amdhsa_system_sgpr_workgroup_id_x 1
		.amdhsa_system_sgpr_workgroup_id_y 1
		.amdhsa_system_sgpr_workgroup_id_z 0
		.amdhsa_system_sgpr_workgroup_info 0
		.amdhsa_system_vgpr_workitem_id 0
		.amdhsa_next_free_vgpr 58
		.amdhsa_next_free_sgpr 28
		.amdhsa_reserve_vcc 1
		.amdhsa_reserve_flat_scratch 0
		.amdhsa_float_round_mode_32 0
		.amdhsa_float_round_mode_16_64 0
		.amdhsa_float_denorm_mode_32 3
		.amdhsa_float_denorm_mode_16_64 3
		.amdhsa_dx10_clamp 1
		.amdhsa_ieee_mode 1
		.amdhsa_fp16_overflow 0
		.amdhsa_exception_fp_ieee_invalid_op 0
		.amdhsa_exception_fp_denorm_src 0
		.amdhsa_exception_fp_ieee_div_zero 0
		.amdhsa_exception_fp_ieee_overflow 0
		.amdhsa_exception_fp_ieee_underflow 0
		.amdhsa_exception_fp_ieee_inexact 0
		.amdhsa_exception_int_div_zero 0
	.end_amdhsa_kernel
	.section	.text._ZN9rocsparseL19gtsv_LBM_rhs_kernelILj256ELj8ELj1E21rocsparse_complex_numIdEEEviiiPKT2_S5_S5_PS3_S5_PKi,"axG",@progbits,_ZN9rocsparseL19gtsv_LBM_rhs_kernelILj256ELj8ELj1E21rocsparse_complex_numIdEEEviiiPKT2_S5_S5_PS3_S5_PKi,comdat
.Lfunc_end301:
	.size	_ZN9rocsparseL19gtsv_LBM_rhs_kernelILj256ELj8ELj1E21rocsparse_complex_numIdEEEviiiPKT2_S5_S5_PS3_S5_PKi, .Lfunc_end301-_ZN9rocsparseL19gtsv_LBM_rhs_kernelILj256ELj8ELj1E21rocsparse_complex_numIdEEEviiiPKT2_S5_S5_PS3_S5_PKi
                                        ; -- End function
	.set _ZN9rocsparseL19gtsv_LBM_rhs_kernelILj256ELj8ELj1E21rocsparse_complex_numIdEEEviiiPKT2_S5_S5_PS3_S5_PKi.num_vgpr, 58
	.set _ZN9rocsparseL19gtsv_LBM_rhs_kernelILj256ELj8ELj1E21rocsparse_complex_numIdEEEviiiPKT2_S5_S5_PS3_S5_PKi.num_agpr, 0
	.set _ZN9rocsparseL19gtsv_LBM_rhs_kernelILj256ELj8ELj1E21rocsparse_complex_numIdEEEviiiPKT2_S5_S5_PS3_S5_PKi.numbered_sgpr, 28
	.set _ZN9rocsparseL19gtsv_LBM_rhs_kernelILj256ELj8ELj1E21rocsparse_complex_numIdEEEviiiPKT2_S5_S5_PS3_S5_PKi.num_named_barrier, 0
	.set _ZN9rocsparseL19gtsv_LBM_rhs_kernelILj256ELj8ELj1E21rocsparse_complex_numIdEEEviiiPKT2_S5_S5_PS3_S5_PKi.private_seg_size, 0
	.set _ZN9rocsparseL19gtsv_LBM_rhs_kernelILj256ELj8ELj1E21rocsparse_complex_numIdEEEviiiPKT2_S5_S5_PS3_S5_PKi.uses_vcc, 1
	.set _ZN9rocsparseL19gtsv_LBM_rhs_kernelILj256ELj8ELj1E21rocsparse_complex_numIdEEEviiiPKT2_S5_S5_PS3_S5_PKi.uses_flat_scratch, 0
	.set _ZN9rocsparseL19gtsv_LBM_rhs_kernelILj256ELj8ELj1E21rocsparse_complex_numIdEEEviiiPKT2_S5_S5_PS3_S5_PKi.has_dyn_sized_stack, 0
	.set _ZN9rocsparseL19gtsv_LBM_rhs_kernelILj256ELj8ELj1E21rocsparse_complex_numIdEEEviiiPKT2_S5_S5_PS3_S5_PKi.has_recursion, 0
	.set _ZN9rocsparseL19gtsv_LBM_rhs_kernelILj256ELj8ELj1E21rocsparse_complex_numIdEEEviiiPKT2_S5_S5_PS3_S5_PKi.has_indirect_call, 0
	.section	.AMDGPU.csdata,"",@progbits
; Kernel info:
; codeLenInByte = 2460
; TotalNumSgprs: 32
; NumVgprs: 58
; ScratchSize: 0
; MemoryBound: 1
; FloatMode: 240
; IeeeMode: 1
; LDSByteSize: 0 bytes/workgroup (compile time only)
; SGPRBlocks: 3
; VGPRBlocks: 14
; NumSGPRsForWavesPerEU: 32
; NumVGPRsForWavesPerEU: 58
; Occupancy: 4
; WaveLimiterHint : 0
; COMPUTE_PGM_RSRC2:SCRATCH_EN: 0
; COMPUTE_PGM_RSRC2:USER_SGPR: 6
; COMPUTE_PGM_RSRC2:TRAP_HANDLER: 0
; COMPUTE_PGM_RSRC2:TGID_X_EN: 1
; COMPUTE_PGM_RSRC2:TGID_Y_EN: 1
; COMPUTE_PGM_RSRC2:TGID_Z_EN: 0
; COMPUTE_PGM_RSRC2:TIDIG_COMP_CNT: 0
	.section	.text._ZN9rocsparseL29gtsv_spike_block_level_kernelILj256ELj8E21rocsparse_complex_numIdEEEviiiPT1_PKS3_S6_S4_S4_S4_S4_S4_,"axG",@progbits,_ZN9rocsparseL29gtsv_spike_block_level_kernelILj256ELj8E21rocsparse_complex_numIdEEEviiiPT1_PKS3_S6_S4_S4_S4_S4_S4_,comdat
	.globl	_ZN9rocsparseL29gtsv_spike_block_level_kernelILj256ELj8E21rocsparse_complex_numIdEEEviiiPT1_PKS3_S6_S4_S4_S4_S4_S4_ ; -- Begin function _ZN9rocsparseL29gtsv_spike_block_level_kernelILj256ELj8E21rocsparse_complex_numIdEEEviiiPT1_PKS3_S6_S4_S4_S4_S4_S4_
	.p2align	8
	.type	_ZN9rocsparseL29gtsv_spike_block_level_kernelILj256ELj8E21rocsparse_complex_numIdEEEviiiPT1_PKS3_S6_S4_S4_S4_S4_S4_,@function
_ZN9rocsparseL29gtsv_spike_block_level_kernelILj256ELj8E21rocsparse_complex_numIdEEEviiiPT1_PKS3_S6_S4_S4_S4_S4_S4_: ; @_ZN9rocsparseL29gtsv_spike_block_level_kernelILj256ELj8E21rocsparse_complex_numIdEEEviiiPT1_PKS3_S6_S4_S4_S4_S4_S4_
; %bb.0:
	s_load_dword s12, s[4:5], 0x0
	s_load_dwordx2 s[8:9], s[4:5], 0x18
	v_lshl_or_b32 v13, s6, 8, v0
	v_mov_b32_e32 v1, 0
	v_mov_b32_e32 v5, 0
	s_waitcnt lgkmcnt(0)
	s_lshr_b32 s20, s12, 3
	v_mov_b32_e32 v7, 0
	v_mov_b32_e32 v2, 0
	;; [unrolled: 1-line block ×4, first 2 shown]
	v_cmp_gt_i32_e64 s[0:1], s20, v13
	s_and_saveexec_b64 s[2:3], s[0:1]
	s_cbranch_execz .LBB302_2
; %bb.1:
	v_ashrrev_i32_e32 v14, 31, v13
	v_lshlrev_b64 v[3:4], 4, v[13:14]
	v_mov_b32_e32 v5, s9
	v_add_co_u32_e32 v3, vcc, s8, v3
	v_addc_co_u32_e32 v4, vcc, v5, v4, vcc
	global_load_dwordx4 v[5:8], v[3:4], off
.LBB302_2:
	s_or_b64 exec, exec, s[2:3]
	s_load_dwordx2 s[2:3], s[4:5], 0x20
	v_lshlrev_b32_e32 v15, 4, v0
	v_mov_b32_e32 v3, 0
	v_or_b32_e32 v16, 0x2000, v15
	v_mov_b32_e32 v4, 0
	s_waitcnt vmcnt(0)
	ds_write_b128 v15, v[5:8] offset:8192
	s_and_saveexec_b64 s[10:11], s[0:1]
	s_cbranch_execz .LBB302_4
; %bb.3:
	v_mad_u64_u32 v[1:2], s[14:15], s20, 7, v[13:14]
	v_mov_b32_e32 v2, 0
	v_mov_b32_e32 v3, s9
	v_lshlrev_b64 v[1:2], 4, v[1:2]
	v_add_co_u32_e32 v1, vcc, s8, v1
	v_addc_co_u32_e32 v2, vcc, v3, v2, vcc
	global_load_dwordx4 v[1:4], v[1:2], off
.LBB302_4:
	s_or_b64 exec, exec, s[10:11]
	v_mov_b32_e32 v5, 0
	v_mov_b32_e32 v9, 0
	;; [unrolled: 1-line block ×6, first 2 shown]
	s_waitcnt vmcnt(0)
	ds_write_b128 v16, v[1:4] offset:4096
	s_and_saveexec_b64 s[8:9], s[0:1]
	s_cbranch_execz .LBB302_6
; %bb.5:
	v_ashrrev_i32_e32 v14, 31, v13
	v_lshlrev_b64 v[1:2], 4, v[13:14]
	s_waitcnt lgkmcnt(0)
	v_mov_b32_e32 v3, s3
	v_add_co_u32_e32 v1, vcc, s2, v1
	v_addc_co_u32_e32 v2, vcc, v3, v2, vcc
	global_load_dwordx4 v[9:12], v[1:2], off
.LBB302_6:
	s_or_b64 exec, exec, s[8:9]
	s_load_dwordx2 s[16:17], s[4:5], 0x10
	v_mov_b32_e32 v7, 0
	v_mov_b32_e32 v8, 0
	s_waitcnt vmcnt(0)
	ds_write_b128 v15, v[9:12]
	s_and_saveexec_b64 s[8:9], s[0:1]
	s_cbranch_execz .LBB302_8
; %bb.7:
	v_mad_u64_u32 v[1:2], s[10:11], s20, 7, v[13:14]
	v_mov_b32_e32 v2, 0
	s_waitcnt lgkmcnt(0)
	v_mov_b32_e32 v3, s3
	v_lshlrev_b64 v[1:2], 4, v[1:2]
	v_add_co_u32_e32 v1, vcc, s2, v1
	v_addc_co_u32_e32 v2, vcc, v3, v2, vcc
	global_load_dwordx4 v[5:8], v[1:2], off
.LBB302_8:
	s_or_b64 exec, exec, s[8:9]
	s_waitcnt vmcnt(0)
	ds_write_b128 v15, v[5:8] offset:4096
	v_mov_b32_e32 v1, 0
	s_mul_i32 s22, s12, s7
	v_mov_b32_e32 v3, 0
	v_mov_b32_e32 v5, 0
	;; [unrolled: 1-line block ×5, first 2 shown]
	v_add_u32_e32 v7, s22, v13
	s_waitcnt lgkmcnt(0)
	s_and_saveexec_b64 s[2:3], s[0:1]
	s_cbranch_execz .LBB302_10
; %bb.9:
	v_ashrrev_i32_e32 v8, 31, v7
	v_lshlrev_b64 v[3:4], 4, v[7:8]
	v_mov_b32_e32 v5, s17
	v_add_co_u32_e32 v3, vcc, s16, v3
	v_addc_co_u32_e32 v4, vcc, v5, v4, vcc
	global_load_dwordx4 v[3:6], v[3:4], off
.LBB302_10:
	s_or_b64 exec, exec, s[2:3]
	s_load_dwordx2 s[2:3], s[4:5], 0x48
	s_load_dwordx8 s[8:15], s[4:5], 0x28
	s_waitcnt vmcnt(0)
	ds_write_b128 v15, v[3:6] offset:16384
	v_mov_b32_e32 v3, 0
	v_or_b32_e32 v9, 0x4000, v15
	v_mov_b32_e32 v4, 0
	s_mul_i32 s21, s20, 7
	s_and_saveexec_b64 s[18:19], s[0:1]
	s_cbranch_execz .LBB302_12
; %bb.11:
	s_mul_i32 s23, s20, 7
	s_add_i32 s23, s23, s22
	v_add_u32_e32 v1, s23, v13
	v_mov_b32_e32 v2, 0
	v_lshlrev_b64 v[1:2], 4, v[1:2]
	v_mov_b32_e32 v3, s17
	v_add_co_u32_e32 v1, vcc, s16, v1
	v_addc_co_u32_e32 v2, vcc, v3, v2, vcc
	global_load_dwordx4 v[1:4], v[1:2], off
.LBB302_12:
	s_or_b64 exec, exec, s[18:19]
	v_add_u32_e32 v8, 0x1000, v16
	v_or_b32_e32 v6, 0x1000, v15
	v_add_u32_e32 v5, 0x1000, v9
	s_mov_b32 s22, 2
	s_waitcnt vmcnt(0)
	ds_write_b128 v9, v[1:4] offset:4096
	s_waitcnt lgkmcnt(0)
	s_barrier
	s_branch .LBB302_14
.LBB302_13:                             ;   in Loop: Header=BB302_14 Depth=1
	s_or_b64 exec, exec, s[18:19]
	s_lshl_b32 s18, s22, 1
	s_cmpk_lt_u32 s22, 0x81
	s_mov_b32 s22, s18
	s_waitcnt lgkmcnt(0)
	s_barrier
	s_cbranch_scc0 .LBB302_16
.LBB302_14:                             ; =>This Inner Loop Header: Depth=1
	s_ff1_i32_b32 s18, s22
	s_lshr_b32 s18, 0x100, s18
	v_cmp_gt_u32_e32 vcc, s18, v0
	s_and_saveexec_b64 s[18:19], vcc
	s_cbranch_execz .LBB302_13
; %bb.15:                               ;   in Loop: Header=BB302_14 Depth=1
	v_mul_lo_u32 v12, s22, v0
	s_lshr_b32 s23, s22, 1
	v_add_u32_e32 v14, s23, v12
	v_lshlrev_b32_e32 v63, 4, v14
	ds_read_b128 v[1:4], v63 offset:8192
	ds_read_b128 v[17:20], v63 offset:4080
	ds_read_b128 v[21:24], v63
	ds_read_b128 v[25:28], v63 offset:12272
	v_add_lshl_u32 v14, v14, s23, 4
	v_lshlrev_b32_e32 v12, 4, v12
	s_waitcnt lgkmcnt(2)
	v_mul_f64 v[10:11], v[19:20], v[1:2]
	v_mul_f64 v[29:30], v[19:20], -v[3:4]
	s_waitcnt lgkmcnt(1)
	v_mul_f64 v[55:56], v[23:24], -v[19:20]
	v_mul_f64 v[57:58], v[17:18], v[23:24]
	s_waitcnt lgkmcnt(0)
	v_mul_f64 v[59:60], v[3:4], -v[27:28]
	v_fma_f64 v[10:11], v[3:4], v[17:18], v[10:11]
	v_fma_f64 v[29:30], v[1:2], v[17:18], v[29:30]
	v_add_f64 v[10:11], -v[10:11], 0
	v_add_f64 v[41:42], -v[29:30], 1.0
	v_mul_f64 v[29:30], v[10:11], v[10:11]
	v_fma_f64 v[61:62], v[41:42], 0, -v[10:11]
	v_fma_f64 v[10:11], v[10:11], 0, v[41:42]
	v_fma_f64 v[43:44], v[41:42], v[41:42], v[29:30]
	;; [unrolled: 1-line block ×3, first 2 shown]
	v_div_scale_f64 v[29:30], s[24:25], v[43:44], v[43:44], 1.0
	v_rcp_f64_e32 v[31:32], v[29:30]
	v_fma_f64 v[33:34], -v[29:30], v[31:32], 1.0
	v_fma_f64 v[31:32], v[31:32], v[33:34], v[31:32]
	v_div_scale_f64 v[33:34], vcc, 1.0, v[43:44], 1.0
	v_fma_f64 v[35:36], -v[29:30], v[31:32], 1.0
	v_fma_f64 v[31:32], v[31:32], v[35:36], v[31:32]
	v_mul_f64 v[35:36], v[33:34], v[31:32]
	v_fma_f64 v[29:30], -v[29:30], v[35:36], v[33:34]
	v_div_fmas_f64 v[45:46], v[29:30], v[31:32], v[35:36]
	ds_read_b128 v[29:32], v63 offset:16384
	ds_read_b128 v[33:36], v63 offset:20464
	;; [unrolled: 1-line block ×3, first 2 shown]
	s_waitcnt lgkmcnt(2)
	v_mul_f64 v[47:48], v[17:18], v[31:32]
	v_mul_f64 v[49:50], v[31:32], -v[19:20]
	s_waitcnt lgkmcnt(1)
	v_mul_f64 v[51:52], v[3:4], -v[35:36]
	v_mul_f64 v[53:54], v[3:4], v[33:34]
	v_mul_f64 v[3:4], v[3:4], v[25:26]
	v_fma_f64 v[47:48], v[19:20], v[29:30], v[47:48]
	v_fma_f64 v[19:20], v[19:20], v[21:22], v[57:58]
	;; [unrolled: 1-line block ×3, first 2 shown]
	v_div_fixup_f64 v[43:44], v[45:46], v[43:44], 1.0
	v_fma_f64 v[45:46], v[17:18], v[29:30], v[49:50]
	v_fma_f64 v[49:50], v[35:36], v[1:2], v[53:54]
	;; [unrolled: 1-line block ×3, first 2 shown]
	v_add_f64 v[17:18], v[35:36], -v[47:48]
	v_add_f64 v[47:48], v[29:30], -v[51:52]
	v_mul_f64 v[35:36], v[61:62], v[43:44]
	v_add_f64 v[33:34], v[33:34], -v[45:46]
	v_mul_f64 v[10:11], v[10:11], v[43:44]
	v_add_f64 v[45:46], v[31:32], -v[49:50]
	v_fma_f64 v[29:30], v[25:26], v[1:2], v[59:60]
	v_mul_f64 v[51:52], v[35:36], v[19:20]
	v_mul_f64 v[31:32], v[35:36], v[33:34]
	v_mul_f64 v[53:54], v[19:20], -v[10:11]
	v_mul_f64 v[19:20], v[35:36], v[3:4]
	v_mul_f64 v[55:56], v[3:4], -v[10:11]
	v_mul_f64 v[57:58], v[27:28], -v[35:36]
	v_mul_f64 v[27:28], v[10:11], v[27:28]
	v_mul_f64 v[1:2], v[35:36], -v[17:18]
	;; [unrolled: 3-line block ×3, first 2 shown]
	v_mul_f64 v[49:50], v[47:48], v[35:36]
	v_fma_f64 v[3:4], v[17:18], v[10:11], v[31:32]
	v_fma_f64 v[17:18], -v[10:11], v[29:30], v[19:20]
	v_fma_f64 v[19:20], -v[35:36], v[29:30], v[55:56]
	v_fma_f64 v[23:24], v[10:11], v[25:26], v[57:58]
	v_fma_f64 v[25:26], v[35:36], v[25:26], v[27:28]
	v_fma_f64 v[27:28], -v[10:11], v[41:42], v[51:52]
	v_fma_f64 v[29:30], -v[35:36], v[41:42], v[53:54]
	v_fma_f64 v[1:2], v[33:34], v[10:11], v[1:2]
	v_fma_f64 v[31:32], v[10:11], v[21:22], v[59:60]
	;; [unrolled: 1-line block ×5, first 2 shown]
	ds_write_b128 v63, v[17:20] offset:8192
	ds_write_b128 v63, v[23:26] offset:12272
	ds_read_b128 v[21:24], v12
	ds_read_b128 v[45:48], v12 offset:8192
	ds_write_b128 v63, v[27:30] offset:4080
	ds_write_b128 v63, v[31:34]
	ds_read_b128 v[25:28], v12
	ds_write_b128 v63, v[1:4] offset:20464
	ds_write_b128 v63, v[41:44] offset:16384
	s_waitcnt lgkmcnt(6)
	v_mul_f64 v[10:11], v[43:44], -v[23:24]
	v_mul_f64 v[29:30], v[43:44], v[21:22]
	ds_read_b128 v[1:4], v12 offset:16384
	s_waitcnt lgkmcnt(3)
	v_mul_f64 v[35:36], v[19:20], -v[27:28]
	v_mul_f64 v[19:20], v[19:20], v[25:26]
	v_mul_f64 v[43:44], v[33:34], v[27:28]
	v_mul_f64 v[33:34], v[33:34], -v[25:26]
	v_fma_f64 v[10:11], v[21:22], v[41:42], v[10:11]
	v_fma_f64 v[21:22], v[23:24], v[41:42], v[29:30]
	;; [unrolled: 1-line block ×4, first 2 shown]
	v_fma_f64 v[17:18], -v[25:26], v[31:32], v[43:44]
	v_fma_f64 v[19:20], -v[27:28], v[31:32], v[33:34]
	s_waitcnt lgkmcnt(0)
	v_add_f64 v[1:2], v[1:2], -v[10:11]
	v_add_f64 v[3:4], v[3:4], -v[21:22]
	ds_write_b128 v12, v[17:20]
	ds_write_b128 v12, v[1:4] offset:16384
	v_add_f64 v[21:22], v[45:46], -v[23:24]
	v_add_f64 v[23:24], v[47:48], -v[29:30]
	ds_read_b128 v[1:4], v63 offset:20464
	ds_read_b128 v[17:20], v63 offset:4080
	s_waitcnt lgkmcnt(1)
	v_mul_f64 v[10:11], v[3:4], -v[39:40]
	v_mul_f64 v[3:4], v[3:4], v[37:38]
	ds_write_b128 v12, v[21:24] offset:8192
	ds_read_b128 v[21:24], v14 offset:12272
	ds_read_b128 v[25:28], v14 offset:4080
	ds_read_b128 v[29:32], v63 offset:12272
	ds_read_b128 v[33:36], v14 offset:20464
	s_waitcnt lgkmcnt(3)
	v_mul_f64 v[41:42], v[23:24], -v[19:20]
	v_mul_f64 v[43:44], v[23:24], v[17:18]
	v_fma_f64 v[10:11], v[37:38], v[1:2], v[10:11]
	v_fma_f64 v[3:4], v[39:40], v[1:2], v[3:4]
	s_waitcnt lgkmcnt(1)
	v_mul_f64 v[45:46], v[23:24], v[31:32]
	v_mul_f64 v[31:32], v[31:32], -v[21:22]
	v_fma_f64 v[37:38], v[17:18], v[21:22], v[41:42]
	v_fma_f64 v[39:40], v[19:20], v[21:22], v[43:44]
	s_waitcnt lgkmcnt(0)
	v_add_f64 v[17:18], v[33:34], -v[10:11]
	v_add_f64 v[19:20], v[35:36], -v[3:4]
	v_fma_f64 v[1:2], -v[21:22], v[29:30], v[45:46]
	v_fma_f64 v[3:4], -v[23:24], v[29:30], v[31:32]
	v_add_f64 v[25:26], v[25:26], -v[37:38]
	v_add_f64 v[27:28], v[27:28], -v[39:40]
	ds_write_b128 v14, v[17:20] offset:20464
	ds_write_b128 v14, v[25:28] offset:4080
	;; [unrolled: 1-line block ×3, first 2 shown]
	s_branch .LBB302_13
.LBB302_16:
	s_and_saveexec_b64 s[18:19], s[0:1]
	s_cbranch_execnz .LBB302_19
; %bb.17:
	s_or_b64 exec, exec, s[18:19]
	v_cmp_eq_u32_e32 vcc, 0, v0
	s_and_saveexec_b64 s[0:1], vcc
	s_cbranch_execnz .LBB302_23
.LBB302_18:
	s_endpgm
.LBB302_19:
	s_cmp_eq_u32 s7, 0
	s_cbranch_scc1 .LBB302_27
; %bb.20:
	s_mul_i32 s20, s20, 7
	s_cbranch_execnz .LBB302_22
.LBB302_21:
	v_ashrrev_i32_e32 v14, 31, v13
	ds_read2_b64 v[1:4], v16 offset1:1
	v_lshlrev_b64 v[10:11], 4, v[13:14]
	v_mov_b32_e32 v12, s9
	v_add_co_u32_e32 v20, vcc, s8, v10
	v_addc_co_u32_e32 v21, vcc, v12, v11, vcc
	ds_read2_b64 v[16:19], v8 offset1:1
	s_waitcnt lgkmcnt(1)
	global_store_dwordx4 v[20:21], v[1:4], off
	v_mov_b32_e32 v8, s11
	v_add_u32_e32 v1, s21, v13
	v_mov_b32_e32 v2, 0
	v_lshlrev_b64 v[20:21], 4, v[1:2]
	v_mov_b32_e32 v2, s9
	v_add_co_u32_e32 v1, vcc, s8, v20
	v_addc_co_u32_e32 v2, vcc, v2, v21, vcc
	s_waitcnt lgkmcnt(0)
	global_store_dwordx4 v[1:2], v[16:19], off
	ds_read2_b64 v[1:4], v15 offset1:1
	v_add_co_u32_e32 v14, vcc, s10, v10
	v_addc_co_u32_e32 v15, vcc, v8, v11, vcc
	ds_read2_b64 v[10:13], v6 offset1:1
	s_waitcnt lgkmcnt(1)
	global_store_dwordx4 v[14:15], v[1:4], off
	s_mov_b32 s20, s21
	v_mov_b32_e32 v2, s11
	v_add_co_u32_e32 v1, vcc, s10, v20
	v_addc_co_u32_e32 v2, vcc, v2, v21, vcc
	s_waitcnt lgkmcnt(0)
	global_store_dwordx4 v[1:2], v[10:13], off
.LBB302_22:
	v_ashrrev_i32_e32 v8, 31, v7
	ds_read2_b64 v[1:4], v9 offset1:1
	v_lshlrev_b64 v[10:11], 4, v[7:8]
	v_mov_b32_e32 v6, s17
	v_add_co_u32_e32 v12, vcc, s16, v10
	v_addc_co_u32_e32 v13, vcc, v6, v11, vcc
	ds_read2_b64 v[8:11], v5 offset1:1
	s_waitcnt lgkmcnt(1)
	global_store_dwordx4 v[12:13], v[1:4], off
	s_nop 0
	v_add_u32_e32 v1, s20, v7
	v_mov_b32_e32 v2, 0
	v_lshlrev_b64 v[1:2], 4, v[1:2]
	v_mov_b32_e32 v3, s17
	v_add_co_u32_e32 v1, vcc, s16, v1
	v_addc_co_u32_e32 v2, vcc, v3, v2, vcc
	s_waitcnt lgkmcnt(0)
	global_store_dwordx4 v[1:2], v[8:11], off
	s_or_b64 exec, exec, s[18:19]
	v_cmp_eq_u32_e32 vcc, 0, v0
	s_and_saveexec_b64 s[0:1], vcc
	s_cbranch_execz .LBB302_18
.LBB302_23:
	s_cmp_eq_u32 s7, 0
	s_cbranch_scc1 .LBB302_28
; %bb.24:
	s_load_dword s8, s[4:5], 0x50
	s_cbranch_execnz .LBB302_26
.LBB302_25:
	v_mov_b32_e32 v8, 0
	ds_read_b128 v[0:3], v8 offset:8192
	ds_read_b128 v[4:7], v8 offset:16368
	s_waitcnt lgkmcnt(0)
	s_load_dword s8, s[4:5], 0x50
	s_mov_b32 s0, s7
	s_ashr_i32 s7, s6, 31
	s_lshl_b64 s[10:11], s[6:7], 4
	s_mov_b32 s7, s0
	s_add_u32 s0, s14, s10
	s_addc_u32 s1, s15, s11
	global_store_dwordx4 v8, v[0:3], s[0:1]
	s_waitcnt lgkmcnt(0)
	s_add_i32 s0, s8, s6
	s_mov_b32 s1, 0
	s_lshl_b64 s[0:1], s[0:1], 4
	s_add_u32 s4, s14, s0
	s_addc_u32 s5, s15, s1
	ds_read_b128 v[0:3], v8
	global_store_dwordx4 v8, v[4:7], s[4:5]
	ds_read_b128 v[4:7], v8 offset:8176
	s_add_u32 s4, s2, s10
	s_addc_u32 s5, s3, s11
	s_add_u32 s0, s2, s0
	s_addc_u32 s1, s3, s1
	s_waitcnt lgkmcnt(1)
	global_store_dwordx4 v8, v[0:3], s[4:5]
	s_waitcnt lgkmcnt(0)
	global_store_dwordx4 v8, v[4:7], s[0:1]
.LBB302_26:
	s_waitcnt lgkmcnt(0)
	s_mul_i32 s0, s8, s7
	s_lshl_b32 s0, s0, 1
	s_add_i32 s0, s0, s6
	s_mov_b32 s1, 0
	v_mov_b32_e32 v8, 0
	s_lshl_b64 s[2:3], s[0:1], 4
	ds_read_b128 v[0:3], v8 offset:16384
	ds_read_b128 v[4:7], v8 offset:24560
	s_add_u32 s2, s12, s2
	s_addc_u32 s3, s13, s3
	s_add_i32 s0, s0, s8
	s_lshl_b64 s[0:1], s[0:1], 4
	s_add_u32 s0, s12, s0
	s_addc_u32 s1, s13, s1
	s_waitcnt lgkmcnt(1)
	global_store_dwordx4 v8, v[0:3], s[2:3]
	s_waitcnt lgkmcnt(0)
	global_store_dwordx4 v8, v[4:7], s[0:1]
	s_endpgm
.LBB302_27:
                                        ; implicit-def: $sgpr20
	s_branch .LBB302_21
.LBB302_28:
                                        ; implicit-def: $sgpr8
	s_branch .LBB302_25
	.section	.rodata,"a",@progbits
	.p2align	6, 0x0
	.amdhsa_kernel _ZN9rocsparseL29gtsv_spike_block_level_kernelILj256ELj8E21rocsparse_complex_numIdEEEviiiPT1_PKS3_S6_S4_S4_S4_S4_S4_
		.amdhsa_group_segment_fixed_size 24576
		.amdhsa_private_segment_fixed_size 0
		.amdhsa_kernarg_size 336
		.amdhsa_user_sgpr_count 6
		.amdhsa_user_sgpr_private_segment_buffer 1
		.amdhsa_user_sgpr_dispatch_ptr 0
		.amdhsa_user_sgpr_queue_ptr 0
		.amdhsa_user_sgpr_kernarg_segment_ptr 1
		.amdhsa_user_sgpr_dispatch_id 0
		.amdhsa_user_sgpr_flat_scratch_init 0
		.amdhsa_user_sgpr_private_segment_size 0
		.amdhsa_uses_dynamic_stack 0
		.amdhsa_system_sgpr_private_segment_wavefront_offset 0
		.amdhsa_system_sgpr_workgroup_id_x 1
		.amdhsa_system_sgpr_workgroup_id_y 1
		.amdhsa_system_sgpr_workgroup_id_z 0
		.amdhsa_system_sgpr_workgroup_info 0
		.amdhsa_system_vgpr_workitem_id 0
		.amdhsa_next_free_vgpr 85
		.amdhsa_next_free_sgpr 98
		.amdhsa_reserve_vcc 1
		.amdhsa_reserve_flat_scratch 0
		.amdhsa_float_round_mode_32 0
		.amdhsa_float_round_mode_16_64 0
		.amdhsa_float_denorm_mode_32 3
		.amdhsa_float_denorm_mode_16_64 3
		.amdhsa_dx10_clamp 1
		.amdhsa_ieee_mode 1
		.amdhsa_fp16_overflow 0
		.amdhsa_exception_fp_ieee_invalid_op 0
		.amdhsa_exception_fp_denorm_src 0
		.amdhsa_exception_fp_ieee_div_zero 0
		.amdhsa_exception_fp_ieee_overflow 0
		.amdhsa_exception_fp_ieee_underflow 0
		.amdhsa_exception_fp_ieee_inexact 0
		.amdhsa_exception_int_div_zero 0
	.end_amdhsa_kernel
	.section	.text._ZN9rocsparseL29gtsv_spike_block_level_kernelILj256ELj8E21rocsparse_complex_numIdEEEviiiPT1_PKS3_S6_S4_S4_S4_S4_S4_,"axG",@progbits,_ZN9rocsparseL29gtsv_spike_block_level_kernelILj256ELj8E21rocsparse_complex_numIdEEEviiiPT1_PKS3_S6_S4_S4_S4_S4_S4_,comdat
.Lfunc_end302:
	.size	_ZN9rocsparseL29gtsv_spike_block_level_kernelILj256ELj8E21rocsparse_complex_numIdEEEviiiPT1_PKS3_S6_S4_S4_S4_S4_S4_, .Lfunc_end302-_ZN9rocsparseL29gtsv_spike_block_level_kernelILj256ELj8E21rocsparse_complex_numIdEEEviiiPT1_PKS3_S6_S4_S4_S4_S4_S4_
                                        ; -- End function
	.set _ZN9rocsparseL29gtsv_spike_block_level_kernelILj256ELj8E21rocsparse_complex_numIdEEEviiiPT1_PKS3_S6_S4_S4_S4_S4_S4_.num_vgpr, 64
	.set _ZN9rocsparseL29gtsv_spike_block_level_kernelILj256ELj8E21rocsparse_complex_numIdEEEviiiPT1_PKS3_S6_S4_S4_S4_S4_S4_.num_agpr, 0
	.set _ZN9rocsparseL29gtsv_spike_block_level_kernelILj256ELj8E21rocsparse_complex_numIdEEEviiiPT1_PKS3_S6_S4_S4_S4_S4_S4_.numbered_sgpr, 26
	.set _ZN9rocsparseL29gtsv_spike_block_level_kernelILj256ELj8E21rocsparse_complex_numIdEEEviiiPT1_PKS3_S6_S4_S4_S4_S4_S4_.num_named_barrier, 0
	.set _ZN9rocsparseL29gtsv_spike_block_level_kernelILj256ELj8E21rocsparse_complex_numIdEEEviiiPT1_PKS3_S6_S4_S4_S4_S4_S4_.private_seg_size, 0
	.set _ZN9rocsparseL29gtsv_spike_block_level_kernelILj256ELj8E21rocsparse_complex_numIdEEEviiiPT1_PKS3_S6_S4_S4_S4_S4_S4_.uses_vcc, 1
	.set _ZN9rocsparseL29gtsv_spike_block_level_kernelILj256ELj8E21rocsparse_complex_numIdEEEviiiPT1_PKS3_S6_S4_S4_S4_S4_S4_.uses_flat_scratch, 0
	.set _ZN9rocsparseL29gtsv_spike_block_level_kernelILj256ELj8E21rocsparse_complex_numIdEEEviiiPT1_PKS3_S6_S4_S4_S4_S4_S4_.has_dyn_sized_stack, 0
	.set _ZN9rocsparseL29gtsv_spike_block_level_kernelILj256ELj8E21rocsparse_complex_numIdEEEviiiPT1_PKS3_S6_S4_S4_S4_S4_S4_.has_recursion, 0
	.set _ZN9rocsparseL29gtsv_spike_block_level_kernelILj256ELj8E21rocsparse_complex_numIdEEEviiiPT1_PKS3_S6_S4_S4_S4_S4_S4_.has_indirect_call, 0
	.section	.AMDGPU.csdata,"",@progbits
; Kernel info:
; codeLenInByte = 2364
; TotalNumSgprs: 30
; NumVgprs: 64
; ScratchSize: 0
; MemoryBound: 1
; FloatMode: 240
; IeeeMode: 1
; LDSByteSize: 24576 bytes/workgroup (compile time only)
; SGPRBlocks: 12
; VGPRBlocks: 21
; NumSGPRsForWavesPerEU: 102
; NumVGPRsForWavesPerEU: 85
; Occupancy: 2
; WaveLimiterHint : 0
; COMPUTE_PGM_RSRC2:SCRATCH_EN: 0
; COMPUTE_PGM_RSRC2:USER_SGPR: 6
; COMPUTE_PGM_RSRC2:TRAP_HANDLER: 0
; COMPUTE_PGM_RSRC2:TGID_X_EN: 1
; COMPUTE_PGM_RSRC2:TGID_Y_EN: 1
; COMPUTE_PGM_RSRC2:TGID_Z_EN: 0
; COMPUTE_PGM_RSRC2:TIDIG_COMP_CNT: 0
	.section	.text._ZN9rocsparseL33gtsv_solve_spike_propagate_kernelILj256ELj8E21rocsparse_complex_numIdEEEviiiPT1_PKS3_S6_S6_,"axG",@progbits,_ZN9rocsparseL33gtsv_solve_spike_propagate_kernelILj256ELj8E21rocsparse_complex_numIdEEEviiiPT1_PKS3_S6_S6_,comdat
	.globl	_ZN9rocsparseL33gtsv_solve_spike_propagate_kernelILj256ELj8E21rocsparse_complex_numIdEEEviiiPT1_PKS3_S6_S6_ ; -- Begin function _ZN9rocsparseL33gtsv_solve_spike_propagate_kernelILj256ELj8E21rocsparse_complex_numIdEEEviiiPT1_PKS3_S6_S6_
	.p2align	8
	.type	_ZN9rocsparseL33gtsv_solve_spike_propagate_kernelILj256ELj8E21rocsparse_complex_numIdEEEviiiPT1_PKS3_S6_S6_,@function
_ZN9rocsparseL33gtsv_solve_spike_propagate_kernelILj256ELj8E21rocsparse_complex_numIdEEEviiiPT1_PKS3_S6_S6_: ; @_ZN9rocsparseL33gtsv_solve_spike_propagate_kernelILj256ELj8E21rocsparse_complex_numIdEEEviiiPT1_PKS3_S6_S6_
; %bb.0:
	s_load_dword s10, s[4:5], 0x0
	v_lshl_or_b32 v9, s6, 8, v0
	v_lshlrev_b32_e32 v11, 4, v0
	s_waitcnt lgkmcnt(0)
	s_lshr_b32 s20, s10, 3
	v_cmp_gt_i32_e32 vcc, s20, v9
	v_cmp_le_i32_e64 s[0:1], s20, v9
	s_and_saveexec_b64 s[2:3], s[0:1]
	s_xor_b64 s[2:3], exec, s[2:3]
; %bb.1:
	v_mov_b32_e32 v1, 0
	v_mov_b32_e32 v2, v1
	v_mov_b32_e32 v3, v1
	v_mov_b32_e32 v4, v1
	ds_write_b128 v11, v[1:4] offset:16416
; %bb.2:
	s_or_saveexec_b64 s[8:9], s[2:3]
	v_mov_b32_e32 v1, 0
	v_mov_b32_e32 v3, 0
	;; [unrolled: 1-line block ×4, first 2 shown]
	v_ashrrev_i32_e32 v10, 31, v9
	s_xor_b64 exec, exec, s[8:9]
	s_cbranch_execz .LBB303_4
; %bb.3:
	s_load_dwordx2 s[12:13], s[4:5], 0x18
	v_lshlrev_b64 v[1:2], 4, v[9:10]
	v_mad_u64_u32 v[3:4], s[2:3], s20, 7, v[9:10]
	s_waitcnt lgkmcnt(0)
	v_mov_b32_e32 v4, s13
	v_add_co_u32_e64 v12, s[2:3], s12, v1
	v_addc_co_u32_e64 v13, s[2:3], v4, v2, s[2:3]
	v_mov_b32_e32 v4, 0
	v_lshlrev_b64 v[1:2], 4, v[3:4]
	v_mov_b32_e32 v3, s13
	v_add_co_u32_e64 v14, s[2:3], s12, v1
	v_addc_co_u32_e64 v15, s[2:3], v3, v2, s[2:3]
	global_load_dwordx4 v[5:8], v[12:13], off
	global_load_dwordx4 v[1:4], v[14:15], off
	s_waitcnt vmcnt(1)
	ds_write_b128 v11, v[5:8] offset:16416
.LBB303_4:
	s_or_b64 exec, exec, s[8:9]
	s_waitcnt vmcnt(0)
	ds_write_b128 v11, v[1:4] offset:20512
	s_and_saveexec_b64 s[2:3], s[0:1]
	s_xor_b64 s[0:1], exec, s[2:3]
; %bb.5:
	v_mov_b32_e32 v1, 0
	v_mov_b32_e32 v2, v1
	;; [unrolled: 1-line block ×4, first 2 shown]
	ds_write_b128 v11, v[1:4] offset:8224
; %bb.6:
	s_or_saveexec_b64 s[8:9], s[0:1]
	s_load_dwordx2 s[2:3], s[4:5], 0x10
	v_mov_b32_e32 v3, 0
	v_mov_b32_e32 v5, 0
	;; [unrolled: 1-line block ×6, first 2 shown]
	s_xor_b64 exec, exec, s[8:9]
	s_cbranch_execz .LBB303_8
; %bb.7:
	s_load_dwordx2 s[12:13], s[4:5], 0x20
	v_lshlrev_b64 v[1:2], 4, v[9:10]
	v_mad_u64_u32 v[5:6], s[0:1], s20, 7, v[9:10]
	s_waitcnt lgkmcnt(0)
	v_mov_b32_e32 v6, s13
	v_add_co_u32_e64 v1, s[0:1], s12, v1
	v_addc_co_u32_e64 v2, s[0:1], v6, v2, s[0:1]
	v_mov_b32_e32 v6, 0
	v_lshlrev_b64 v[5:6], 4, v[5:6]
	v_mov_b32_e32 v7, s13
	v_add_co_u32_e64 v16, s[0:1], s12, v5
	v_addc_co_u32_e64 v17, s[0:1], v7, v6, s[0:1]
	global_load_dwordx4 v[12:15], v[1:2], off
	global_load_dwordx4 v[5:8], v[16:17], off
	s_waitcnt vmcnt(1)
	ds_write_b128 v11, v[12:15] offset:8224
.LBB303_8:
	s_or_b64 exec, exec, s[8:9]
	v_mov_b32_e32 v1, 0
	v_mov_b32_e32 v2, 0
	s_mul_i32 s10, s10, s7
	s_waitcnt vmcnt(0)
	ds_write_b128 v11, v[5:8] offset:12320
	s_and_saveexec_b64 s[8:9], vcc
	s_cbranch_execz .LBB303_10
; %bb.9:
	s_mul_i32 s0, s20, 7
	s_add_i32 s0, s0, s10
	v_add_u32_e32 v1, s0, v9
	v_mov_b32_e32 v2, 0
	v_lshlrev_b64 v[1:2], 4, v[1:2]
	s_waitcnt lgkmcnt(0)
	v_mov_b32_e32 v3, s3
	v_add_co_u32_e64 v1, s[0:1], s2, v1
	v_addc_co_u32_e64 v2, s[0:1], v3, v2, s[0:1]
	global_load_dwordx4 v[1:4], v[1:2], off
.LBB303_10:
	s_or_b64 exec, exec, s[8:9]
	s_waitcnt vmcnt(0)
	ds_write_b128 v11, v[1:4] offset:16
	v_mov_b32_e32 v3, 0
	v_mov_b32_e32 v1, 0
	;; [unrolled: 1-line block ×4, first 2 shown]
	v_add_u32_e32 v5, s10, v9
	s_and_saveexec_b64 s[8:9], vcc
	s_cbranch_execz .LBB303_12
; %bb.11:
	v_ashrrev_i32_e32 v6, 31, v5
	v_lshlrev_b64 v[1:2], 4, v[5:6]
	s_waitcnt lgkmcnt(0)
	v_mov_b32_e32 v3, s3
	v_add_co_u32_e64 v1, s[0:1], s2, v1
	v_addc_co_u32_e64 v2, s[0:1], v3, v2, s[0:1]
	global_load_dwordx4 v[1:4], v[1:2], off
.LBB303_12:
	s_or_b64 exec, exec, s[8:9]
	v_cmp_eq_u32_e64 s[0:1], 0, v0
	s_waitcnt vmcnt(0)
	ds_write_b128 v11, v[1:4] offset:4112
	s_waitcnt lgkmcnt(0)
	s_barrier
	s_and_saveexec_b64 s[16:17], s[0:1]
	s_cbranch_execz .LBB303_18
; %bb.13:
	s_load_dword s21, s[4:5], 0x30
	s_load_dwordx2 s[18:19], s[4:5], 0x28
	s_cmp_lt_i32 s6, 1
	s_mov_b64 s[10:11], 0
	s_mov_b64 s[14:15], 0
	s_waitcnt lgkmcnt(0)
	s_mul_i32 s7, s7, s21
	s_mov_b64 s[12:13], 0
	s_cbranch_scc1 .LBB303_15
; %bb.14:
	s_lshl_b32 s4, s7, 1
	s_add_i32 s5, s6, s21
	s_add_i32 s4, s5, s4
	s_add_i32 s4, s4, -1
	s_mov_b32 s5, 0
	s_lshl_b64 s[4:5], s[4:5], 4
	s_add_u32 s4, s18, s4
	s_addc_u32 s5, s19, s5
	s_load_dwordx4 s[12:15], s[4:5], 0x0
.LBB303_15:
	s_add_i32 s4, s21, -1
	s_waitcnt lgkmcnt(0)
	v_mov_b32_e32 v6, s12
	v_mov_b32_e32 v7, s13
	;; [unrolled: 1-line block ×5, first 2 shown]
	s_cmp_ge_u32 s6, s4
	s_mov_b64 s[8:9], 0
	ds_write_b128 v1, v[6:9]
	s_cbranch_scc1 .LBB303_17
; %bb.16:
	s_lshl_b32 s4, s7, 1
	s_add_i32 s4, s6, s4
	s_add_i32 s4, s4, 1
	s_mov_b32 s5, 0
	s_lshl_b64 s[4:5], s[4:5], 4
	s_add_u32 s4, s18, s4
	s_addc_u32 s5, s19, s5
	s_load_dwordx4 s[8:11], s[4:5], 0x0
.LBB303_17:
	s_lshl_b32 s4, s7, 1
	s_add_i32 s4, s4, s6
	s_mov_b32 s5, 0
	s_lshl_b64 s[6:7], s[4:5], 4
	s_add_u32 s6, s18, s6
	s_addc_u32 s7, s19, s7
	s_add_i32 s4, s4, s21
	s_lshl_b64 s[4:5], s[4:5], 4
	s_add_u32 s4, s18, s4
	s_addc_u32 s5, s19, s5
	global_load_dwordx4 v[6:9], v1, s[6:7]
	global_load_dwordx4 v[12:15], v1, s[4:5]
	s_waitcnt lgkmcnt(0)
	v_mov_b32_e32 v16, s8
	v_mov_b32_e32 v17, s9
	;; [unrolled: 1-line block ×4, first 2 shown]
	ds_write_b128 v1, v[16:19] offset:8208
	s_waitcnt vmcnt(1)
	ds_write_b128 v1, v[6:9] offset:4112
	s_waitcnt vmcnt(0)
	ds_write_b128 v1, v[12:15] offset:4096
.LBB303_18:
	s_or_b64 exec, exec, s[16:17]
	v_add_u32_e32 v1, 16, v11
	v_add_u32_e32 v2, 0x1010, v11
	s_waitcnt lgkmcnt(0)
	s_barrier
	s_and_saveexec_b64 s[4:5], s[0:1]
	s_cbranch_execz .LBB303_20
; %bb.19:
	v_mov_b32_e32 v42, 0
	ds_read_b128 v[6:9], v42 offset:8208
	ds_read_b128 v[10:13], v42 offset:14352
	;; [unrolled: 1-line block ×5, first 2 shown]
	ds_read_b128 v[26:29], v42
	ds_read_b128 v[30:33], v42 offset:22544
	ds_read_b128 v[34:37], v42 offset:18464
	s_waitcnt lgkmcnt(6)
	v_mul_f64 v[3:4], v[8:9], -v[12:13]
	v_mul_f64 v[38:39], v[8:9], v[10:11]
	s_waitcnt lgkmcnt(5)
	v_mul_f64 v[40:41], v[8:9], -v[16:17]
	v_mul_f64 v[8:9], v[8:9], v[14:15]
	v_fma_f64 v[3:4], v[10:11], v[6:7], v[3:4]
	v_fma_f64 v[10:11], v[12:13], v[6:7], v[38:39]
	s_waitcnt lgkmcnt(1)
	v_mul_f64 v[12:13], v[28:29], -v[32:33]
	v_mul_f64 v[38:39], v[28:29], v[30:31]
	v_fma_f64 v[14:15], v[14:15], v[6:7], v[40:41]
	s_waitcnt lgkmcnt(0)
	v_mul_f64 v[40:41], v[28:29], -v[36:37]
	v_mul_f64 v[28:29], v[28:29], v[34:35]
	v_fma_f64 v[6:7], v[16:17], v[6:7], v[8:9]
	v_add_f64 v[3:4], v[22:23], -v[3:4]
	v_add_f64 v[8:9], v[24:25], -v[10:11]
	v_fma_f64 v[10:11], v[30:31], v[26:27], v[12:13]
	v_fma_f64 v[12:13], v[32:33], v[26:27], v[38:39]
	v_add_f64 v[14:15], v[18:19], -v[14:15]
	v_fma_f64 v[16:17], v[34:35], v[26:27], v[40:41]
	v_fma_f64 v[18:19], v[36:37], v[26:27], v[28:29]
	v_add_f64 v[20:21], v[20:21], -v[6:7]
	v_add_f64 v[6:7], v[3:4], -v[10:11]
	;; [unrolled: 1-line block ×5, first 2 shown]
	ds_write_b128 v42, v[6:9] offset:2048
	ds_write_b128 v42, v[10:13] offset:6160
.LBB303_20:
	s_or_b64 exec, exec, s[4:5]
	v_cmp_gt_u32_e64 s[0:1], 2, v0
	s_waitcnt lgkmcnt(0)
	s_barrier
	s_and_saveexec_b64 s[4:5], s[0:1]
	s_cbranch_execz .LBB303_22
; %bb.21:
	v_lshlrev_b32_e32 v42, 11, v0
	ds_read_b128 v[6:9], v42 offset:6160
	ds_read_b128 v[10:13], v42 offset:13328
	ds_read_b128 v[14:17], v42 offset:9248
	ds_read_b128 v[18:21], v42 offset:5136
	ds_read_b128 v[22:25], v42 offset:1024
	ds_read_b128 v[26:29], v42
	ds_read_b128 v[30:33], v42 offset:21520
	ds_read_b128 v[34:37], v42 offset:17440
	s_waitcnt lgkmcnt(6)
	v_mul_f64 v[3:4], v[8:9], -v[12:13]
	v_mul_f64 v[38:39], v[8:9], v[10:11]
	s_waitcnt lgkmcnt(5)
	v_mul_f64 v[40:41], v[8:9], -v[16:17]
	v_mul_f64 v[8:9], v[8:9], v[14:15]
	v_fma_f64 v[3:4], v[10:11], v[6:7], v[3:4]
	v_fma_f64 v[10:11], v[12:13], v[6:7], v[38:39]
	s_waitcnt lgkmcnt(1)
	v_mul_f64 v[12:13], v[28:29], -v[32:33]
	v_mul_f64 v[38:39], v[28:29], v[30:31]
	v_fma_f64 v[14:15], v[14:15], v[6:7], v[40:41]
	s_waitcnt lgkmcnt(0)
	v_mul_f64 v[40:41], v[28:29], -v[36:37]
	v_mul_f64 v[28:29], v[28:29], v[34:35]
	v_fma_f64 v[6:7], v[16:17], v[6:7], v[8:9]
	v_add_f64 v[3:4], v[22:23], -v[3:4]
	v_add_f64 v[8:9], v[24:25], -v[10:11]
	v_fma_f64 v[10:11], v[30:31], v[26:27], v[12:13]
	v_fma_f64 v[12:13], v[32:33], v[26:27], v[38:39]
	v_add_f64 v[14:15], v[18:19], -v[14:15]
	v_fma_f64 v[16:17], v[34:35], v[26:27], v[40:41]
	v_fma_f64 v[18:19], v[36:37], v[26:27], v[28:29]
	v_add_f64 v[20:21], v[20:21], -v[6:7]
	v_add_f64 v[6:7], v[3:4], -v[10:11]
	v_add_f64 v[8:9], v[8:9], -v[12:13]
	v_add_f64 v[10:11], v[14:15], -v[16:17]
	v_add_f64 v[12:13], v[20:21], -v[18:19]
	ds_write_b128 v42, v[6:9] offset:1024
	ds_write_b128 v42, v[10:13] offset:5136
.LBB303_22:
	s_or_b64 exec, exec, s[4:5]
	v_cmp_gt_u32_e64 s[0:1], 4, v0
	s_waitcnt lgkmcnt(0)
	s_barrier
	s_and_saveexec_b64 s[4:5], s[0:1]
	s_cbranch_execz .LBB303_24
; %bb.23:
	v_lshlrev_b32_e32 v42, 10, v0
	ds_read_b128 v[6:9], v42 offset:5136
	ds_read_b128 v[10:13], v42 offset:12816
	ds_read_b128 v[14:17], v42 offset:8736
	ds_read_b128 v[18:21], v42 offset:4624
	ds_read_b128 v[22:25], v42 offset:512
	ds_read_b128 v[26:29], v42
	ds_read_b128 v[30:33], v42 offset:21008
	ds_read_b128 v[34:37], v42 offset:16928
	s_waitcnt lgkmcnt(6)
	v_mul_f64 v[3:4], v[8:9], -v[12:13]
	v_mul_f64 v[38:39], v[8:9], v[10:11]
	s_waitcnt lgkmcnt(5)
	v_mul_f64 v[40:41], v[8:9], -v[16:17]
	v_mul_f64 v[8:9], v[8:9], v[14:15]
	v_fma_f64 v[3:4], v[10:11], v[6:7], v[3:4]
	v_fma_f64 v[10:11], v[12:13], v[6:7], v[38:39]
	s_waitcnt lgkmcnt(1)
	v_mul_f64 v[12:13], v[28:29], -v[32:33]
	v_mul_f64 v[38:39], v[28:29], v[30:31]
	v_fma_f64 v[14:15], v[14:15], v[6:7], v[40:41]
	s_waitcnt lgkmcnt(0)
	v_mul_f64 v[40:41], v[28:29], -v[36:37]
	v_mul_f64 v[28:29], v[28:29], v[34:35]
	v_fma_f64 v[6:7], v[16:17], v[6:7], v[8:9]
	v_add_f64 v[3:4], v[22:23], -v[3:4]
	v_add_f64 v[8:9], v[24:25], -v[10:11]
	v_fma_f64 v[10:11], v[30:31], v[26:27], v[12:13]
	v_fma_f64 v[12:13], v[32:33], v[26:27], v[38:39]
	v_add_f64 v[14:15], v[18:19], -v[14:15]
	v_fma_f64 v[16:17], v[34:35], v[26:27], v[40:41]
	v_fma_f64 v[18:19], v[36:37], v[26:27], v[28:29]
	v_add_f64 v[20:21], v[20:21], -v[6:7]
	v_add_f64 v[6:7], v[3:4], -v[10:11]
	v_add_f64 v[8:9], v[8:9], -v[12:13]
	v_add_f64 v[10:11], v[14:15], -v[16:17]
	v_add_f64 v[12:13], v[20:21], -v[18:19]
	ds_write_b128 v42, v[6:9] offset:512
	ds_write_b128 v42, v[10:13] offset:4624
.LBB303_24:
	;; [unrolled: 47-line block ×5, first 2 shown]
	s_or_b64 exec, exec, s[4:5]
	v_cmp_gt_u32_e64 s[0:1], 64, v0
	s_waitcnt lgkmcnt(0)
	s_barrier
	s_and_saveexec_b64 s[4:5], s[0:1]
	s_cbranch_execz .LBB303_32
; %bb.31:
	v_lshlrev_b32_e32 v42, 6, v0
	ds_read_b128 v[6:9], v42 offset:4176
	ds_read_b128 v[10:13], v42 offset:12336
	ds_read_b128 v[14:17], v42 offset:8256
	ds_read_b128 v[18:21], v42 offset:4144
	ds_read_b128 v[22:25], v42
	ds_read_b128 v[26:29], v42 offset:32
	ds_read_b128 v[30:33], v42 offset:20528
	;; [unrolled: 1-line block ×3, first 2 shown]
	s_waitcnt lgkmcnt(6)
	v_mul_f64 v[3:4], v[8:9], -v[12:13]
	v_mul_f64 v[38:39], v[8:9], v[10:11]
	s_waitcnt lgkmcnt(5)
	v_mul_f64 v[40:41], v[8:9], -v[16:17]
	v_mul_f64 v[8:9], v[8:9], v[14:15]
	v_fma_f64 v[3:4], v[10:11], v[6:7], v[3:4]
	v_fma_f64 v[10:11], v[12:13], v[6:7], v[38:39]
	s_waitcnt lgkmcnt(1)
	v_mul_f64 v[12:13], v[24:25], -v[32:33]
	v_mul_f64 v[38:39], v[24:25], v[30:31]
	v_fma_f64 v[14:15], v[14:15], v[6:7], v[40:41]
	s_waitcnt lgkmcnt(0)
	v_mul_f64 v[40:41], v[24:25], -v[36:37]
	v_mul_f64 v[24:25], v[24:25], v[34:35]
	v_fma_f64 v[6:7], v[16:17], v[6:7], v[8:9]
	v_add_f64 v[3:4], v[26:27], -v[3:4]
	v_add_f64 v[8:9], v[28:29], -v[10:11]
	v_fma_f64 v[10:11], v[30:31], v[22:23], v[12:13]
	v_fma_f64 v[12:13], v[32:33], v[22:23], v[38:39]
	v_add_f64 v[14:15], v[18:19], -v[14:15]
	v_fma_f64 v[16:17], v[34:35], v[22:23], v[40:41]
	v_fma_f64 v[18:19], v[36:37], v[22:23], v[24:25]
	v_add_f64 v[20:21], v[20:21], -v[6:7]
	v_add_f64 v[6:7], v[3:4], -v[10:11]
	v_add_f64 v[8:9], v[8:9], -v[12:13]
	v_add_f64 v[10:11], v[14:15], -v[16:17]
	v_add_f64 v[12:13], v[20:21], -v[18:19]
	ds_write_b128 v42, v[6:9] offset:32
	ds_write_b128 v42, v[10:13] offset:4144
.LBB303_32:
	s_or_b64 exec, exec, s[4:5]
	s_movk_i32 s0, 0x80
	v_cmp_gt_u32_e64 s[0:1], s0, v0
	s_waitcnt lgkmcnt(0)
	s_barrier
	s_and_saveexec_b64 s[4:5], s[0:1]
	s_cbranch_execz .LBB303_34
; %bb.33:
	v_lshlrev_b32_e32 v0, 5, v0
	ds_read_b128 v[6:9], v0 offset:4144
	ds_read_b128 v[10:13], v0 offset:12320
	;; [unrolled: 1-line block ×4, first 2 shown]
	ds_read_b128 v[22:25], v0
	ds_read_b128 v[26:29], v0 offset:16
	ds_read_b128 v[30:33], v0 offset:20512
	;; [unrolled: 1-line block ×3, first 2 shown]
	s_waitcnt lgkmcnt(6)
	v_mul_f64 v[3:4], v[8:9], -v[12:13]
	v_mul_f64 v[38:39], v[8:9], v[10:11]
	s_waitcnt lgkmcnt(5)
	v_mul_f64 v[40:41], v[8:9], -v[16:17]
	v_mul_f64 v[8:9], v[8:9], v[14:15]
	v_fma_f64 v[3:4], v[10:11], v[6:7], v[3:4]
	v_fma_f64 v[10:11], v[12:13], v[6:7], v[38:39]
	s_waitcnt lgkmcnt(1)
	v_mul_f64 v[12:13], v[24:25], -v[32:33]
	v_mul_f64 v[38:39], v[24:25], v[30:31]
	v_fma_f64 v[14:15], v[14:15], v[6:7], v[40:41]
	s_waitcnt lgkmcnt(0)
	v_mul_f64 v[40:41], v[24:25], -v[36:37]
	v_mul_f64 v[24:25], v[24:25], v[34:35]
	v_fma_f64 v[6:7], v[16:17], v[6:7], v[8:9]
	v_add_f64 v[3:4], v[26:27], -v[3:4]
	v_add_f64 v[8:9], v[28:29], -v[10:11]
	v_fma_f64 v[10:11], v[30:31], v[22:23], v[12:13]
	v_fma_f64 v[12:13], v[32:33], v[22:23], v[38:39]
	v_add_f64 v[14:15], v[18:19], -v[14:15]
	v_fma_f64 v[16:17], v[34:35], v[22:23], v[40:41]
	v_fma_f64 v[18:19], v[36:37], v[22:23], v[24:25]
	v_add_f64 v[20:21], v[20:21], -v[6:7]
	v_add_f64 v[6:7], v[3:4], -v[10:11]
	;; [unrolled: 1-line block ×5, first 2 shown]
	ds_write_b128 v0, v[6:9] offset:16
	ds_write_b128 v0, v[10:13] offset:4128
.LBB303_34:
	s_or_b64 exec, exec, s[4:5]
	s_waitcnt lgkmcnt(0)
	s_barrier
	s_and_saveexec_b64 s[0:1], vcc
	s_cbranch_execz .LBB303_36
; %bb.35:
	v_ashrrev_i32_e32 v6, 31, v5
	v_lshlrev_b64 v[3:4], 4, v[5:6]
	ds_read2_b64 v[6:9], v2 offset1:1
	v_mov_b32_e32 v0, s3
	v_add_co_u32_e32 v10, vcc, s2, v3
	v_addc_co_u32_e32 v11, vcc, v0, v4, vcc
	s_waitcnt lgkmcnt(0)
	v_mad_u64_u32 v[4:5], s[0:1], s20, 7, v[5:6]
	ds_read2_b64 v[0:3], v1 offset1:1
	v_mov_b32_e32 v5, 0
	v_lshlrev_b64 v[4:5], 4, v[4:5]
	global_store_dwordx4 v[10:11], v[6:9], off
	v_add_co_u32_e32 v4, vcc, s2, v4
	v_mov_b32_e32 v6, s3
	v_addc_co_u32_e32 v5, vcc, v6, v5, vcc
	s_waitcnt lgkmcnt(0)
	global_store_dwordx4 v[4:5], v[0:3], off
.LBB303_36:
	s_endpgm
	.section	.rodata,"a",@progbits
	.p2align	6, 0x0
	.amdhsa_kernel _ZN9rocsparseL33gtsv_solve_spike_propagate_kernelILj256ELj8E21rocsparse_complex_numIdEEEviiiPT1_PKS3_S6_S6_
		.amdhsa_group_segment_fixed_size 24608
		.amdhsa_private_segment_fixed_size 0
		.amdhsa_kernarg_size 304
		.amdhsa_user_sgpr_count 6
		.amdhsa_user_sgpr_private_segment_buffer 1
		.amdhsa_user_sgpr_dispatch_ptr 0
		.amdhsa_user_sgpr_queue_ptr 0
		.amdhsa_user_sgpr_kernarg_segment_ptr 1
		.amdhsa_user_sgpr_dispatch_id 0
		.amdhsa_user_sgpr_flat_scratch_init 0
		.amdhsa_user_sgpr_private_segment_size 0
		.amdhsa_uses_dynamic_stack 0
		.amdhsa_system_sgpr_private_segment_wavefront_offset 0
		.amdhsa_system_sgpr_workgroup_id_x 1
		.amdhsa_system_sgpr_workgroup_id_y 1
		.amdhsa_system_sgpr_workgroup_id_z 0
		.amdhsa_system_sgpr_workgroup_info 0
		.amdhsa_system_vgpr_workitem_id 0
		.amdhsa_next_free_vgpr 85
		.amdhsa_next_free_sgpr 98
		.amdhsa_reserve_vcc 1
		.amdhsa_reserve_flat_scratch 0
		.amdhsa_float_round_mode_32 0
		.amdhsa_float_round_mode_16_64 0
		.amdhsa_float_denorm_mode_32 3
		.amdhsa_float_denorm_mode_16_64 3
		.amdhsa_dx10_clamp 1
		.amdhsa_ieee_mode 1
		.amdhsa_fp16_overflow 0
		.amdhsa_exception_fp_ieee_invalid_op 0
		.amdhsa_exception_fp_denorm_src 0
		.amdhsa_exception_fp_ieee_div_zero 0
		.amdhsa_exception_fp_ieee_overflow 0
		.amdhsa_exception_fp_ieee_underflow 0
		.amdhsa_exception_fp_ieee_inexact 0
		.amdhsa_exception_int_div_zero 0
	.end_amdhsa_kernel
	.section	.text._ZN9rocsparseL33gtsv_solve_spike_propagate_kernelILj256ELj8E21rocsparse_complex_numIdEEEviiiPT1_PKS3_S6_S6_,"axG",@progbits,_ZN9rocsparseL33gtsv_solve_spike_propagate_kernelILj256ELj8E21rocsparse_complex_numIdEEEviiiPT1_PKS3_S6_S6_,comdat
.Lfunc_end303:
	.size	_ZN9rocsparseL33gtsv_solve_spike_propagate_kernelILj256ELj8E21rocsparse_complex_numIdEEEviiiPT1_PKS3_S6_S6_, .Lfunc_end303-_ZN9rocsparseL33gtsv_solve_spike_propagate_kernelILj256ELj8E21rocsparse_complex_numIdEEEviiiPT1_PKS3_S6_S6_
                                        ; -- End function
	.set _ZN9rocsparseL33gtsv_solve_spike_propagate_kernelILj256ELj8E21rocsparse_complex_numIdEEEviiiPT1_PKS3_S6_S6_.num_vgpr, 43
	.set _ZN9rocsparseL33gtsv_solve_spike_propagate_kernelILj256ELj8E21rocsparse_complex_numIdEEEviiiPT1_PKS3_S6_S6_.num_agpr, 0
	.set _ZN9rocsparseL33gtsv_solve_spike_propagate_kernelILj256ELj8E21rocsparse_complex_numIdEEEviiiPT1_PKS3_S6_S6_.numbered_sgpr, 22
	.set _ZN9rocsparseL33gtsv_solve_spike_propagate_kernelILj256ELj8E21rocsparse_complex_numIdEEEviiiPT1_PKS3_S6_S6_.num_named_barrier, 0
	.set _ZN9rocsparseL33gtsv_solve_spike_propagate_kernelILj256ELj8E21rocsparse_complex_numIdEEEviiiPT1_PKS3_S6_S6_.private_seg_size, 0
	.set _ZN9rocsparseL33gtsv_solve_spike_propagate_kernelILj256ELj8E21rocsparse_complex_numIdEEEviiiPT1_PKS3_S6_S6_.uses_vcc, 1
	.set _ZN9rocsparseL33gtsv_solve_spike_propagate_kernelILj256ELj8E21rocsparse_complex_numIdEEEviiiPT1_PKS3_S6_S6_.uses_flat_scratch, 0
	.set _ZN9rocsparseL33gtsv_solve_spike_propagate_kernelILj256ELj8E21rocsparse_complex_numIdEEEviiiPT1_PKS3_S6_S6_.has_dyn_sized_stack, 0
	.set _ZN9rocsparseL33gtsv_solve_spike_propagate_kernelILj256ELj8E21rocsparse_complex_numIdEEEviiiPT1_PKS3_S6_S6_.has_recursion, 0
	.set _ZN9rocsparseL33gtsv_solve_spike_propagate_kernelILj256ELj8E21rocsparse_complex_numIdEEEviiiPT1_PKS3_S6_S6_.has_indirect_call, 0
	.section	.AMDGPU.csdata,"",@progbits
; Kernel info:
; codeLenInByte = 3596
; TotalNumSgprs: 26
; NumVgprs: 43
; ScratchSize: 0
; MemoryBound: 0
; FloatMode: 240
; IeeeMode: 1
; LDSByteSize: 24608 bytes/workgroup (compile time only)
; SGPRBlocks: 12
; VGPRBlocks: 21
; NumSGPRsForWavesPerEU: 102
; NumVGPRsForWavesPerEU: 85
; Occupancy: 2
; WaveLimiterHint : 0
; COMPUTE_PGM_RSRC2:SCRATCH_EN: 0
; COMPUTE_PGM_RSRC2:USER_SGPR: 6
; COMPUTE_PGM_RSRC2:TRAP_HANDLER: 0
; COMPUTE_PGM_RSRC2:TGID_X_EN: 1
; COMPUTE_PGM_RSRC2:TGID_Y_EN: 1
; COMPUTE_PGM_RSRC2:TGID_Z_EN: 0
; COMPUTE_PGM_RSRC2:TIDIG_COMP_CNT: 0
	.section	.text._ZN9rocsparseL39gtsv_spike_backward_substitution_kernelILj256ELj8E21rocsparse_complex_numIdEEEviiiPT1_PKS3_S6_,"axG",@progbits,_ZN9rocsparseL39gtsv_spike_backward_substitution_kernelILj256ELj8E21rocsparse_complex_numIdEEEviiiPT1_PKS3_S6_,comdat
	.globl	_ZN9rocsparseL39gtsv_spike_backward_substitution_kernelILj256ELj8E21rocsparse_complex_numIdEEEviiiPT1_PKS3_S6_ ; -- Begin function _ZN9rocsparseL39gtsv_spike_backward_substitution_kernelILj256ELj8E21rocsparse_complex_numIdEEEviiiPT1_PKS3_S6_
	.p2align	8
	.type	_ZN9rocsparseL39gtsv_spike_backward_substitution_kernelILj256ELj8E21rocsparse_complex_numIdEEEviiiPT1_PKS3_S6_,@function
_ZN9rocsparseL39gtsv_spike_backward_substitution_kernelILj256ELj8E21rocsparse_complex_numIdEEEviiiPT1_PKS3_S6_: ; @_ZN9rocsparseL39gtsv_spike_backward_substitution_kernelILj256ELj8E21rocsparse_complex_numIdEEEviiiPT1_PKS3_S6_
; %bb.0:
	s_load_dword s11, s[4:5], 0x0
	v_lshl_or_b32 v9, s6, 8, v0
	s_waitcnt lgkmcnt(0)
	s_lshr_b32 s6, s11, 3
	v_cmp_gt_i32_e32 vcc, s6, v9
	s_and_saveexec_b64 s[0:1], vcc
	s_cbranch_execz .LBB304_6
; %bb.1:
	s_load_dwordx2 s[8:9], s[4:5], 0x10
	v_mov_b32_e32 v4, 0
	v_mov_b32_e32 v6, 0
	v_cmp_lt_i32_e32 vcc, 0, v9
	v_mov_b32_e32 v5, 0
	v_mov_b32_e32 v7, 0
	s_mul_i32 s10, s11, s7
	s_and_saveexec_b64 s[0:1], vcc
	s_cbranch_execz .LBB304_3
; %bb.2:
	s_mul_i32 s2, s6, 7
	s_mul_i32 s3, s11, s7
	s_add_i32 s2, s2, s3
	v_add3_u32 v0, v9, s2, -1
	v_mov_b32_e32 v1, 0
	v_lshlrev_b64 v[0:1], 4, v[0:1]
	s_waitcnt lgkmcnt(0)
	v_mov_b32_e32 v2, s9
	v_add_co_u32_e32 v0, vcc, s8, v0
	v_addc_co_u32_e32 v1, vcc, v2, v1, vcc
	global_load_dwordx4 v[4:7], v[0:1], off
.LBB304_3:
	s_or_b64 exec, exec, s[0:1]
	s_load_dwordx4 s[0:3], s[4:5], 0x18
	v_add_u32_e32 v0, 8, v9
	v_cmp_le_u32_e32 vcc, s11, v0
	s_and_saveexec_b64 s[4:5], vcc
	s_xor_b64 s[4:5], exec, s[4:5]
	s_or_saveexec_b64 s[4:5], s[4:5]
	v_mov_b32_e32 v0, 0
	v_mov_b32_e32 v2, 0
	;; [unrolled: 1-line block ×5, first 2 shown]
	s_xor_b64 exec, exec, s[4:5]
	s_cbranch_execz .LBB304_5
; %bb.4:
	s_ashr_i32 s7, s10, 31
	v_ashrrev_i32_e32 v1, 31, v9
	v_mov_b32_e32 v2, s7
	v_add_co_u32_e32 v0, vcc, s10, v9
	v_addc_co_u32_e32 v1, vcc, v1, v2, vcc
	v_lshlrev_b64 v[0:1], 4, v[0:1]
	s_waitcnt lgkmcnt(0)
	v_mov_b32_e32 v2, s9
	v_add_co_u32_e32 v0, vcc, s8, v0
	v_addc_co_u32_e32 v1, vcc, v2, v1, vcc
	global_load_dwordx4 v[0:3], v[0:1], off offset:16
	v_mov_b32_e32 v8, s10
.LBB304_5:
	s_or_b64 exec, exec, s[4:5]
	v_add_u32_e32 v13, s6, v9
	v_add_u32_e32 v9, v13, v8
	v_ashrrev_i32_e32 v10, 31, v9
	v_lshlrev_b64 v[9:10], 4, v[9:10]
	v_ashrrev_i32_e32 v14, 31, v13
	s_waitcnt lgkmcnt(0)
	v_add_co_u32_e32 v15, vcc, s8, v9
	v_mov_b32_e32 v9, s9
	v_lshlrev_b64 v[17:18], 4, v[13:14]
	v_addc_co_u32_e32 v16, vcc, v9, v10, vcc
	v_add_co_u32_e32 v9, vcc, s0, v17
	v_mov_b32_e32 v10, s1
	v_addc_co_u32_e32 v10, vcc, v10, v18, vcc
	global_load_dwordx4 v[9:12], v[9:10], off
	v_add_u32_e32 v13, s6, v13
	v_ashrrev_i32_e32 v14, 31, v13
	s_waitcnt vmcnt(0)
	v_mul_f64 v[19:20], v[6:7], -v[11:12]
	v_fma_f64 v[19:20], v[9:10], v[4:5], v[19:20]
	v_mul_f64 v[9:10], v[6:7], v[9:10]
	v_fma_f64 v[21:22], v[11:12], v[4:5], v[9:10]
	global_load_dwordx4 v[9:12], v[15:16], off
	s_waitcnt vmcnt(0)
	v_add_f64 v[19:20], v[9:10], -v[19:20]
	v_add_co_u32_e32 v9, vcc, s2, v17
	v_mov_b32_e32 v10, s3
	v_addc_co_u32_e32 v10, vcc, v10, v18, vcc
	v_add_f64 v[21:22], v[11:12], -v[21:22]
	global_load_dwordx4 v[9:12], v[9:10], off
	s_waitcnt vmcnt(0)
	v_mul_f64 v[17:18], v[2:3], -v[11:12]
	v_fma_f64 v[17:18], v[9:10], v[0:1], v[17:18]
	v_mul_f64 v[9:10], v[2:3], v[9:10]
	v_fma_f64 v[11:12], v[11:12], v[0:1], v[9:10]
	v_add_f64 v[9:10], v[19:20], -v[17:18]
	v_lshlrev_b64 v[17:18], 4, v[13:14]
	v_add_f64 v[11:12], v[21:22], -v[11:12]
	global_store_dwordx4 v[15:16], v[9:12], off
	s_nop 0
	v_add_u32_e32 v9, v13, v8
	v_ashrrev_i32_e32 v10, 31, v9
	v_lshlrev_b64 v[9:10], 4, v[9:10]
	v_add_u32_e32 v13, s6, v13
	v_add_co_u32_e32 v15, vcc, s8, v9
	v_mov_b32_e32 v9, s9
	v_addc_co_u32_e32 v16, vcc, v9, v10, vcc
	v_add_co_u32_e32 v9, vcc, s0, v17
	v_mov_b32_e32 v10, s1
	v_addc_co_u32_e32 v10, vcc, v10, v18, vcc
	global_load_dwordx4 v[9:12], v[9:10], off
	v_ashrrev_i32_e32 v14, 31, v13
	s_waitcnt vmcnt(0)
	v_mul_f64 v[19:20], v[6:7], -v[11:12]
	v_fma_f64 v[19:20], v[9:10], v[4:5], v[19:20]
	v_mul_f64 v[9:10], v[6:7], v[9:10]
	v_fma_f64 v[21:22], v[11:12], v[4:5], v[9:10]
	global_load_dwordx4 v[9:12], v[15:16], off
	s_waitcnt vmcnt(0)
	v_add_f64 v[19:20], v[9:10], -v[19:20]
	v_add_co_u32_e32 v9, vcc, s2, v17
	v_mov_b32_e32 v10, s3
	v_addc_co_u32_e32 v10, vcc, v10, v18, vcc
	v_add_f64 v[21:22], v[11:12], -v[21:22]
	global_load_dwordx4 v[9:12], v[9:10], off
	s_waitcnt vmcnt(0)
	v_mul_f64 v[17:18], v[2:3], -v[11:12]
	v_fma_f64 v[17:18], v[9:10], v[0:1], v[17:18]
	v_mul_f64 v[9:10], v[2:3], v[9:10]
	v_fma_f64 v[11:12], v[11:12], v[0:1], v[9:10]
	v_add_f64 v[9:10], v[19:20], -v[17:18]
	v_lshlrev_b64 v[17:18], 4, v[13:14]
	v_add_f64 v[11:12], v[21:22], -v[11:12]
	global_store_dwordx4 v[15:16], v[9:12], off
	s_nop 0
	v_add_u32_e32 v9, v13, v8
	v_ashrrev_i32_e32 v10, 31, v9
	v_lshlrev_b64 v[9:10], 4, v[9:10]
	v_add_u32_e32 v13, s6, v13
	v_add_co_u32_e32 v15, vcc, s8, v9
	v_mov_b32_e32 v9, s9
	v_addc_co_u32_e32 v16, vcc, v9, v10, vcc
	v_add_co_u32_e32 v9, vcc, s0, v17
	v_mov_b32_e32 v10, s1
	v_addc_co_u32_e32 v10, vcc, v10, v18, vcc
	global_load_dwordx4 v[9:12], v[9:10], off
	;; [unrolled: 35-line block ×3, first 2 shown]
	v_ashrrev_i32_e32 v14, 31, v13
	s_waitcnt vmcnt(0)
	v_mul_f64 v[19:20], v[6:7], -v[11:12]
	v_fma_f64 v[19:20], v[9:10], v[4:5], v[19:20]
	v_mul_f64 v[9:10], v[6:7], v[9:10]
	v_fma_f64 v[21:22], v[11:12], v[4:5], v[9:10]
	global_load_dwordx4 v[9:12], v[15:16], off
	s_waitcnt vmcnt(0)
	v_add_f64 v[19:20], v[9:10], -v[19:20]
	v_add_co_u32_e32 v9, vcc, s2, v17
	v_mov_b32_e32 v10, s3
	v_addc_co_u32_e32 v10, vcc, v10, v18, vcc
	v_add_f64 v[21:22], v[11:12], -v[21:22]
	global_load_dwordx4 v[9:12], v[9:10], off
	s_waitcnt vmcnt(0)
	v_mul_f64 v[17:18], v[2:3], -v[11:12]
	v_fma_f64 v[17:18], v[9:10], v[0:1], v[17:18]
	v_mul_f64 v[9:10], v[2:3], v[9:10]
	v_fma_f64 v[11:12], v[11:12], v[0:1], v[9:10]
	v_add_f64 v[9:10], v[19:20], -v[17:18]
	v_lshlrev_b64 v[17:18], 4, v[13:14]
	v_add_f64 v[11:12], v[21:22], -v[11:12]
	global_store_dwordx4 v[15:16], v[9:12], off
	s_nop 0
	v_add_u32_e32 v9, v13, v8
	v_ashrrev_i32_e32 v10, 31, v9
	v_lshlrev_b64 v[9:10], 4, v[9:10]
	v_add_co_u32_e32 v15, vcc, s8, v9
	v_mov_b32_e32 v9, s9
	v_addc_co_u32_e32 v16, vcc, v9, v10, vcc
	v_add_co_u32_e32 v9, vcc, s0, v17
	v_mov_b32_e32 v10, s1
	v_addc_co_u32_e32 v10, vcc, v10, v18, vcc
	global_load_dwordx4 v[9:12], v[9:10], off
	s_waitcnt vmcnt(0)
	v_mul_f64 v[19:20], v[6:7], -v[11:12]
	v_fma_f64 v[19:20], v[9:10], v[4:5], v[19:20]
	v_mul_f64 v[9:10], v[6:7], v[9:10]
	v_fma_f64 v[21:22], v[11:12], v[4:5], v[9:10]
	global_load_dwordx4 v[9:12], v[15:16], off
	s_waitcnt vmcnt(0)
	v_add_f64 v[19:20], v[9:10], -v[19:20]
	v_add_co_u32_e32 v9, vcc, s2, v17
	v_mov_b32_e32 v10, s3
	v_addc_co_u32_e32 v10, vcc, v10, v18, vcc
	v_add_f64 v[21:22], v[11:12], -v[21:22]
	global_load_dwordx4 v[9:12], v[9:10], off
	s_waitcnt vmcnt(0)
	v_mul_f64 v[17:18], v[2:3], -v[11:12]
	v_fma_f64 v[17:18], v[9:10], v[0:1], v[17:18]
	v_mul_f64 v[9:10], v[2:3], v[9:10]
	v_fma_f64 v[11:12], v[11:12], v[0:1], v[9:10]
	v_add_f64 v[9:10], v[19:20], -v[17:18]
	v_add_f64 v[11:12], v[21:22], -v[11:12]
	global_store_dwordx4 v[15:16], v[9:12], off
	s_nop 0
	v_add_u32_e32 v9, s6, v13
	v_add_u32_e32 v10, v9, v8
	v_ashrrev_i32_e32 v11, 31, v10
	v_lshlrev_b64 v[10:11], 4, v[10:11]
	v_mov_b32_e32 v8, s9
	v_add_co_u32_e32 v12, vcc, s8, v10
	v_ashrrev_i32_e32 v10, 31, v9
	v_lshlrev_b64 v[14:15], 4, v[9:10]
	v_addc_co_u32_e32 v13, vcc, v8, v11, vcc
	v_add_co_u32_e32 v8, vcc, s0, v14
	v_mov_b32_e32 v9, s1
	v_addc_co_u32_e32 v9, vcc, v9, v15, vcc
	global_load_dwordx4 v[8:11], v[8:9], off
	s_waitcnt vmcnt(0)
	v_mul_f64 v[16:17], v[6:7], -v[10:11]
	v_mul_f64 v[6:7], v[6:7], v[8:9]
	v_fma_f64 v[16:17], v[8:9], v[4:5], v[16:17]
	v_fma_f64 v[8:9], v[10:11], v[4:5], v[6:7]
	global_load_dwordx4 v[4:7], v[12:13], off
	s_waitcnt vmcnt(0)
	v_add_f64 v[10:11], v[4:5], -v[16:17]
	v_add_co_u32_e32 v4, vcc, s2, v14
	v_mov_b32_e32 v5, s3
	v_addc_co_u32_e32 v5, vcc, v5, v15, vcc
	v_add_f64 v[8:9], v[6:7], -v[8:9]
	global_load_dwordx4 v[4:7], v[4:5], off
	s_waitcnt vmcnt(0)
	v_mul_f64 v[14:15], v[2:3], -v[6:7]
	v_mul_f64 v[2:3], v[2:3], v[4:5]
	v_fma_f64 v[14:15], v[4:5], v[0:1], v[14:15]
	v_fma_f64 v[2:3], v[6:7], v[0:1], v[2:3]
	v_add_f64 v[0:1], v[10:11], -v[14:15]
	v_add_f64 v[2:3], v[8:9], -v[2:3]
	global_store_dwordx4 v[12:13], v[0:3], off
.LBB304_6:
	s_endpgm
	.section	.rodata,"a",@progbits
	.p2align	6, 0x0
	.amdhsa_kernel _ZN9rocsparseL39gtsv_spike_backward_substitution_kernelILj256ELj8E21rocsparse_complex_numIdEEEviiiPT1_PKS3_S6_
		.amdhsa_group_segment_fixed_size 0
		.amdhsa_private_segment_fixed_size 0
		.amdhsa_kernarg_size 40
		.amdhsa_user_sgpr_count 6
		.amdhsa_user_sgpr_private_segment_buffer 1
		.amdhsa_user_sgpr_dispatch_ptr 0
		.amdhsa_user_sgpr_queue_ptr 0
		.amdhsa_user_sgpr_kernarg_segment_ptr 1
		.amdhsa_user_sgpr_dispatch_id 0
		.amdhsa_user_sgpr_flat_scratch_init 0
		.amdhsa_user_sgpr_private_segment_size 0
		.amdhsa_uses_dynamic_stack 0
		.amdhsa_system_sgpr_private_segment_wavefront_offset 0
		.amdhsa_system_sgpr_workgroup_id_x 1
		.amdhsa_system_sgpr_workgroup_id_y 1
		.amdhsa_system_sgpr_workgroup_id_z 0
		.amdhsa_system_sgpr_workgroup_info 0
		.amdhsa_system_vgpr_workitem_id 0
		.amdhsa_next_free_vgpr 23
		.amdhsa_next_free_sgpr 12
		.amdhsa_reserve_vcc 1
		.amdhsa_reserve_flat_scratch 0
		.amdhsa_float_round_mode_32 0
		.amdhsa_float_round_mode_16_64 0
		.amdhsa_float_denorm_mode_32 3
		.amdhsa_float_denorm_mode_16_64 3
		.amdhsa_dx10_clamp 1
		.amdhsa_ieee_mode 1
		.amdhsa_fp16_overflow 0
		.amdhsa_exception_fp_ieee_invalid_op 0
		.amdhsa_exception_fp_denorm_src 0
		.amdhsa_exception_fp_ieee_div_zero 0
		.amdhsa_exception_fp_ieee_overflow 0
		.amdhsa_exception_fp_ieee_underflow 0
		.amdhsa_exception_fp_ieee_inexact 0
		.amdhsa_exception_int_div_zero 0
	.end_amdhsa_kernel
	.section	.text._ZN9rocsparseL39gtsv_spike_backward_substitution_kernelILj256ELj8E21rocsparse_complex_numIdEEEviiiPT1_PKS3_S6_,"axG",@progbits,_ZN9rocsparseL39gtsv_spike_backward_substitution_kernelILj256ELj8E21rocsparse_complex_numIdEEEviiiPT1_PKS3_S6_,comdat
.Lfunc_end304:
	.size	_ZN9rocsparseL39gtsv_spike_backward_substitution_kernelILj256ELj8E21rocsparse_complex_numIdEEEviiiPT1_PKS3_S6_, .Lfunc_end304-_ZN9rocsparseL39gtsv_spike_backward_substitution_kernelILj256ELj8E21rocsparse_complex_numIdEEEviiiPT1_PKS3_S6_
                                        ; -- End function
	.set _ZN9rocsparseL39gtsv_spike_backward_substitution_kernelILj256ELj8E21rocsparse_complex_numIdEEEviiiPT1_PKS3_S6_.num_vgpr, 23
	.set _ZN9rocsparseL39gtsv_spike_backward_substitution_kernelILj256ELj8E21rocsparse_complex_numIdEEEviiiPT1_PKS3_S6_.num_agpr, 0
	.set _ZN9rocsparseL39gtsv_spike_backward_substitution_kernelILj256ELj8E21rocsparse_complex_numIdEEEviiiPT1_PKS3_S6_.numbered_sgpr, 12
	.set _ZN9rocsparseL39gtsv_spike_backward_substitution_kernelILj256ELj8E21rocsparse_complex_numIdEEEviiiPT1_PKS3_S6_.num_named_barrier, 0
	.set _ZN9rocsparseL39gtsv_spike_backward_substitution_kernelILj256ELj8E21rocsparse_complex_numIdEEEviiiPT1_PKS3_S6_.private_seg_size, 0
	.set _ZN9rocsparseL39gtsv_spike_backward_substitution_kernelILj256ELj8E21rocsparse_complex_numIdEEEviiiPT1_PKS3_S6_.uses_vcc, 1
	.set _ZN9rocsparseL39gtsv_spike_backward_substitution_kernelILj256ELj8E21rocsparse_complex_numIdEEEviiiPT1_PKS3_S6_.uses_flat_scratch, 0
	.set _ZN9rocsparseL39gtsv_spike_backward_substitution_kernelILj256ELj8E21rocsparse_complex_numIdEEEviiiPT1_PKS3_S6_.has_dyn_sized_stack, 0
	.set _ZN9rocsparseL39gtsv_spike_backward_substitution_kernelILj256ELj8E21rocsparse_complex_numIdEEEviiiPT1_PKS3_S6_.has_recursion, 0
	.set _ZN9rocsparseL39gtsv_spike_backward_substitution_kernelILj256ELj8E21rocsparse_complex_numIdEEEviiiPT1_PKS3_S6_.has_indirect_call, 0
	.section	.AMDGPU.csdata,"",@progbits
; Kernel info:
; codeLenInByte = 1528
; TotalNumSgprs: 16
; NumVgprs: 23
; ScratchSize: 0
; MemoryBound: 0
; FloatMode: 240
; IeeeMode: 1
; LDSByteSize: 0 bytes/workgroup (compile time only)
; SGPRBlocks: 1
; VGPRBlocks: 5
; NumSGPRsForWavesPerEU: 16
; NumVGPRsForWavesPerEU: 23
; Occupancy: 10
; WaveLimiterHint : 0
; COMPUTE_PGM_RSRC2:SCRATCH_EN: 0
; COMPUTE_PGM_RSRC2:USER_SGPR: 6
; COMPUTE_PGM_RSRC2:TRAP_HANDLER: 0
; COMPUTE_PGM_RSRC2:TGID_X_EN: 1
; COMPUTE_PGM_RSRC2:TGID_Y_EN: 1
; COMPUTE_PGM_RSRC2:TGID_Z_EN: 0
; COMPUTE_PGM_RSRC2:TIDIG_COMP_CNT: 0
	.section	.text._ZN9rocsparseL32gtsv_transpose_back_array_kernelILj256ELj8E21rocsparse_complex_numIdEEEviiiPKT1_PS3_,"axG",@progbits,_ZN9rocsparseL32gtsv_transpose_back_array_kernelILj256ELj8E21rocsparse_complex_numIdEEEviiiPKT1_PS3_,comdat
	.globl	_ZN9rocsparseL32gtsv_transpose_back_array_kernelILj256ELj8E21rocsparse_complex_numIdEEEviiiPKT1_PS3_ ; -- Begin function _ZN9rocsparseL32gtsv_transpose_back_array_kernelILj256ELj8E21rocsparse_complex_numIdEEEviiiPKT1_PS3_
	.p2align	8
	.type	_ZN9rocsparseL32gtsv_transpose_back_array_kernelILj256ELj8E21rocsparse_complex_numIdEEEviiiPKT1_PS3_,@function
_ZN9rocsparseL32gtsv_transpose_back_array_kernelILj256ELj8E21rocsparse_complex_numIdEEEviiiPKT1_PS3_: ; @_ZN9rocsparseL32gtsv_transpose_back_array_kernelILj256ELj8E21rocsparse_complex_numIdEEEviiiPKT1_PS3_
; %bb.0:
	s_load_dwordx4 s[0:3], s[4:5], 0x0
	s_waitcnt lgkmcnt(0)
	v_cvt_f32_u32_e32 v1, s1
	s_sub_i32 s3, 0, s1
	v_rcp_iflag_f32_e32 v1, v1
	v_mul_f32_e32 v1, 0x4f7ffffe, v1
	v_cvt_u32_f32_e32 v2, v1
	v_mul_lo_u32 v1, s3, v2
	v_mul_hi_u32 v3, v2, v1
	v_lshl_or_b32 v1, s6, 8, v0
	v_lshlrev_b32_e32 v0, 3, v1
	v_add_u32_e32 v2, v2, v3
	v_mul_hi_u32 v2, v0, v2
	v_mul_lo_u32 v3, v2, s1
	v_add_u32_e32 v4, 1, v2
	v_sub_u32_e32 v3, v0, v3
	v_cmp_le_u32_e32 vcc, s1, v3
	v_cndmask_b32_e32 v2, v2, v4, vcc
	v_subrev_u32_e32 v4, s1, v3
	v_cndmask_b32_e32 v3, v3, v4, vcc
	v_add_u32_e32 v4, 1, v2
	v_cmp_le_u32_e32 vcc, s1, v3
	v_cndmask_b32_e32 v2, v2, v4, vcc
	v_mul_lo_u32 v3, v2, s1
	v_sub_u32_e32 v0, v0, v3
	v_add_u32_e32 v0, v2, v0
	v_cmp_gt_i32_e32 vcc, s0, v0
	s_and_saveexec_b64 s[8:9], vcc
	s_cbranch_execz .LBB305_2
; %bb.1:
	s_load_dwordx4 s[8:11], s[4:5], 0x10
	s_mul_i32 s0, s1, s7
	v_add_u32_e32 v1, s0, v1
	v_ashrrev_i32_e32 v2, 31, v1
	v_lshlrev_b64 v[1:2], 4, v[1:2]
	s_waitcnt lgkmcnt(0)
	v_mov_b32_e32 v3, s9
	v_add_co_u32_e32 v1, vcc, s8, v1
	v_addc_co_u32_e32 v2, vcc, v3, v2, vcc
	global_load_dwordx4 v[1:4], v[1:2], off
	s_mul_i32 s0, s2, s7
	v_add_u32_e32 v5, s0, v0
	v_ashrrev_i32_e32 v6, 31, v5
	v_lshlrev_b64 v[5:6], 4, v[5:6]
	v_mov_b32_e32 v0, s11
	v_add_co_u32_e32 v5, vcc, s10, v5
	v_addc_co_u32_e32 v6, vcc, v0, v6, vcc
	s_waitcnt vmcnt(0)
	global_store_dwordx4 v[5:6], v[1:4], off
.LBB305_2:
	s_endpgm
	.section	.rodata,"a",@progbits
	.p2align	6, 0x0
	.amdhsa_kernel _ZN9rocsparseL32gtsv_transpose_back_array_kernelILj256ELj8E21rocsparse_complex_numIdEEEviiiPKT1_PS3_
		.amdhsa_group_segment_fixed_size 0
		.amdhsa_private_segment_fixed_size 0
		.amdhsa_kernarg_size 32
		.amdhsa_user_sgpr_count 6
		.amdhsa_user_sgpr_private_segment_buffer 1
		.amdhsa_user_sgpr_dispatch_ptr 0
		.amdhsa_user_sgpr_queue_ptr 0
		.amdhsa_user_sgpr_kernarg_segment_ptr 1
		.amdhsa_user_sgpr_dispatch_id 0
		.amdhsa_user_sgpr_flat_scratch_init 0
		.amdhsa_user_sgpr_private_segment_size 0
		.amdhsa_uses_dynamic_stack 0
		.amdhsa_system_sgpr_private_segment_wavefront_offset 0
		.amdhsa_system_sgpr_workgroup_id_x 1
		.amdhsa_system_sgpr_workgroup_id_y 1
		.amdhsa_system_sgpr_workgroup_id_z 0
		.amdhsa_system_sgpr_workgroup_info 0
		.amdhsa_system_vgpr_workitem_id 0
		.amdhsa_next_free_vgpr 7
		.amdhsa_next_free_sgpr 12
		.amdhsa_reserve_vcc 1
		.amdhsa_reserve_flat_scratch 0
		.amdhsa_float_round_mode_32 0
		.amdhsa_float_round_mode_16_64 0
		.amdhsa_float_denorm_mode_32 3
		.amdhsa_float_denorm_mode_16_64 3
		.amdhsa_dx10_clamp 1
		.amdhsa_ieee_mode 1
		.amdhsa_fp16_overflow 0
		.amdhsa_exception_fp_ieee_invalid_op 0
		.amdhsa_exception_fp_denorm_src 0
		.amdhsa_exception_fp_ieee_div_zero 0
		.amdhsa_exception_fp_ieee_overflow 0
		.amdhsa_exception_fp_ieee_underflow 0
		.amdhsa_exception_fp_ieee_inexact 0
		.amdhsa_exception_int_div_zero 0
	.end_amdhsa_kernel
	.section	.text._ZN9rocsparseL32gtsv_transpose_back_array_kernelILj256ELj8E21rocsparse_complex_numIdEEEviiiPKT1_PS3_,"axG",@progbits,_ZN9rocsparseL32gtsv_transpose_back_array_kernelILj256ELj8E21rocsparse_complex_numIdEEEviiiPKT1_PS3_,comdat
.Lfunc_end305:
	.size	_ZN9rocsparseL32gtsv_transpose_back_array_kernelILj256ELj8E21rocsparse_complex_numIdEEEviiiPKT1_PS3_, .Lfunc_end305-_ZN9rocsparseL32gtsv_transpose_back_array_kernelILj256ELj8E21rocsparse_complex_numIdEEEviiiPKT1_PS3_
                                        ; -- End function
	.set _ZN9rocsparseL32gtsv_transpose_back_array_kernelILj256ELj8E21rocsparse_complex_numIdEEEviiiPKT1_PS3_.num_vgpr, 7
	.set _ZN9rocsparseL32gtsv_transpose_back_array_kernelILj256ELj8E21rocsparse_complex_numIdEEEviiiPKT1_PS3_.num_agpr, 0
	.set _ZN9rocsparseL32gtsv_transpose_back_array_kernelILj256ELj8E21rocsparse_complex_numIdEEEviiiPKT1_PS3_.numbered_sgpr, 12
	.set _ZN9rocsparseL32gtsv_transpose_back_array_kernelILj256ELj8E21rocsparse_complex_numIdEEEviiiPKT1_PS3_.num_named_barrier, 0
	.set _ZN9rocsparseL32gtsv_transpose_back_array_kernelILj256ELj8E21rocsparse_complex_numIdEEEviiiPKT1_PS3_.private_seg_size, 0
	.set _ZN9rocsparseL32gtsv_transpose_back_array_kernelILj256ELj8E21rocsparse_complex_numIdEEEviiiPKT1_PS3_.uses_vcc, 1
	.set _ZN9rocsparseL32gtsv_transpose_back_array_kernelILj256ELj8E21rocsparse_complex_numIdEEEviiiPKT1_PS3_.uses_flat_scratch, 0
	.set _ZN9rocsparseL32gtsv_transpose_back_array_kernelILj256ELj8E21rocsparse_complex_numIdEEEviiiPKT1_PS3_.has_dyn_sized_stack, 0
	.set _ZN9rocsparseL32gtsv_transpose_back_array_kernelILj256ELj8E21rocsparse_complex_numIdEEEviiiPKT1_PS3_.has_recursion, 0
	.set _ZN9rocsparseL32gtsv_transpose_back_array_kernelILj256ELj8E21rocsparse_complex_numIdEEEviiiPKT1_PS3_.has_indirect_call, 0
	.section	.AMDGPU.csdata,"",@progbits
; Kernel info:
; codeLenInByte = 248
; TotalNumSgprs: 16
; NumVgprs: 7
; ScratchSize: 0
; MemoryBound: 0
; FloatMode: 240
; IeeeMode: 1
; LDSByteSize: 0 bytes/workgroup (compile time only)
; SGPRBlocks: 1
; VGPRBlocks: 1
; NumSGPRsForWavesPerEU: 16
; NumVGPRsForWavesPerEU: 7
; Occupancy: 10
; WaveLimiterHint : 0
; COMPUTE_PGM_RSRC2:SCRATCH_EN: 0
; COMPUTE_PGM_RSRC2:USER_SGPR: 6
; COMPUTE_PGM_RSRC2:TRAP_HANDLER: 0
; COMPUTE_PGM_RSRC2:TGID_X_EN: 1
; COMPUTE_PGM_RSRC2:TGID_Y_EN: 1
; COMPUTE_PGM_RSRC2:TGID_Z_EN: 0
; COMPUTE_PGM_RSRC2:TIDIG_COMP_CNT: 0
	.section	.text._ZN9rocsparseL42gtsv_transpose_and_pad_array_shared_kernelILj256ELj16E21rocsparse_complex_numIdEEEviiiPKT1_PS3_S3_,"axG",@progbits,_ZN9rocsparseL42gtsv_transpose_and_pad_array_shared_kernelILj256ELj16E21rocsparse_complex_numIdEEEviiiPKT1_PS3_S3_,comdat
	.globl	_ZN9rocsparseL42gtsv_transpose_and_pad_array_shared_kernelILj256ELj16E21rocsparse_complex_numIdEEEviiiPKT1_PS3_S3_ ; -- Begin function _ZN9rocsparseL42gtsv_transpose_and_pad_array_shared_kernelILj256ELj16E21rocsparse_complex_numIdEEEviiiPKT1_PS3_S3_
	.p2align	8
	.type	_ZN9rocsparseL42gtsv_transpose_and_pad_array_shared_kernelILj256ELj16E21rocsparse_complex_numIdEEEviiiPKT1_PS3_S3_,@function
_ZN9rocsparseL42gtsv_transpose_and_pad_array_shared_kernelILj256ELj16E21rocsparse_complex_numIdEEEviiiPKT1_PS3_S3_: ; @_ZN9rocsparseL42gtsv_transpose_and_pad_array_shared_kernelILj256ELj16E21rocsparse_complex_numIdEEEviiiPKT1_PS3_S3_
; %bb.0:
	s_load_dwordx4 s[0:3], s[4:5], 0x0
	v_lshl_or_b32 v2, s6, 8, v0
	v_lshlrev_b32_e32 v1, 4, v0
	s_waitcnt lgkmcnt(0)
	v_cmp_le_i32_e32 vcc, s0, v2
	s_and_saveexec_b64 s[8:9], vcc
	s_xor_b64 s[8:9], exec, s[8:9]
	s_cbranch_execz .LBB306_2
; %bb.1:
	s_load_dwordx4 s[12:15], s[4:5], 0x20
	s_waitcnt lgkmcnt(0)
	v_mov_b32_e32 v2, s12
	v_mov_b32_e32 v3, s13
	v_mov_b32_e32 v4, s14
	v_mov_b32_e32 v5, s15
	ds_write_b128 v1, v[2:5]
                                        ; implicit-def: $vgpr2
                                        ; implicit-def: $vgpr1
.LBB306_2:
	s_andn2_saveexec_b64 s[8:9], s[8:9]
	s_cbranch_execz .LBB306_4
; %bb.3:
	s_load_dwordx2 s[10:11], s[4:5], 0x10
	s_mul_i32 s0, s2, s7
	v_add_u32_e32 v2, s0, v2
	v_ashrrev_i32_e32 v3, 31, v2
	v_lshlrev_b64 v[2:3], 4, v[2:3]
	s_waitcnt lgkmcnt(0)
	v_mov_b32_e32 v4, s11
	v_add_co_u32_e32 v2, vcc, s10, v2
	v_addc_co_u32_e32 v3, vcc, v4, v3, vcc
	global_load_dwordx4 v[2:5], v[2:3], off
	s_waitcnt vmcnt(0)
	ds_write2_b64 v1, v[2:3], v[4:5] offset1:1
.LBB306_4:
	s_or_b64 exec, exec, s[8:9]
	v_and_b32_e32 v3, 15, v0
	v_lshrrev_b32_e32 v2, 4, v0
	s_lshr_b32 s0, s1, 4
	v_lshl_or_b32 v0, s6, 4, v3
	v_mad_u64_u32 v[0:1], s[2:3], s0, v2, v[0:1]
	s_waitcnt lgkmcnt(0)
	s_barrier
	v_cmp_gt_i32_e32 vcc, s1, v0
	s_and_saveexec_b64 s[2:3], vcc
	s_cbranch_execz .LBB306_6
; %bb.5:
	s_mul_i32 s0, s1, s7
	s_load_dwordx2 s[2:3], s[4:5], 0x18
	v_lshlrev_b32_e32 v1, 4, v2
	v_add_u32_e32 v0, s0, v0
	v_lshl_or_b32 v2, v3, 8, v1
	v_ashrrev_i32_e32 v1, 31, v0
	v_lshlrev_b64 v[4:5], 4, v[0:1]
	ds_read2_b64 v[0:3], v2 offset1:1
	s_waitcnt lgkmcnt(0)
	v_mov_b32_e32 v6, s3
	v_add_co_u32_e32 v4, vcc, s2, v4
	v_addc_co_u32_e32 v5, vcc, v6, v5, vcc
	global_store_dwordx4 v[4:5], v[0:3], off
.LBB306_6:
	s_endpgm
	.section	.rodata,"a",@progbits
	.p2align	6, 0x0
	.amdhsa_kernel _ZN9rocsparseL42gtsv_transpose_and_pad_array_shared_kernelILj256ELj16E21rocsparse_complex_numIdEEEviiiPKT1_PS3_S3_
		.amdhsa_group_segment_fixed_size 4096
		.amdhsa_private_segment_fixed_size 0
		.amdhsa_kernarg_size 48
		.amdhsa_user_sgpr_count 6
		.amdhsa_user_sgpr_private_segment_buffer 1
		.amdhsa_user_sgpr_dispatch_ptr 0
		.amdhsa_user_sgpr_queue_ptr 0
		.amdhsa_user_sgpr_kernarg_segment_ptr 1
		.amdhsa_user_sgpr_dispatch_id 0
		.amdhsa_user_sgpr_flat_scratch_init 0
		.amdhsa_user_sgpr_private_segment_size 0
		.amdhsa_uses_dynamic_stack 0
		.amdhsa_system_sgpr_private_segment_wavefront_offset 0
		.amdhsa_system_sgpr_workgroup_id_x 1
		.amdhsa_system_sgpr_workgroup_id_y 1
		.amdhsa_system_sgpr_workgroup_id_z 0
		.amdhsa_system_sgpr_workgroup_info 0
		.amdhsa_system_vgpr_workitem_id 0
		.amdhsa_next_free_vgpr 7
		.amdhsa_next_free_sgpr 16
		.amdhsa_reserve_vcc 1
		.amdhsa_reserve_flat_scratch 0
		.amdhsa_float_round_mode_32 0
		.amdhsa_float_round_mode_16_64 0
		.amdhsa_float_denorm_mode_32 3
		.amdhsa_float_denorm_mode_16_64 3
		.amdhsa_dx10_clamp 1
		.amdhsa_ieee_mode 1
		.amdhsa_fp16_overflow 0
		.amdhsa_exception_fp_ieee_invalid_op 0
		.amdhsa_exception_fp_denorm_src 0
		.amdhsa_exception_fp_ieee_div_zero 0
		.amdhsa_exception_fp_ieee_overflow 0
		.amdhsa_exception_fp_ieee_underflow 0
		.amdhsa_exception_fp_ieee_inexact 0
		.amdhsa_exception_int_div_zero 0
	.end_amdhsa_kernel
	.section	.text._ZN9rocsparseL42gtsv_transpose_and_pad_array_shared_kernelILj256ELj16E21rocsparse_complex_numIdEEEviiiPKT1_PS3_S3_,"axG",@progbits,_ZN9rocsparseL42gtsv_transpose_and_pad_array_shared_kernelILj256ELj16E21rocsparse_complex_numIdEEEviiiPKT1_PS3_S3_,comdat
.Lfunc_end306:
	.size	_ZN9rocsparseL42gtsv_transpose_and_pad_array_shared_kernelILj256ELj16E21rocsparse_complex_numIdEEEviiiPKT1_PS3_S3_, .Lfunc_end306-_ZN9rocsparseL42gtsv_transpose_and_pad_array_shared_kernelILj256ELj16E21rocsparse_complex_numIdEEEviiiPKT1_PS3_S3_
                                        ; -- End function
	.set _ZN9rocsparseL42gtsv_transpose_and_pad_array_shared_kernelILj256ELj16E21rocsparse_complex_numIdEEEviiiPKT1_PS3_S3_.num_vgpr, 7
	.set _ZN9rocsparseL42gtsv_transpose_and_pad_array_shared_kernelILj256ELj16E21rocsparse_complex_numIdEEEviiiPKT1_PS3_S3_.num_agpr, 0
	.set _ZN9rocsparseL42gtsv_transpose_and_pad_array_shared_kernelILj256ELj16E21rocsparse_complex_numIdEEEviiiPKT1_PS3_S3_.numbered_sgpr, 16
	.set _ZN9rocsparseL42gtsv_transpose_and_pad_array_shared_kernelILj256ELj16E21rocsparse_complex_numIdEEEviiiPKT1_PS3_S3_.num_named_barrier, 0
	.set _ZN9rocsparseL42gtsv_transpose_and_pad_array_shared_kernelILj256ELj16E21rocsparse_complex_numIdEEEviiiPKT1_PS3_S3_.private_seg_size, 0
	.set _ZN9rocsparseL42gtsv_transpose_and_pad_array_shared_kernelILj256ELj16E21rocsparse_complex_numIdEEEviiiPKT1_PS3_S3_.uses_vcc, 1
	.set _ZN9rocsparseL42gtsv_transpose_and_pad_array_shared_kernelILj256ELj16E21rocsparse_complex_numIdEEEviiiPKT1_PS3_S3_.uses_flat_scratch, 0
	.set _ZN9rocsparseL42gtsv_transpose_and_pad_array_shared_kernelILj256ELj16E21rocsparse_complex_numIdEEEviiiPKT1_PS3_S3_.has_dyn_sized_stack, 0
	.set _ZN9rocsparseL42gtsv_transpose_and_pad_array_shared_kernelILj256ELj16E21rocsparse_complex_numIdEEEviiiPKT1_PS3_S3_.has_recursion, 0
	.set _ZN9rocsparseL42gtsv_transpose_and_pad_array_shared_kernelILj256ELj16E21rocsparse_complex_numIdEEEviiiPKT1_PS3_S3_.has_indirect_call, 0
	.section	.AMDGPU.csdata,"",@progbits
; Kernel info:
; codeLenInByte = 276
; TotalNumSgprs: 20
; NumVgprs: 7
; ScratchSize: 0
; MemoryBound: 0
; FloatMode: 240
; IeeeMode: 1
; LDSByteSize: 4096 bytes/workgroup (compile time only)
; SGPRBlocks: 2
; VGPRBlocks: 1
; NumSGPRsForWavesPerEU: 20
; NumVGPRsForWavesPerEU: 7
; Occupancy: 10
; WaveLimiterHint : 0
; COMPUTE_PGM_RSRC2:SCRATCH_EN: 0
; COMPUTE_PGM_RSRC2:USER_SGPR: 6
; COMPUTE_PGM_RSRC2:TRAP_HANDLER: 0
; COMPUTE_PGM_RSRC2:TGID_X_EN: 1
; COMPUTE_PGM_RSRC2:TGID_Y_EN: 1
; COMPUTE_PGM_RSRC2:TGID_Z_EN: 0
; COMPUTE_PGM_RSRC2:TIDIG_COMP_CNT: 0
	.section	.text._ZN9rocsparseL18gtsv_LBM_wv_kernelILj256ELj16E21rocsparse_complex_numIdEEEviiiPKT1_S5_S5_PS3_S6_S6_Pi,"axG",@progbits,_ZN9rocsparseL18gtsv_LBM_wv_kernelILj256ELj16E21rocsparse_complex_numIdEEEviiiPKT1_S5_S5_PS3_S6_S6_Pi,comdat
	.globl	_ZN9rocsparseL18gtsv_LBM_wv_kernelILj256ELj16E21rocsparse_complex_numIdEEEviiiPKT1_S5_S5_PS3_S6_S6_Pi ; -- Begin function _ZN9rocsparseL18gtsv_LBM_wv_kernelILj256ELj16E21rocsparse_complex_numIdEEEviiiPKT1_S5_S5_PS3_S6_S6_Pi
	.p2align	8
	.type	_ZN9rocsparseL18gtsv_LBM_wv_kernelILj256ELj16E21rocsparse_complex_numIdEEEviiiPKT1_S5_S5_PS3_S6_S6_Pi,@function
_ZN9rocsparseL18gtsv_LBM_wv_kernelILj256ELj16E21rocsparse_complex_numIdEEEviiiPKT1_S5_S5_PS3_S6_S6_Pi: ; @_ZN9rocsparseL18gtsv_LBM_wv_kernelILj256ELj16E21rocsparse_complex_numIdEEEviiiPKT1_S5_S5_PS3_S6_S6_Pi
; %bb.0:
	s_load_dword s29, s[4:5], 0x0
	v_lshl_or_b32 v40, s6, 8, v0
	s_waitcnt lgkmcnt(0)
	s_lshr_b32 s28, s29, 4
	v_cmp_gt_i32_e32 vcc, s28, v40
	s_and_saveexec_b64 s[0:1], vcc
	s_cbranch_execz .LBB307_72
; %bb.1:
	s_load_dwordx2 s[16:17], s[4:5], 0x10
	s_load_dwordx8 s[8:15], s[4:5], 0x20
	v_ashrrev_i32_e32 v41, 31, v40
	v_lshlrev_b64 v[0:1], 4, v[40:41]
	s_mul_i32 s30, s28, 15
	v_add_u32_e32 v9, s30, v40
	v_mov_b32_e32 v10, 0
	s_waitcnt lgkmcnt(0)
	v_mov_b32_e32 v3, s17
	v_add_co_u32_e32 v2, vcc, s16, v0
	v_lshlrev_b64 v[11:12], 4, v[9:10]
	v_addc_co_u32_e32 v3, vcc, v3, v1, vcc
	v_mov_b32_e32 v7, s9
	v_add_co_u32_e32 v6, vcc, s8, v11
	global_load_dwordx4 v[2:5], v[2:3], off
	v_addc_co_u32_e32 v7, vcc, v7, v12, vcc
	global_load_dwordx4 v[6:9], v[6:7], off
	s_load_dwordx2 s[6:7], s[4:5], 0x40
	v_mov_b32_e32 v13, s13
	v_add_co_u32_e32 v11, vcc, s12, v11
	v_addc_co_u32_e32 v12, vcc, v13, v12, vcc
	v_mov_b32_e32 v14, s11
	v_add_co_u32_e32 v41, vcc, s10, v0
	s_cmp_lt_i32 s29, 1
	v_add_u32_e32 v61, s28, v40
	v_addc_co_u32_e32 v42, vcc, v14, v1, vcc
	v_mov_b32_e32 v43, v10
	s_waitcnt vmcnt(1)
	global_store_dwordx4 v[41:42], v[2:5], off
	s_waitcnt vmcnt(1)
	global_store_dwordx4 v[11:12], v[6:9], off
	s_cbranch_scc1 .LBB307_65
; %bb.2:
	s_load_dwordx2 s[18:19], s[4:5], 0x18
	s_mov_b32 s22, 0
	s_mov_b32 s24, 0x372fe950
	s_mul_i32 s31, s28, 14
	s_lshl_b32 s33, s28, 1
	s_waitcnt lgkmcnt(0)
	v_mov_b32_e32 v2, s19
	v_add_co_u32_e32 v0, vcc, s18, v0
	v_addc_co_u32_e32 v1, vcc, v2, v1, vcc
	global_load_dwordx4 v[0:3], v[0:1], off
	v_add_u32_e32 v62, s28, v61
	v_mov_b32_e32 v43, 0
	s_mov_b64 s[20:21], 0
	s_brev_b32 s23, 8
	v_mov_b32_e32 v63, 0x260
	s_mov_b32 s25, 0x3fe3c6ef
	v_mov_b32_e32 v64, 2
	v_mov_b32_e32 v65, 1
	;; [unrolled: 1-line block ×4, first 2 shown]
	s_branch .LBB307_5
.LBB307_3:                              ;   in Loop: Header=BB307_5 Depth=1
	s_or_b64 exec, exec, s[4:5]
	v_mul_f64 v[4:5], v[0:1], -v[32:33]
	v_mul_f64 v[0:1], v[0:1], v[34:35]
	v_mov_b32_e32 v8, s28
	v_fma_f64 v[4:5], v[34:35], v[2:3], v[4:5]
	v_fma_f64 v[2:3], v[32:33], v[2:3], v[0:1]
	v_add_f64 v[0:1], v[20:21], -v[4:5]
	v_add_f64 v[2:3], v[22:23], -v[2:3]
.LBB307_4:                              ;   in Loop: Header=BB307_5 Depth=1
	s_or_b64 exec, exec, s[2:3]
	v_add_u32_e32 v43, v8, v43
	v_cmp_le_i32_e32 vcc, s29, v43
	s_or_b64 s[20:21], vcc, s[20:21]
	s_andn2_b64 exec, exec, s[20:21]
	s_cbranch_execz .LBB307_64
.LBB307_5:                              ; =>This Inner Loop Header: Depth=1
	v_add_u32_e32 v45, v43, v40
	v_ashrrev_i32_e32 v46, 31, v45
	v_lshlrev_b64 v[47:48], 4, v[45:46]
	v_mov_b32_e32 v5, s9
	v_add_co_u32_e32 v4, vcc, s8, v47
	v_addc_co_u32_e32 v5, vcc, v5, v48, vcc
	global_load_dwordx4 v[16:19], v[4:5], off
	v_mov_b32_e32 v20, 0
	v_mov_b32_e32 v4, 0
	;; [unrolled: 1-line block ×6, first 2 shown]
	v_cmp_gt_u32_e64 s[0:1], s30, v43
	s_and_saveexec_b64 s[2:3], s[0:1]
	s_cbranch_execz .LBB307_7
; %bb.6:                                ;   in Loop: Header=BB307_5 Depth=1
	v_add_u32_e32 v4, v61, v43
	v_ashrrev_i32_e32 v5, 31, v4
	v_lshlrev_b64 v[4:5], 4, v[4:5]
	v_mov_b32_e32 v6, s17
	v_add_co_u32_e32 v4, vcc, s16, v4
	v_addc_co_u32_e32 v5, vcc, v6, v5, vcc
	global_load_dwordx4 v[4:7], v[4:5], off
.LBB307_7:                              ;   in Loop: Header=BB307_5 Depth=1
	s_or_b64 exec, exec, s[2:3]
	v_mov_b32_e32 v22, 0
	v_mov_b32_e32 v23, 0
	s_and_saveexec_b64 s[2:3], s[0:1]
	s_cbranch_execz .LBB307_9
; %bb.8:                                ;   in Loop: Header=BB307_5 Depth=1
	v_add_u32_e32 v8, v61, v43
	v_ashrrev_i32_e32 v9, 31, v8
	v_lshlrev_b64 v[8:9], 4, v[8:9]
	v_mov_b32_e32 v10, s19
	v_add_co_u32_e32 v8, vcc, s18, v8
	v_addc_co_u32_e32 v9, vcc, v10, v9, vcc
	global_load_dwordx4 v[20:23], v[8:9], off
.LBB307_9:                              ;   in Loop: Header=BB307_5 Depth=1
	s_or_b64 exec, exec, s[2:3]
	v_mov_b32_e32 v12, 0
	v_mov_b32_e32 v8, 0
	;; [unrolled: 1-line block ×6, first 2 shown]
	s_and_saveexec_b64 s[2:3], s[0:1]
	s_cbranch_execz .LBB307_11
; %bb.10:                               ;   in Loop: Header=BB307_5 Depth=1
	v_add_u32_e32 v8, v61, v43
	v_ashrrev_i32_e32 v9, 31, v8
	v_lshlrev_b64 v[8:9], 4, v[8:9]
	v_mov_b32_e32 v10, s9
	v_add_co_u32_e32 v8, vcc, s8, v8
	v_addc_co_u32_e32 v9, vcc, v10, v9, vcc
	global_load_dwordx4 v[8:11], v[8:9], off
.LBB307_11:                             ;   in Loop: Header=BB307_5 Depth=1
	s_or_b64 exec, exec, s[2:3]
	v_mov_b32_e32 v14, 0
	v_mov_b32_e32 v15, 0
	v_cmp_gt_u32_e64 s[2:3], s31, v43
	s_and_saveexec_b64 s[4:5], s[2:3]
	s_cbranch_execz .LBB307_13
; %bb.12:                               ;   in Loop: Header=BB307_5 Depth=1
	v_add_u32_e32 v12, v62, v43
	v_ashrrev_i32_e32 v13, 31, v12
	v_lshlrev_b64 v[12:13], 4, v[12:13]
	v_mov_b32_e32 v14, s17
	v_add_co_u32_e32 v12, vcc, s16, v12
	v_addc_co_u32_e32 v13, vcc, v14, v13, vcc
	global_load_dwordx4 v[12:15], v[12:13], off
.LBB307_13:                             ;   in Loop: Header=BB307_5 Depth=1
	s_or_b64 exec, exec, s[4:5]
	s_waitcnt vmcnt(0)
	v_cmp_gt_f64_e32 vcc, 0, v[4:5]
	v_xor_b32_e32 v24, 0x80000000, v5
	v_mov_b32_e32 v26, v4
	v_mov_b32_e32 v28, v6
	v_cndmask_b32_e32 v27, v5, v24, vcc
	v_cmp_gt_f64_e32 vcc, 0, v[6:7]
	v_xor_b32_e32 v24, 0x80000000, v7
	v_cndmask_b32_e32 v29, v7, v24, vcc
	v_cmp_ngt_f64_e32 vcc, v[26:27], v[28:29]
                                        ; implicit-def: $vgpr24_vgpr25
	s_and_saveexec_b64 s[4:5], vcc
	s_xor_b64 s[4:5], exec, s[4:5]
	s_cbranch_execz .LBB307_17
; %bb.14:                               ;   in Loop: Header=BB307_5 Depth=1
	v_cmp_neq_f64_e32 vcc, 0, v[6:7]
	v_mov_b32_e32 v24, 0
	v_mov_b32_e32 v25, 0
	s_and_saveexec_b64 s[26:27], vcc
	s_cbranch_execz .LBB307_16
; %bb.15:                               ;   in Loop: Header=BB307_5 Depth=1
	v_div_scale_f64 v[24:25], s[34:35], v[28:29], v[28:29], v[26:27]
	v_rcp_f64_e32 v[30:31], v[24:25]
	v_fma_f64 v[32:33], -v[24:25], v[30:31], 1.0
	v_fma_f64 v[30:31], v[30:31], v[32:33], v[30:31]
	v_div_scale_f64 v[32:33], vcc, v[26:27], v[28:29], v[26:27]
	v_fma_f64 v[34:35], -v[24:25], v[30:31], 1.0
	v_fma_f64 v[30:31], v[30:31], v[34:35], v[30:31]
	v_mul_f64 v[34:35], v[32:33], v[30:31]
	v_fma_f64 v[24:25], -v[24:25], v[34:35], v[32:33]
	v_div_fmas_f64 v[24:25], v[24:25], v[30:31], v[34:35]
	v_div_fixup_f64 v[24:25], v[24:25], v[28:29], v[26:27]
	v_fma_f64 v[24:25], v[24:25], v[24:25], 1.0
	v_cmp_gt_f64_e32 vcc, s[22:23], v[24:25]
	v_cndmask_b32_e32 v26, 0, v66, vcc
	v_ldexp_f64 v[24:25], v[24:25], v26
	v_rsq_f64_e32 v[26:27], v[24:25]
	v_mul_f64 v[30:31], v[24:25], v[26:27]
	v_mul_f64 v[26:27], v[26:27], 0.5
	v_fma_f64 v[32:33], -v[26:27], v[30:31], 0.5
	v_fma_f64 v[30:31], v[30:31], v[32:33], v[30:31]
	v_fma_f64 v[26:27], v[26:27], v[32:33], v[26:27]
	v_fma_f64 v[32:33], -v[30:31], v[30:31], v[24:25]
	v_fma_f64 v[30:31], v[32:33], v[26:27], v[30:31]
	v_fma_f64 v[32:33], -v[30:31], v[30:31], v[24:25]
	v_fma_f64 v[26:27], v[32:33], v[26:27], v[30:31]
	v_cndmask_b32_e32 v30, 0, v67, vcc
	v_cmp_class_f64_e32 vcc, v[24:25], v63
	v_ldexp_f64 v[26:27], v[26:27], v30
	v_cndmask_b32_e32 v25, v27, v25, vcc
	v_cndmask_b32_e32 v24, v26, v24, vcc
	v_mul_f64 v[24:25], v[28:29], v[24:25]
.LBB307_16:                             ;   in Loop: Header=BB307_5 Depth=1
	s_or_b64 exec, exec, s[26:27]
                                        ; implicit-def: $vgpr26_vgpr27
                                        ; implicit-def: $vgpr28_vgpr29
.LBB307_17:                             ;   in Loop: Header=BB307_5 Depth=1
	s_andn2_saveexec_b64 s[4:5], s[4:5]
	s_cbranch_execz .LBB307_19
; %bb.18:                               ;   in Loop: Header=BB307_5 Depth=1
	v_div_scale_f64 v[24:25], s[26:27], v[26:27], v[26:27], v[28:29]
	v_rcp_f64_e32 v[30:31], v[24:25]
	v_fma_f64 v[32:33], -v[24:25], v[30:31], 1.0
	v_fma_f64 v[30:31], v[30:31], v[32:33], v[30:31]
	v_div_scale_f64 v[32:33], vcc, v[28:29], v[26:27], v[28:29]
	v_fma_f64 v[34:35], -v[24:25], v[30:31], 1.0
	v_fma_f64 v[30:31], v[30:31], v[34:35], v[30:31]
	v_mul_f64 v[34:35], v[32:33], v[30:31]
	v_fma_f64 v[24:25], -v[24:25], v[34:35], v[32:33]
	v_div_fmas_f64 v[24:25], v[24:25], v[30:31], v[34:35]
	v_div_fixup_f64 v[24:25], v[24:25], v[26:27], v[28:29]
	v_fma_f64 v[24:25], v[24:25], v[24:25], 1.0
	v_cmp_gt_f64_e32 vcc, s[22:23], v[24:25]
	v_cndmask_b32_e32 v28, 0, v66, vcc
	v_ldexp_f64 v[24:25], v[24:25], v28
	v_rsq_f64_e32 v[28:29], v[24:25]
	v_mul_f64 v[30:31], v[24:25], v[28:29]
	v_mul_f64 v[28:29], v[28:29], 0.5
	v_fma_f64 v[32:33], -v[28:29], v[30:31], 0.5
	v_fma_f64 v[30:31], v[30:31], v[32:33], v[30:31]
	v_fma_f64 v[28:29], v[28:29], v[32:33], v[28:29]
	v_fma_f64 v[32:33], -v[30:31], v[30:31], v[24:25]
	v_fma_f64 v[30:31], v[32:33], v[28:29], v[30:31]
	v_fma_f64 v[32:33], -v[30:31], v[30:31], v[24:25]
	v_fma_f64 v[28:29], v[32:33], v[28:29], v[30:31]
	v_cndmask_b32_e32 v30, 0, v67, vcc
	v_cmp_class_f64_e32 vcc, v[24:25], v63
	v_ldexp_f64 v[28:29], v[28:29], v30
	v_cndmask_b32_e32 v25, v29, v25, vcc
	v_cndmask_b32_e32 v24, v28, v24, vcc
	v_mul_f64 v[24:25], v[26:27], v[24:25]
.LBB307_19:                             ;   in Loop: Header=BB307_5 Depth=1
	s_or_b64 exec, exec, s[4:5]
	v_cmp_gt_f64_e32 vcc, 0, v[12:13]
	v_xor_b32_e32 v26, 0x80000000, v13
	v_mov_b32_e32 v28, v12
	v_mov_b32_e32 v30, v14
	v_cndmask_b32_e32 v29, v13, v26, vcc
	v_cmp_gt_f64_e32 vcc, 0, v[14:15]
	v_xor_b32_e32 v26, 0x80000000, v15
	v_cndmask_b32_e32 v31, v15, v26, vcc
	v_cmp_ngt_f64_e32 vcc, v[28:29], v[30:31]
                                        ; implicit-def: $vgpr26_vgpr27
	s_and_saveexec_b64 s[4:5], vcc
	s_xor_b64 s[4:5], exec, s[4:5]
	s_cbranch_execz .LBB307_23
; %bb.20:                               ;   in Loop: Header=BB307_5 Depth=1
	v_cmp_neq_f64_e32 vcc, 0, v[14:15]
	v_mov_b32_e32 v26, 0
	v_mov_b32_e32 v27, 0
	s_and_saveexec_b64 s[26:27], vcc
	s_cbranch_execz .LBB307_22
; %bb.21:                               ;   in Loop: Header=BB307_5 Depth=1
	v_div_scale_f64 v[26:27], s[34:35], v[30:31], v[30:31], v[28:29]
	v_rcp_f64_e32 v[32:33], v[26:27]
	v_fma_f64 v[34:35], -v[26:27], v[32:33], 1.0
	v_fma_f64 v[32:33], v[32:33], v[34:35], v[32:33]
	v_div_scale_f64 v[34:35], vcc, v[28:29], v[30:31], v[28:29]
	v_fma_f64 v[36:37], -v[26:27], v[32:33], 1.0
	v_fma_f64 v[32:33], v[32:33], v[36:37], v[32:33]
	v_mul_f64 v[36:37], v[34:35], v[32:33]
	v_fma_f64 v[26:27], -v[26:27], v[36:37], v[34:35]
	v_div_fmas_f64 v[26:27], v[26:27], v[32:33], v[36:37]
	v_div_fixup_f64 v[26:27], v[26:27], v[30:31], v[28:29]
	v_fma_f64 v[26:27], v[26:27], v[26:27], 1.0
	v_cmp_gt_f64_e32 vcc, s[22:23], v[26:27]
	v_cndmask_b32_e32 v28, 0, v66, vcc
	v_ldexp_f64 v[26:27], v[26:27], v28
	v_rsq_f64_e32 v[28:29], v[26:27]
	v_mul_f64 v[32:33], v[26:27], v[28:29]
	v_mul_f64 v[28:29], v[28:29], 0.5
	v_fma_f64 v[34:35], -v[28:29], v[32:33], 0.5
	v_fma_f64 v[32:33], v[32:33], v[34:35], v[32:33]
	v_fma_f64 v[28:29], v[28:29], v[34:35], v[28:29]
	v_fma_f64 v[34:35], -v[32:33], v[32:33], v[26:27]
	v_fma_f64 v[32:33], v[34:35], v[28:29], v[32:33]
	v_fma_f64 v[34:35], -v[32:33], v[32:33], v[26:27]
	v_fma_f64 v[28:29], v[34:35], v[28:29], v[32:33]
	v_cndmask_b32_e32 v32, 0, v67, vcc
	v_cmp_class_f64_e32 vcc, v[26:27], v63
	v_ldexp_f64 v[28:29], v[28:29], v32
	v_cndmask_b32_e32 v27, v29, v27, vcc
	v_cndmask_b32_e32 v26, v28, v26, vcc
	v_mul_f64 v[26:27], v[30:31], v[26:27]
.LBB307_22:                             ;   in Loop: Header=BB307_5 Depth=1
	s_or_b64 exec, exec, s[26:27]
                                        ; implicit-def: $vgpr28_vgpr29
                                        ; implicit-def: $vgpr30_vgpr31
.LBB307_23:                             ;   in Loop: Header=BB307_5 Depth=1
	s_andn2_saveexec_b64 s[4:5], s[4:5]
	s_cbranch_execz .LBB307_25
; %bb.24:                               ;   in Loop: Header=BB307_5 Depth=1
	v_div_scale_f64 v[26:27], s[26:27], v[28:29], v[28:29], v[30:31]
	v_rcp_f64_e32 v[32:33], v[26:27]
	v_fma_f64 v[34:35], -v[26:27], v[32:33], 1.0
	v_fma_f64 v[32:33], v[32:33], v[34:35], v[32:33]
	v_div_scale_f64 v[34:35], vcc, v[30:31], v[28:29], v[30:31]
	v_fma_f64 v[36:37], -v[26:27], v[32:33], 1.0
	v_fma_f64 v[32:33], v[32:33], v[36:37], v[32:33]
	v_mul_f64 v[36:37], v[34:35], v[32:33]
	v_fma_f64 v[26:27], -v[26:27], v[36:37], v[34:35]
	v_div_fmas_f64 v[26:27], v[26:27], v[32:33], v[36:37]
	v_div_fixup_f64 v[26:27], v[26:27], v[28:29], v[30:31]
	v_fma_f64 v[26:27], v[26:27], v[26:27], 1.0
	v_cmp_gt_f64_e32 vcc, s[22:23], v[26:27]
	v_cndmask_b32_e32 v30, 0, v66, vcc
	v_ldexp_f64 v[26:27], v[26:27], v30
	v_rsq_f64_e32 v[30:31], v[26:27]
	v_mul_f64 v[32:33], v[26:27], v[30:31]
	v_mul_f64 v[30:31], v[30:31], 0.5
	v_fma_f64 v[34:35], -v[30:31], v[32:33], 0.5
	v_fma_f64 v[32:33], v[32:33], v[34:35], v[32:33]
	v_fma_f64 v[30:31], v[30:31], v[34:35], v[30:31]
	v_fma_f64 v[34:35], -v[32:33], v[32:33], v[26:27]
	v_fma_f64 v[32:33], v[34:35], v[30:31], v[32:33]
	v_fma_f64 v[34:35], -v[32:33], v[32:33], v[26:27]
	v_fma_f64 v[30:31], v[34:35], v[30:31], v[32:33]
	v_cndmask_b32_e32 v32, 0, v67, vcc
	v_cmp_class_f64_e32 vcc, v[26:27], v63
	v_ldexp_f64 v[30:31], v[30:31], v32
	v_cndmask_b32_e32 v27, v31, v27, vcc
	v_cndmask_b32_e32 v26, v30, v26, vcc
	v_mul_f64 v[26:27], v[28:29], v[26:27]
.LBB307_25:                             ;   in Loop: Header=BB307_5 Depth=1
	s_or_b64 exec, exec, s[4:5]
	v_cmp_gt_f64_e32 vcc, 0, v[20:21]
	v_xor_b32_e32 v28, 0x80000000, v21
	v_mov_b32_e32 v30, v20
	v_mov_b32_e32 v32, v22
	v_cndmask_b32_e32 v31, v21, v28, vcc
	v_cmp_gt_f64_e32 vcc, 0, v[22:23]
	v_xor_b32_e32 v28, 0x80000000, v23
	v_cndmask_b32_e32 v33, v23, v28, vcc
	v_cmp_ngt_f64_e32 vcc, v[30:31], v[32:33]
                                        ; implicit-def: $vgpr28_vgpr29
	s_and_saveexec_b64 s[4:5], vcc
	s_xor_b64 s[4:5], exec, s[4:5]
	s_cbranch_execz .LBB307_29
; %bb.26:                               ;   in Loop: Header=BB307_5 Depth=1
	v_cmp_neq_f64_e32 vcc, 0, v[22:23]
	v_mov_b32_e32 v28, 0
	v_mov_b32_e32 v29, 0
	s_and_saveexec_b64 s[26:27], vcc
	s_cbranch_execz .LBB307_28
; %bb.27:                               ;   in Loop: Header=BB307_5 Depth=1
	v_div_scale_f64 v[28:29], s[34:35], v[32:33], v[32:33], v[30:31]
	v_rcp_f64_e32 v[34:35], v[28:29]
	v_fma_f64 v[36:37], -v[28:29], v[34:35], 1.0
	v_fma_f64 v[34:35], v[34:35], v[36:37], v[34:35]
	v_div_scale_f64 v[36:37], vcc, v[30:31], v[32:33], v[30:31]
	v_fma_f64 v[38:39], -v[28:29], v[34:35], 1.0
	v_fma_f64 v[34:35], v[34:35], v[38:39], v[34:35]
	v_mul_f64 v[38:39], v[36:37], v[34:35]
	v_fma_f64 v[28:29], -v[28:29], v[38:39], v[36:37]
	v_div_fmas_f64 v[28:29], v[28:29], v[34:35], v[38:39]
	v_div_fixup_f64 v[28:29], v[28:29], v[32:33], v[30:31]
	v_fma_f64 v[28:29], v[28:29], v[28:29], 1.0
	v_cmp_gt_f64_e32 vcc, s[22:23], v[28:29]
	v_cndmask_b32_e32 v30, 0, v66, vcc
	v_ldexp_f64 v[28:29], v[28:29], v30
	v_rsq_f64_e32 v[30:31], v[28:29]
	v_mul_f64 v[34:35], v[28:29], v[30:31]
	v_mul_f64 v[30:31], v[30:31], 0.5
	v_fma_f64 v[36:37], -v[30:31], v[34:35], 0.5
	v_fma_f64 v[34:35], v[34:35], v[36:37], v[34:35]
	v_fma_f64 v[30:31], v[30:31], v[36:37], v[30:31]
	v_fma_f64 v[36:37], -v[34:35], v[34:35], v[28:29]
	v_fma_f64 v[34:35], v[36:37], v[30:31], v[34:35]
	v_fma_f64 v[36:37], -v[34:35], v[34:35], v[28:29]
	v_fma_f64 v[30:31], v[36:37], v[30:31], v[34:35]
	v_cndmask_b32_e32 v34, 0, v67, vcc
	v_cmp_class_f64_e32 vcc, v[28:29], v63
	v_ldexp_f64 v[30:31], v[30:31], v34
	v_cndmask_b32_e32 v29, v31, v29, vcc
	v_cndmask_b32_e32 v28, v30, v28, vcc
	v_mul_f64 v[28:29], v[32:33], v[28:29]
.LBB307_28:                             ;   in Loop: Header=BB307_5 Depth=1
	s_or_b64 exec, exec, s[26:27]
                                        ; implicit-def: $vgpr30_vgpr31
                                        ; implicit-def: $vgpr32_vgpr33
.LBB307_29:                             ;   in Loop: Header=BB307_5 Depth=1
	s_andn2_saveexec_b64 s[4:5], s[4:5]
	s_cbranch_execz .LBB307_31
; %bb.30:                               ;   in Loop: Header=BB307_5 Depth=1
	v_div_scale_f64 v[28:29], s[26:27], v[30:31], v[30:31], v[32:33]
	v_rcp_f64_e32 v[34:35], v[28:29]
	v_fma_f64 v[36:37], -v[28:29], v[34:35], 1.0
	v_fma_f64 v[34:35], v[34:35], v[36:37], v[34:35]
	v_div_scale_f64 v[36:37], vcc, v[32:33], v[30:31], v[32:33]
	v_fma_f64 v[38:39], -v[28:29], v[34:35], 1.0
	v_fma_f64 v[34:35], v[34:35], v[38:39], v[34:35]
	v_mul_f64 v[38:39], v[36:37], v[34:35]
	v_fma_f64 v[28:29], -v[28:29], v[38:39], v[36:37]
	v_div_fmas_f64 v[28:29], v[28:29], v[34:35], v[38:39]
	v_div_fixup_f64 v[28:29], v[28:29], v[30:31], v[32:33]
	v_fma_f64 v[28:29], v[28:29], v[28:29], 1.0
	v_cmp_gt_f64_e32 vcc, s[22:23], v[28:29]
	v_cndmask_b32_e32 v32, 0, v66, vcc
	v_ldexp_f64 v[28:29], v[28:29], v32
	v_rsq_f64_e32 v[32:33], v[28:29]
	v_mul_f64 v[34:35], v[28:29], v[32:33]
	v_mul_f64 v[32:33], v[32:33], 0.5
	v_fma_f64 v[36:37], -v[32:33], v[34:35], 0.5
	v_fma_f64 v[34:35], v[34:35], v[36:37], v[34:35]
	v_fma_f64 v[32:33], v[32:33], v[36:37], v[32:33]
	v_fma_f64 v[36:37], -v[34:35], v[34:35], v[28:29]
	v_fma_f64 v[34:35], v[36:37], v[32:33], v[34:35]
	v_fma_f64 v[36:37], -v[34:35], v[34:35], v[28:29]
	v_fma_f64 v[32:33], v[36:37], v[32:33], v[34:35]
	v_cndmask_b32_e32 v34, 0, v67, vcc
	v_cmp_class_f64_e32 vcc, v[28:29], v63
	v_ldexp_f64 v[32:33], v[32:33], v34
	v_cndmask_b32_e32 v29, v33, v29, vcc
	v_cndmask_b32_e32 v28, v32, v28, vcc
	v_mul_f64 v[28:29], v[30:31], v[28:29]
.LBB307_31:                             ;   in Loop: Header=BB307_5 Depth=1
	s_or_b64 exec, exec, s[4:5]
	v_cmp_gt_f64_e32 vcc, 0, v[16:17]
	v_xor_b32_e32 v30, 0x80000000, v17
	v_mov_b32_e32 v32, v16
	v_mov_b32_e32 v34, v18
	v_cndmask_b32_e32 v33, v17, v30, vcc
	v_cmp_gt_f64_e32 vcc, 0, v[18:19]
	v_xor_b32_e32 v30, 0x80000000, v19
	v_cndmask_b32_e32 v35, v19, v30, vcc
	v_cmp_ngt_f64_e32 vcc, v[32:33], v[34:35]
                                        ; implicit-def: $vgpr30_vgpr31
	s_and_saveexec_b64 s[4:5], vcc
	s_xor_b64 s[4:5], exec, s[4:5]
	s_cbranch_execz .LBB307_35
; %bb.32:                               ;   in Loop: Header=BB307_5 Depth=1
	v_cmp_neq_f64_e32 vcc, 0, v[18:19]
	v_mov_b32_e32 v30, 0
	v_mov_b32_e32 v31, 0
	s_and_saveexec_b64 s[26:27], vcc
	s_cbranch_execz .LBB307_34
; %bb.33:                               ;   in Loop: Header=BB307_5 Depth=1
	v_div_scale_f64 v[30:31], s[34:35], v[34:35], v[34:35], v[32:33]
	v_rcp_f64_e32 v[36:37], v[30:31]
	v_fma_f64 v[38:39], -v[30:31], v[36:37], 1.0
	v_fma_f64 v[36:37], v[36:37], v[38:39], v[36:37]
	v_div_scale_f64 v[38:39], vcc, v[32:33], v[34:35], v[32:33]
	v_fma_f64 v[49:50], -v[30:31], v[36:37], 1.0
	v_fma_f64 v[36:37], v[36:37], v[49:50], v[36:37]
	v_mul_f64 v[49:50], v[38:39], v[36:37]
	v_fma_f64 v[30:31], -v[30:31], v[49:50], v[38:39]
	v_div_fmas_f64 v[30:31], v[30:31], v[36:37], v[49:50]
	v_div_fixup_f64 v[30:31], v[30:31], v[34:35], v[32:33]
	v_fma_f64 v[30:31], v[30:31], v[30:31], 1.0
	v_cmp_gt_f64_e32 vcc, s[22:23], v[30:31]
	v_cndmask_b32_e32 v32, 0, v66, vcc
	v_ldexp_f64 v[30:31], v[30:31], v32
	v_rsq_f64_e32 v[32:33], v[30:31]
	v_mul_f64 v[36:37], v[30:31], v[32:33]
	v_mul_f64 v[32:33], v[32:33], 0.5
	v_fma_f64 v[38:39], -v[32:33], v[36:37], 0.5
	v_fma_f64 v[36:37], v[36:37], v[38:39], v[36:37]
	v_fma_f64 v[32:33], v[32:33], v[38:39], v[32:33]
	v_fma_f64 v[38:39], -v[36:37], v[36:37], v[30:31]
	v_fma_f64 v[36:37], v[38:39], v[32:33], v[36:37]
	v_fma_f64 v[38:39], -v[36:37], v[36:37], v[30:31]
	v_fma_f64 v[32:33], v[38:39], v[32:33], v[36:37]
	v_cndmask_b32_e32 v36, 0, v67, vcc
	v_cmp_class_f64_e32 vcc, v[30:31], v63
	v_ldexp_f64 v[32:33], v[32:33], v36
	v_cndmask_b32_e32 v31, v33, v31, vcc
	v_cndmask_b32_e32 v30, v32, v30, vcc
	v_mul_f64 v[30:31], v[34:35], v[30:31]
.LBB307_34:                             ;   in Loop: Header=BB307_5 Depth=1
	s_or_b64 exec, exec, s[26:27]
                                        ; implicit-def: $vgpr32_vgpr33
                                        ; implicit-def: $vgpr34_vgpr35
.LBB307_35:                             ;   in Loop: Header=BB307_5 Depth=1
	s_andn2_saveexec_b64 s[4:5], s[4:5]
	s_cbranch_execz .LBB307_37
; %bb.36:                               ;   in Loop: Header=BB307_5 Depth=1
	v_div_scale_f64 v[30:31], s[26:27], v[32:33], v[32:33], v[34:35]
	v_rcp_f64_e32 v[36:37], v[30:31]
	v_fma_f64 v[38:39], -v[30:31], v[36:37], 1.0
	v_fma_f64 v[36:37], v[36:37], v[38:39], v[36:37]
	v_div_scale_f64 v[38:39], vcc, v[34:35], v[32:33], v[34:35]
	v_fma_f64 v[49:50], -v[30:31], v[36:37], 1.0
	v_fma_f64 v[36:37], v[36:37], v[49:50], v[36:37]
	v_mul_f64 v[49:50], v[38:39], v[36:37]
	v_fma_f64 v[30:31], -v[30:31], v[49:50], v[38:39]
	v_div_fmas_f64 v[30:31], v[30:31], v[36:37], v[49:50]
	v_div_fixup_f64 v[30:31], v[30:31], v[32:33], v[34:35]
	v_fma_f64 v[30:31], v[30:31], v[30:31], 1.0
	v_cmp_gt_f64_e32 vcc, s[22:23], v[30:31]
	v_cndmask_b32_e32 v34, 0, v66, vcc
	v_ldexp_f64 v[30:31], v[30:31], v34
	v_rsq_f64_e32 v[34:35], v[30:31]
	v_mul_f64 v[36:37], v[30:31], v[34:35]
	v_mul_f64 v[34:35], v[34:35], 0.5
	v_fma_f64 v[38:39], -v[34:35], v[36:37], 0.5
	v_fma_f64 v[36:37], v[36:37], v[38:39], v[36:37]
	v_fma_f64 v[34:35], v[34:35], v[38:39], v[34:35]
	v_fma_f64 v[38:39], -v[36:37], v[36:37], v[30:31]
	v_fma_f64 v[36:37], v[38:39], v[34:35], v[36:37]
	v_fma_f64 v[38:39], -v[36:37], v[36:37], v[30:31]
	v_fma_f64 v[34:35], v[38:39], v[34:35], v[36:37]
	v_cndmask_b32_e32 v36, 0, v67, vcc
	v_cmp_class_f64_e32 vcc, v[30:31], v63
	v_ldexp_f64 v[34:35], v[34:35], v36
	v_cndmask_b32_e32 v31, v35, v31, vcc
	v_cndmask_b32_e32 v30, v34, v30, vcc
	v_mul_f64 v[30:31], v[32:33], v[30:31]
.LBB307_37:                             ;   in Loop: Header=BB307_5 Depth=1
	s_or_b64 exec, exec, s[4:5]
	v_cmp_gt_f64_e32 vcc, 0, v[8:9]
	v_xor_b32_e32 v32, 0x80000000, v9
	v_xor_b32_e32 v34, 0x80000000, v11
                                        ; implicit-def: $vgpr36_vgpr37
	v_cndmask_b32_e32 v33, v9, v32, vcc
	v_cmp_gt_f64_e32 vcc, 0, v[10:11]
	v_mov_b32_e32 v32, v8
	v_cndmask_b32_e32 v35, v11, v34, vcc
	v_mov_b32_e32 v34, v10
	v_cmp_ngt_f64_e32 vcc, v[32:33], v[34:35]
	s_and_saveexec_b64 s[4:5], vcc
	s_xor_b64 s[4:5], exec, s[4:5]
	s_cbranch_execz .LBB307_41
; %bb.38:                               ;   in Loop: Header=BB307_5 Depth=1
	v_cmp_neq_f64_e32 vcc, 0, v[10:11]
	v_mov_b32_e32 v36, 0
	v_mov_b32_e32 v37, 0
	s_and_saveexec_b64 s[26:27], vcc
	s_cbranch_execz .LBB307_40
; %bb.39:                               ;   in Loop: Header=BB307_5 Depth=1
	v_div_scale_f64 v[36:37], s[34:35], v[34:35], v[34:35], v[32:33]
	v_rcp_f64_e32 v[38:39], v[36:37]
	v_fma_f64 v[49:50], -v[36:37], v[38:39], 1.0
	v_fma_f64 v[38:39], v[38:39], v[49:50], v[38:39]
	v_div_scale_f64 v[49:50], vcc, v[32:33], v[34:35], v[32:33]
	v_fma_f64 v[51:52], -v[36:37], v[38:39], 1.0
	v_fma_f64 v[38:39], v[38:39], v[51:52], v[38:39]
	v_mul_f64 v[51:52], v[49:50], v[38:39]
	v_fma_f64 v[36:37], -v[36:37], v[51:52], v[49:50]
	v_div_fmas_f64 v[36:37], v[36:37], v[38:39], v[51:52]
	v_div_fixup_f64 v[32:33], v[36:37], v[34:35], v[32:33]
	v_fma_f64 v[32:33], v[32:33], v[32:33], 1.0
	v_cmp_gt_f64_e32 vcc, s[22:23], v[32:33]
	v_cndmask_b32_e32 v36, 0, v66, vcc
	v_ldexp_f64 v[32:33], v[32:33], v36
	v_rsq_f64_e32 v[36:37], v[32:33]
	v_mul_f64 v[38:39], v[32:33], v[36:37]
	v_mul_f64 v[36:37], v[36:37], 0.5
	v_fma_f64 v[49:50], -v[36:37], v[38:39], 0.5
	v_fma_f64 v[38:39], v[38:39], v[49:50], v[38:39]
	v_fma_f64 v[36:37], v[36:37], v[49:50], v[36:37]
	v_fma_f64 v[49:50], -v[38:39], v[38:39], v[32:33]
	v_fma_f64 v[38:39], v[49:50], v[36:37], v[38:39]
	v_fma_f64 v[49:50], -v[38:39], v[38:39], v[32:33]
	v_fma_f64 v[36:37], v[49:50], v[36:37], v[38:39]
	v_cndmask_b32_e32 v38, 0, v67, vcc
	v_cmp_class_f64_e32 vcc, v[32:33], v63
	v_ldexp_f64 v[36:37], v[36:37], v38
	v_cndmask_b32_e32 v33, v37, v33, vcc
	v_cndmask_b32_e32 v32, v36, v32, vcc
	v_mul_f64 v[36:37], v[34:35], v[32:33]
.LBB307_40:                             ;   in Loop: Header=BB307_5 Depth=1
	s_or_b64 exec, exec, s[26:27]
                                        ; implicit-def: $vgpr32_vgpr33
                                        ; implicit-def: $vgpr34_vgpr35
.LBB307_41:                             ;   in Loop: Header=BB307_5 Depth=1
	s_andn2_saveexec_b64 s[4:5], s[4:5]
	s_cbranch_execz .LBB307_43
; %bb.42:                               ;   in Loop: Header=BB307_5 Depth=1
	v_div_scale_f64 v[36:37], s[26:27], v[32:33], v[32:33], v[34:35]
	v_rcp_f64_e32 v[38:39], v[36:37]
	v_fma_f64 v[49:50], -v[36:37], v[38:39], 1.0
	v_fma_f64 v[38:39], v[38:39], v[49:50], v[38:39]
	v_div_scale_f64 v[49:50], vcc, v[34:35], v[32:33], v[34:35]
	v_fma_f64 v[51:52], -v[36:37], v[38:39], 1.0
	v_fma_f64 v[38:39], v[38:39], v[51:52], v[38:39]
	v_mul_f64 v[51:52], v[49:50], v[38:39]
	v_fma_f64 v[36:37], -v[36:37], v[51:52], v[49:50]
	v_div_fmas_f64 v[36:37], v[36:37], v[38:39], v[51:52]
	v_div_fixup_f64 v[34:35], v[36:37], v[32:33], v[34:35]
	v_fma_f64 v[34:35], v[34:35], v[34:35], 1.0
	v_cmp_gt_f64_e32 vcc, s[22:23], v[34:35]
	v_cndmask_b32_e32 v36, 0, v66, vcc
	v_ldexp_f64 v[34:35], v[34:35], v36
	v_rsq_f64_e32 v[36:37], v[34:35]
	v_mul_f64 v[38:39], v[34:35], v[36:37]
	v_mul_f64 v[36:37], v[36:37], 0.5
	v_fma_f64 v[49:50], -v[36:37], v[38:39], 0.5
	v_fma_f64 v[38:39], v[38:39], v[49:50], v[38:39]
	v_fma_f64 v[36:37], v[36:37], v[49:50], v[36:37]
	v_fma_f64 v[49:50], -v[38:39], v[38:39], v[34:35]
	v_fma_f64 v[38:39], v[49:50], v[36:37], v[38:39]
	v_fma_f64 v[49:50], -v[38:39], v[38:39], v[34:35]
	v_fma_f64 v[36:37], v[49:50], v[36:37], v[38:39]
	v_cndmask_b32_e32 v38, 0, v67, vcc
	v_cmp_class_f64_e32 vcc, v[34:35], v63
	v_ldexp_f64 v[36:37], v[36:37], v38
	v_cndmask_b32_e32 v35, v37, v35, vcc
	v_cndmask_b32_e32 v34, v36, v34, vcc
	v_mul_f64 v[36:37], v[32:33], v[34:35]
.LBB307_43:                             ;   in Loop: Header=BB307_5 Depth=1
	s_or_b64 exec, exec, s[4:5]
	v_cmp_gt_f64_e32 vcc, 0, v[0:1]
	v_xor_b32_e32 v32, 0x80000000, v1
	v_xor_b32_e32 v34, 0x80000000, v3
                                        ; implicit-def: $vgpr38_vgpr39
	v_cndmask_b32_e32 v33, v1, v32, vcc
	v_cmp_gt_f64_e32 vcc, 0, v[2:3]
	v_mov_b32_e32 v32, v0
	v_cndmask_b32_e32 v35, v3, v34, vcc
	v_mov_b32_e32 v34, v2
	v_cmp_ngt_f64_e32 vcc, v[32:33], v[34:35]
	s_and_saveexec_b64 s[4:5], vcc
	s_xor_b64 s[4:5], exec, s[4:5]
	s_cbranch_execz .LBB307_47
; %bb.44:                               ;   in Loop: Header=BB307_5 Depth=1
	v_cmp_neq_f64_e32 vcc, 0, v[2:3]
	v_mov_b32_e32 v38, 0
	v_mov_b32_e32 v39, 0
	s_and_saveexec_b64 s[26:27], vcc
	s_cbranch_execz .LBB307_46
; %bb.45:                               ;   in Loop: Header=BB307_5 Depth=1
	v_div_scale_f64 v[38:39], s[34:35], v[34:35], v[34:35], v[32:33]
	v_rcp_f64_e32 v[49:50], v[38:39]
	v_fma_f64 v[51:52], -v[38:39], v[49:50], 1.0
	v_fma_f64 v[49:50], v[49:50], v[51:52], v[49:50]
	v_div_scale_f64 v[51:52], vcc, v[32:33], v[34:35], v[32:33]
	v_fma_f64 v[53:54], -v[38:39], v[49:50], 1.0
	v_fma_f64 v[49:50], v[49:50], v[53:54], v[49:50]
	v_mul_f64 v[53:54], v[51:52], v[49:50]
	v_fma_f64 v[38:39], -v[38:39], v[53:54], v[51:52]
	v_div_fmas_f64 v[38:39], v[38:39], v[49:50], v[53:54]
	v_div_fixup_f64 v[32:33], v[38:39], v[34:35], v[32:33]
	v_fma_f64 v[32:33], v[32:33], v[32:33], 1.0
	v_cmp_gt_f64_e32 vcc, s[22:23], v[32:33]
	v_cndmask_b32_e32 v38, 0, v66, vcc
	v_ldexp_f64 v[32:33], v[32:33], v38
	v_cndmask_b32_e32 v44, 0, v67, vcc
	v_rsq_f64_e32 v[38:39], v[32:33]
	v_cmp_class_f64_e32 vcc, v[32:33], v63
	v_mul_f64 v[49:50], v[32:33], v[38:39]
	v_mul_f64 v[38:39], v[38:39], 0.5
	v_fma_f64 v[51:52], -v[38:39], v[49:50], 0.5
	v_fma_f64 v[49:50], v[49:50], v[51:52], v[49:50]
	v_fma_f64 v[38:39], v[38:39], v[51:52], v[38:39]
	v_fma_f64 v[51:52], -v[49:50], v[49:50], v[32:33]
	v_fma_f64 v[49:50], v[51:52], v[38:39], v[49:50]
	v_fma_f64 v[51:52], -v[49:50], v[49:50], v[32:33]
	v_fma_f64 v[38:39], v[51:52], v[38:39], v[49:50]
	v_ldexp_f64 v[38:39], v[38:39], v44
	v_cndmask_b32_e32 v33, v39, v33, vcc
	v_cndmask_b32_e32 v32, v38, v32, vcc
	v_mul_f64 v[38:39], v[34:35], v[32:33]
.LBB307_46:                             ;   in Loop: Header=BB307_5 Depth=1
	s_or_b64 exec, exec, s[26:27]
                                        ; implicit-def: $vgpr32_vgpr33
                                        ; implicit-def: $vgpr34_vgpr35
.LBB307_47:                             ;   in Loop: Header=BB307_5 Depth=1
	s_andn2_saveexec_b64 s[4:5], s[4:5]
	s_cbranch_execz .LBB307_49
; %bb.48:                               ;   in Loop: Header=BB307_5 Depth=1
	v_div_scale_f64 v[38:39], s[26:27], v[32:33], v[32:33], v[34:35]
	v_rcp_f64_e32 v[49:50], v[38:39]
	v_fma_f64 v[51:52], -v[38:39], v[49:50], 1.0
	v_fma_f64 v[49:50], v[49:50], v[51:52], v[49:50]
	v_div_scale_f64 v[51:52], vcc, v[34:35], v[32:33], v[34:35]
	v_fma_f64 v[53:54], -v[38:39], v[49:50], 1.0
	v_fma_f64 v[49:50], v[49:50], v[53:54], v[49:50]
	v_mul_f64 v[53:54], v[51:52], v[49:50]
	v_fma_f64 v[38:39], -v[38:39], v[53:54], v[51:52]
	v_div_fmas_f64 v[38:39], v[38:39], v[49:50], v[53:54]
	v_div_fixup_f64 v[34:35], v[38:39], v[32:33], v[34:35]
	v_fma_f64 v[34:35], v[34:35], v[34:35], 1.0
	v_cmp_gt_f64_e32 vcc, s[22:23], v[34:35]
	v_cndmask_b32_e32 v38, 0, v66, vcc
	v_ldexp_f64 v[34:35], v[34:35], v38
	v_cndmask_b32_e32 v44, 0, v67, vcc
	v_rsq_f64_e32 v[38:39], v[34:35]
	v_cmp_class_f64_e32 vcc, v[34:35], v63
	v_mul_f64 v[49:50], v[34:35], v[38:39]
	v_mul_f64 v[38:39], v[38:39], 0.5
	v_fma_f64 v[51:52], -v[38:39], v[49:50], 0.5
	v_fma_f64 v[49:50], v[49:50], v[51:52], v[49:50]
	v_fma_f64 v[38:39], v[38:39], v[51:52], v[38:39]
	v_fma_f64 v[51:52], -v[49:50], v[49:50], v[34:35]
	v_fma_f64 v[49:50], v[51:52], v[38:39], v[49:50]
	v_fma_f64 v[51:52], -v[49:50], v[49:50], v[34:35]
	v_fma_f64 v[38:39], v[51:52], v[38:39], v[49:50]
	v_ldexp_f64 v[38:39], v[38:39], v44
	v_cndmask_b32_e32 v35, v39, v35, vcc
	v_cndmask_b32_e32 v34, v38, v34, vcc
	v_mul_f64 v[38:39], v[32:33], v[34:35]
.LBB307_49:                             ;   in Loop: Header=BB307_5 Depth=1
	s_or_b64 exec, exec, s[4:5]
	v_mul_f64 v[32:33], v[18:19], -v[6:7]
	v_mul_f64 v[49:50], v[18:19], v[4:5]
                                        ; implicit-def: $vgpr53_vgpr54
	v_fma_f64 v[34:35], v[4:5], v[16:17], v[32:33]
	v_fma_f64 v[32:33], v[6:7], v[16:17], v[49:50]
	v_cmp_gt_f64_e32 vcc, 0, v[34:35]
	v_xor_b32_e32 v44, 0x80000000, v35
	v_xor_b32_e32 v51, 0x80000000, v33
	v_mov_b32_e32 v49, v34
	v_cndmask_b32_e32 v50, v35, v44, vcc
	v_cmp_gt_f64_e32 vcc, 0, v[32:33]
	v_cndmask_b32_e32 v52, v33, v51, vcc
	v_mov_b32_e32 v51, v32
	v_cmp_ngt_f64_e32 vcc, v[49:50], v[51:52]
	s_and_saveexec_b64 s[4:5], vcc
	s_xor_b64 s[4:5], exec, s[4:5]
	s_cbranch_execz .LBB307_53
; %bb.50:                               ;   in Loop: Header=BB307_5 Depth=1
	v_cmp_neq_f64_e32 vcc, 0, v[32:33]
	v_mov_b32_e32 v53, 0
	v_mov_b32_e32 v54, 0
	s_and_saveexec_b64 s[26:27], vcc
	s_cbranch_execz .LBB307_52
; %bb.51:                               ;   in Loop: Header=BB307_5 Depth=1
	v_div_scale_f64 v[53:54], s[34:35], v[51:52], v[51:52], v[49:50]
	v_rcp_f64_e32 v[55:56], v[53:54]
	v_fma_f64 v[57:58], -v[53:54], v[55:56], 1.0
	v_fma_f64 v[55:56], v[55:56], v[57:58], v[55:56]
	v_div_scale_f64 v[57:58], vcc, v[49:50], v[51:52], v[49:50]
	v_fma_f64 v[59:60], -v[53:54], v[55:56], 1.0
	v_fma_f64 v[55:56], v[55:56], v[59:60], v[55:56]
	v_mul_f64 v[59:60], v[57:58], v[55:56]
	v_fma_f64 v[53:54], -v[53:54], v[59:60], v[57:58]
	v_div_fmas_f64 v[53:54], v[53:54], v[55:56], v[59:60]
	v_div_fixup_f64 v[49:50], v[53:54], v[51:52], v[49:50]
	v_fma_f64 v[49:50], v[49:50], v[49:50], 1.0
	v_cmp_gt_f64_e32 vcc, s[22:23], v[49:50]
	v_cndmask_b32_e32 v44, 0, v66, vcc
	v_ldexp_f64 v[49:50], v[49:50], v44
	v_cndmask_b32_e32 v44, 0, v67, vcc
	v_rsq_f64_e32 v[53:54], v[49:50]
	v_cmp_class_f64_e32 vcc, v[49:50], v63
	v_mul_f64 v[55:56], v[49:50], v[53:54]
	v_mul_f64 v[53:54], v[53:54], 0.5
	v_fma_f64 v[57:58], -v[53:54], v[55:56], 0.5
	v_fma_f64 v[55:56], v[55:56], v[57:58], v[55:56]
	v_fma_f64 v[53:54], v[53:54], v[57:58], v[53:54]
	v_fma_f64 v[57:58], -v[55:56], v[55:56], v[49:50]
	v_fma_f64 v[55:56], v[57:58], v[53:54], v[55:56]
	v_fma_f64 v[57:58], -v[55:56], v[55:56], v[49:50]
	v_fma_f64 v[53:54], v[57:58], v[53:54], v[55:56]
	v_ldexp_f64 v[53:54], v[53:54], v44
	v_cndmask_b32_e32 v50, v54, v50, vcc
	v_cndmask_b32_e32 v49, v53, v49, vcc
	v_mul_f64 v[53:54], v[51:52], v[49:50]
.LBB307_52:                             ;   in Loop: Header=BB307_5 Depth=1
	s_or_b64 exec, exec, s[26:27]
                                        ; implicit-def: $vgpr49_vgpr50
                                        ; implicit-def: $vgpr51_vgpr52
.LBB307_53:                             ;   in Loop: Header=BB307_5 Depth=1
	s_andn2_saveexec_b64 s[4:5], s[4:5]
	s_cbranch_execz .LBB307_55
; %bb.54:                               ;   in Loop: Header=BB307_5 Depth=1
	v_div_scale_f64 v[53:54], s[26:27], v[49:50], v[49:50], v[51:52]
	v_rcp_f64_e32 v[55:56], v[53:54]
	v_fma_f64 v[57:58], -v[53:54], v[55:56], 1.0
	v_fma_f64 v[55:56], v[55:56], v[57:58], v[55:56]
	v_div_scale_f64 v[57:58], vcc, v[51:52], v[49:50], v[51:52]
	v_fma_f64 v[59:60], -v[53:54], v[55:56], 1.0
	v_fma_f64 v[55:56], v[55:56], v[59:60], v[55:56]
	v_mul_f64 v[59:60], v[57:58], v[55:56]
	v_fma_f64 v[53:54], -v[53:54], v[59:60], v[57:58]
	v_div_fmas_f64 v[53:54], v[53:54], v[55:56], v[59:60]
	v_div_fixup_f64 v[51:52], v[53:54], v[49:50], v[51:52]
	v_fma_f64 v[51:52], v[51:52], v[51:52], 1.0
	v_cmp_gt_f64_e32 vcc, s[22:23], v[51:52]
	v_cndmask_b32_e32 v44, 0, v66, vcc
	v_ldexp_f64 v[51:52], v[51:52], v44
	v_cndmask_b32_e32 v44, 0, v67, vcc
	v_rsq_f64_e32 v[53:54], v[51:52]
	v_cmp_class_f64_e32 vcc, v[51:52], v63
	v_mul_f64 v[55:56], v[51:52], v[53:54]
	v_mul_f64 v[53:54], v[53:54], 0.5
	v_fma_f64 v[57:58], -v[53:54], v[55:56], 0.5
	v_fma_f64 v[55:56], v[55:56], v[57:58], v[55:56]
	v_fma_f64 v[53:54], v[53:54], v[57:58], v[53:54]
	v_fma_f64 v[57:58], -v[55:56], v[55:56], v[51:52]
	v_fma_f64 v[55:56], v[57:58], v[53:54], v[55:56]
	v_fma_f64 v[57:58], -v[55:56], v[55:56], v[51:52]
	v_fma_f64 v[53:54], v[57:58], v[53:54], v[55:56]
	v_ldexp_f64 v[53:54], v[53:54], v44
	v_cndmask_b32_e32 v52, v54, v52, vcc
	v_cndmask_b32_e32 v51, v53, v51, vcc
	v_mul_f64 v[53:54], v[49:50], v[51:52]
.LBB307_55:                             ;   in Loop: Header=BB307_5 Depth=1
	s_or_b64 exec, exec, s[4:5]
	v_cmp_lt_f64_e32 vcc, v[24:25], v[26:27]
	v_cmp_ne_u32_e64 s[4:5], s30, v43
	v_cndmask_b32_e32 v25, v25, v27, vcc
	v_cndmask_b32_e32 v24, v24, v26, vcc
	v_cmp_lt_f64_e32 vcc, v[28:29], v[24:25]
	v_mul_f64 v[26:27], v[53:54], s[24:25]
	v_cndmask_b32_e32 v25, v29, v25, vcc
	v_cndmask_b32_e32 v24, v28, v24, vcc
	v_cmp_lt_f64_e32 vcc, v[30:31], v[24:25]
	v_cndmask_b32_e32 v25, v31, v25, vcc
	v_cndmask_b32_e32 v24, v30, v24, vcc
	v_cmp_lt_f64_e32 vcc, v[36:37], v[24:25]
	v_cndmask_b32_e32 v25, v37, v25, vcc
	v_cndmask_b32_e32 v24, v36, v24, vcc
	v_mul_f64 v[24:25], v[24:25], v[38:39]
	v_cmp_nge_f64_e32 vcc, v[24:25], v[26:27]
	s_and_b64 s[4:5], s[4:5], vcc
	s_and_saveexec_b64 s[26:27], s[4:5]
	s_xor_b64 s[4:5], exec, s[26:27]
	s_cbranch_execz .LBB307_61
; %bb.56:                               ;   in Loop: Header=BB307_5 Depth=1
	v_mul_f64 v[26:27], v[0:1], v[22:23]
	v_mul_f64 v[24:25], v[22:23], -v[2:3]
	v_ashrrev_i32_e32 v44, 31, v43
	v_add_u32_e32 v53, v61, v43
	v_ashrrev_i32_e32 v54, 31, v53
	v_lshlrev_b64 v[55:56], 4, v[53:54]
	v_fma_f64 v[26:27], v[2:3], v[20:21], v[26:27]
	v_fma_f64 v[24:25], v[0:1], v[20:21], v[24:25]
	v_add_f64 v[26:27], v[26:27], -v[32:33]
	v_add_f64 v[24:25], v[24:25], -v[34:35]
	v_mul_f64 v[28:29], v[26:27], v[26:27]
	v_fma_f64 v[28:29], v[24:25], v[24:25], v[28:29]
	v_div_scale_f64 v[30:31], s[26:27], v[28:29], v[28:29], 1.0
	v_rcp_f64_e32 v[32:33], v[30:31]
	v_fma_f64 v[34:35], -v[30:31], v[32:33], 1.0
	v_fma_f64 v[32:33], v[32:33], v[34:35], v[32:33]
	v_fma_f64 v[34:35], -v[30:31], v[32:33], 1.0
	v_fma_f64 v[32:33], v[32:33], v[34:35], v[32:33]
	v_div_scale_f64 v[34:35], vcc, 1.0, v[28:29], 1.0
	v_mul_f64 v[36:37], v[34:35], v[32:33]
	v_fma_f64 v[30:31], -v[30:31], v[36:37], v[34:35]
	s_nop 1
	v_div_fmas_f64 v[30:31], v[30:31], v[32:33], v[36:37]
	v_mov_b32_e32 v32, s13
	v_mov_b32_e32 v36, s13
	v_div_fixup_f64 v[28:29], v[30:31], v[28:29], 1.0
	v_fma_f64 v[30:31], v[26:27], 0, v[24:25]
	v_fma_f64 v[24:25], v[24:25], 0, -v[26:27]
	v_mul_f64 v[49:50], v[30:31], v[28:29]
	v_mul_f64 v[51:52], v[24:25], v[28:29]
	v_lshlrev_b64 v[24:25], 4, v[43:44]
	v_mov_b32_e32 v28, s11
	v_add_co_u32_e32 v72, vcc, v41, v24
	v_addc_co_u32_e32 v73, vcc, v42, v25, vcc
	v_add_co_u32_e32 v57, vcc, s10, v55
	v_addc_co_u32_e32 v58, vcc, v28, v56, vcc
	global_load_dwordx4 v[24:27], v[72:73], off
	global_load_dwordx4 v[28:31], v[57:58], off
	v_add_co_u32_e32 v74, vcc, s12, v47
	v_addc_co_u32_e32 v75, vcc, v32, v48, vcc
	global_load_dwordx4 v[32:35], v[74:75], off
	v_add_co_u32_e32 v59, vcc, s12, v55
	v_addc_co_u32_e32 v60, vcc, v36, v56, vcc
	global_load_dwordx4 v[36:39], v[59:60], off
	s_waitcnt vmcnt(3)
	v_mul_f64 v[70:71], v[20:21], v[26:27]
	s_waitcnt vmcnt(2)
	v_mul_f64 v[78:79], v[16:17], v[30:31]
	v_mul_f64 v[68:69], v[26:27], -v[22:23]
	v_mul_f64 v[76:77], v[30:31], -v[18:19]
	v_fma_f64 v[70:71], v[22:23], v[24:25], v[70:71]
	v_fma_f64 v[78:79], v[18:19], v[28:29], v[78:79]
	;; [unrolled: 1-line block ×4, first 2 shown]
	v_add_f64 v[70:71], v[70:71], -v[78:79]
	v_add_f64 v[76:77], v[68:69], -v[76:77]
	v_mul_f64 v[68:69], v[51:52], -v[70:71]
	v_fma_f64 v[68:69], v[76:77], v[49:50], v[68:69]
	v_mul_f64 v[76:77], v[51:52], v[76:77]
	v_fma_f64 v[70:71], v[70:71], v[49:50], v[76:77]
	global_store_dwordx4 v[72:73], v[68:71], off
	s_waitcnt vmcnt(2)
	v_mul_f64 v[68:69], v[34:35], -v[22:23]
	s_waitcnt vmcnt(1)
	v_mul_f64 v[70:71], v[16:17], v[38:39]
	v_fma_f64 v[68:69], v[20:21], v[32:33], v[68:69]
	v_mul_f64 v[20:21], v[20:21], v[34:35]
	v_fma_f64 v[70:71], v[18:19], v[36:37], v[70:71]
	v_fma_f64 v[20:21], v[22:23], v[32:33], v[20:21]
	v_mul_f64 v[22:23], v[38:39], -v[18:19]
	v_fma_f64 v[22:23], v[16:17], v[36:37], v[22:23]
	v_add_f64 v[22:23], v[68:69], -v[22:23]
	v_add_f64 v[68:69], v[20:21], -v[70:71]
	v_mul_f64 v[20:21], v[51:52], -v[68:69]
	v_fma_f64 v[20:21], v[22:23], v[49:50], v[20:21]
	v_mul_f64 v[22:23], v[51:52], v[22:23]
	v_fma_f64 v[22:23], v[68:69], v[49:50], v[22:23]
	global_store_dwordx4 v[74:75], v[20:23], off
	s_nop 0
	v_mul_f64 v[20:21], v[18:19], v[10:11]
	v_fma_f64 v[20:21], -v[16:17], v[8:9], v[20:21]
	v_mul_f64 v[16:17], v[10:11], -v[16:17]
	v_fma_f64 v[18:19], -v[18:19], v[8:9], v[16:17]
	v_mul_f64 v[16:17], v[51:52], -v[18:19]
	v_fma_f64 v[16:17], v[20:21], v[49:50], v[16:17]
	v_mul_f64 v[20:21], v[51:52], v[20:21]
	v_fma_f64 v[18:19], v[18:19], v[49:50], v[20:21]
	v_add_co_u32_e32 v20, vcc, s14, v47
	v_mov_b32_e32 v21, s15
	v_addc_co_u32_e32 v21, vcc, v21, v48, vcc
	global_store_dwordx4 v[20:21], v[16:19], off
	s_nop 0
	v_lshlrev_b64 v[16:17], 2, v[45:46]
	v_mov_b32_e32 v18, s7
	v_add_co_u32_e32 v16, vcc, s6, v16
	v_addc_co_u32_e32 v17, vcc, v18, v17, vcc
	global_store_dword v[16:17], v64, off
	s_and_saveexec_b64 s[26:27], s[0:1]
	s_cbranch_execz .LBB307_58
; %bb.57:                               ;   in Loop: Header=BB307_5 Depth=1
	v_mul_f64 v[16:17], v[6:7], v[26:27]
	v_mul_f64 v[18:19], v[26:27], -v[4:5]
	v_mul_f64 v[20:21], v[30:31], -v[2:3]
	v_mul_f64 v[22:23], v[0:1], v[30:31]
	v_mul_f64 v[44:45], v[6:7], v[34:35]
	v_mul_f64 v[34:35], v[34:35], -v[4:5]
	v_mul_f64 v[46:47], v[0:1], v[38:39]
	v_mul_f64 v[38:39], v[38:39], -v[2:3]
	v_fma_f64 v[16:17], -v[4:5], v[24:25], v[16:17]
	v_fma_f64 v[18:19], -v[6:7], v[24:25], v[18:19]
	v_fma_f64 v[20:21], v[0:1], v[28:29], v[20:21]
	v_fma_f64 v[22:23], v[2:3], v[28:29], v[22:23]
	v_fma_f64 v[44:45], -v[4:5], v[32:33], v[44:45]
	v_fma_f64 v[32:33], -v[6:7], v[32:33], v[34:35]
	v_fma_f64 v[34:35], v[2:3], v[36:37], v[46:47]
	v_fma_f64 v[36:37], v[0:1], v[36:37], v[38:39]
	v_mul_f64 v[38:39], v[0:1], v[10:11]
	v_mul_f64 v[46:47], v[10:11], -v[2:3]
	v_add_f64 v[16:17], v[16:17], v[20:21]
	v_add_f64 v[18:19], v[18:19], v[22:23]
	;; [unrolled: 1-line block ×4, first 2 shown]
	v_fma_f64 v[34:35], v[2:3], v[8:9], v[38:39]
	v_fma_f64 v[32:33], v[0:1], v[8:9], v[46:47]
	v_mul_f64 v[38:39], v[51:52], v[16:17]
	v_mul_f64 v[36:37], v[51:52], -v[18:19]
	v_mul_f64 v[44:45], v[51:52], -v[22:23]
	v_mul_f64 v[46:47], v[51:52], v[20:21]
	v_mul_f64 v[68:69], v[51:52], -v[34:35]
	v_mul_f64 v[70:71], v[51:52], v[32:33]
	v_fma_f64 v[18:19], v[18:19], v[49:50], v[38:39]
	v_fma_f64 v[16:17], v[16:17], v[49:50], v[36:37]
	v_mov_b32_e32 v36, s15
	v_fma_f64 v[20:21], v[20:21], v[49:50], v[44:45]
	v_fma_f64 v[22:23], v[22:23], v[49:50], v[46:47]
	;; [unrolled: 1-line block ×4, first 2 shown]
	global_store_dwordx4 v[57:58], v[16:19], off
	global_store_dwordx4 v[59:60], v[20:23], off
	v_add_co_u32_e32 v16, vcc, s14, v55
	v_addc_co_u32_e32 v17, vcc, v36, v56, vcc
	global_store_dwordx4 v[16:17], v[32:35], off
	v_lshlrev_b64 v[16:17], 2, v[53:54]
	v_mov_b32_e32 v18, s7
	v_add_co_u32_e32 v16, vcc, s6, v16
	v_addc_co_u32_e32 v17, vcc, v18, v17, vcc
	global_store_dword v[16:17], v64, off
.LBB307_58:                             ;   in Loop: Header=BB307_5 Depth=1
	s_or_b64 exec, exec, s[26:27]
	v_mov_b32_e32 v16, 0
	v_mov_b32_e32 v18, 0
	;; [unrolled: 1-line block ×4, first 2 shown]
	s_and_saveexec_b64 s[26:27], s[2:3]
	s_cbranch_execz .LBB307_60
; %bb.59:                               ;   in Loop: Header=BB307_5 Depth=1
	v_add_u32_e32 v16, v62, v43
	v_ashrrev_i32_e32 v17, 31, v16
	v_lshlrev_b64 v[20:21], 4, v[16:17]
	v_mov_b32_e32 v16, s11
	v_add_co_u32_e32 v32, vcc, s10, v20
	v_addc_co_u32_e32 v33, vcc, v16, v21, vcc
	v_mov_b32_e32 v22, s19
	v_add_co_u32_e32 v20, vcc, s18, v20
	v_addc_co_u32_e32 v21, vcc, v22, v21, vcc
	global_load_dwordx4 v[16:19], v[32:33], off
	v_mul_f64 v[34:35], v[6:7], v[14:15]
	global_load_dwordx4 v[20:23], v[20:21], off
	v_mul_f64 v[36:37], v[14:15], -v[4:5]
	v_mul_f64 v[38:39], v[14:15], -v[2:3]
	v_mul_f64 v[44:45], v[0:1], v[14:15]
	v_fma_f64 v[4:5], -v[4:5], v[12:13], v[34:35]
	v_fma_f64 v[6:7], -v[6:7], v[12:13], v[36:37]
	v_fma_f64 v[34:35], v[0:1], v[12:13], v[38:39]
	v_fma_f64 v[36:37], v[2:3], v[12:13], v[44:45]
	v_mul_f64 v[38:39], v[2:3], -v[14:15]
	v_mul_f64 v[2:3], v[2:3], v[12:13]
	v_mul_f64 v[44:45], v[51:52], v[4:5]
	v_mul_f64 v[46:47], v[51:52], -v[6:7]
	v_mul_f64 v[53:54], v[51:52], v[34:35]
	v_mul_f64 v[55:56], v[51:52], -v[36:37]
	v_fma_f64 v[12:13], v[12:13], v[0:1], v[38:39]
	v_fma_f64 v[0:1], v[14:15], v[0:1], v[2:3]
	v_fma_f64 v[2:3], v[6:7], v[49:50], v[44:45]
	v_fma_f64 v[4:5], v[4:5], v[49:50], v[46:47]
	v_fma_f64 v[6:7], v[36:37], v[49:50], v[53:54]
	v_fma_f64 v[14:15], v[34:35], v[49:50], v[55:56]
	v_mul_f64 v[34:35], v[10:11], v[12:13]
	v_mul_f64 v[10:11], v[10:11], -v[0:1]
	v_mul_f64 v[36:37], v[2:3], v[26:27]
	v_mul_f64 v[26:27], v[26:27], -v[4:5]
	v_mul_f64 v[38:39], v[30:31], -v[6:7]
	v_mul_f64 v[30:31], v[14:15], v[30:31]
	v_fma_f64 v[0:1], v[0:1], v[8:9], v[34:35]
	v_fma_f64 v[8:9], v[12:13], v[8:9], v[10:11]
	v_fma_f64 v[4:5], -v[4:5], v[24:25], v[36:37]
	v_fma_f64 v[2:3], -v[2:3], v[24:25], v[26:27]
	v_fma_f64 v[10:11], v[14:15], v[28:29], v[38:39]
	v_fma_f64 v[6:7], v[6:7], v[28:29], v[30:31]
	v_mul_f64 v[12:13], v[51:52], -v[0:1]
	v_mul_f64 v[14:15], v[51:52], v[8:9]
	v_add_f64 v[4:5], v[4:5], -v[10:11]
	v_add_f64 v[2:3], v[2:3], -v[6:7]
	v_fma_f64 v[6:7], v[8:9], v[49:50], v[12:13]
	v_fma_f64 v[8:9], v[0:1], v[49:50], v[14:15]
	s_waitcnt vmcnt(1)
	v_add_f64 v[0:1], v[4:5], v[16:17]
	v_add_f64 v[2:3], v[2:3], v[18:19]
	s_waitcnt vmcnt(0)
	v_add_f64 v[18:19], v[20:21], -v[6:7]
	v_add_f64 v[16:17], v[22:23], -v[8:9]
	global_store_dwordx4 v[32:33], v[0:3], off
.LBB307_60:                             ;   in Loop: Header=BB307_5 Depth=1
	s_or_b64 exec, exec, s[26:27]
	v_mov_b32_e32 v2, v16
	v_mov_b32_e32 v0, v18
	;; [unrolled: 1-line block ×4, first 2 shown]
                                        ; implicit-def: $vgpr4_vgpr5
                                        ; implicit-def: $vgpr20_vgpr21
                                        ; implicit-def: $vgpr34_vgpr35
                                        ; implicit-def: $vgpr32_vgpr33
                                        ; implicit-def: $vgpr45_vgpr46
                                        ; implicit-def: $vgpr47_vgpr48
                                        ; implicit-def: $vgpr18_vgpr19
.LBB307_61:                             ;   in Loop: Header=BB307_5 Depth=1
	s_or_saveexec_b64 s[2:3], s[4:5]
	v_mov_b32_e32 v8, s33
	s_xor_b64 exec, exec, s[2:3]
	s_cbranch_execz .LBB307_4
; %bb.62:                               ;   in Loop: Header=BB307_5 Depth=1
	v_mul_f64 v[8:9], v[2:3], v[2:3]
	v_ashrrev_i32_e32 v44, 31, v43
	v_mov_b32_e32 v12, s13
	v_mov_b32_e32 v53, s15
	v_fma_f64 v[24:25], v[0:1], v[0:1], v[8:9]
	v_lshlrev_b64 v[8:9], 4, v[43:44]
	v_lshlrev_b64 v[44:45], 2, v[45:46]
	v_add_co_u32_e32 v30, vcc, v41, v8
	v_addc_co_u32_e32 v31, vcc, v42, v9, vcc
	v_add_co_u32_e32 v38, vcc, s12, v47
	v_div_scale_f64 v[26:27], s[4:5], v[24:25], v[24:25], 1.0
	global_load_dwordx4 v[8:11], v[30:31], off
	v_addc_co_u32_e32 v39, vcc, v12, v48, vcc
	global_load_dwordx4 v[12:15], v[38:39], off
	v_mov_b32_e32 v46, s7
	v_rcp_f64_e32 v[28:29], v[26:27]
	v_fma_f64 v[36:37], -v[26:27], v[28:29], 1.0
	v_fma_f64 v[28:29], v[28:29], v[36:37], v[28:29]
	v_div_scale_f64 v[36:37], vcc, 1.0, v[24:25], 1.0
	v_fma_f64 v[49:50], -v[26:27], v[28:29], 1.0
	v_fma_f64 v[28:29], v[28:29], v[49:50], v[28:29]
	v_mul_f64 v[49:50], v[36:37], v[28:29]
	v_fma_f64 v[26:27], -v[26:27], v[49:50], v[36:37]
	v_div_fmas_f64 v[26:27], v[26:27], v[28:29], v[49:50]
	v_fma_f64 v[28:29], v[0:1], 0, -v[2:3]
	v_fma_f64 v[2:3], v[2:3], 0, v[0:1]
	v_div_fixup_f64 v[24:25], v[26:27], v[24:25], 1.0
	v_mul_f64 v[0:1], v[28:29], v[24:25]
	v_mul_f64 v[2:3], v[2:3], v[24:25]
	v_mul_f64 v[24:25], v[0:1], -v[18:19]
	v_mul_f64 v[26:27], v[0:1], v[16:17]
	s_waitcnt vmcnt(1)
	v_mul_f64 v[28:29], v[0:1], -v[10:11]
	v_mul_f64 v[36:37], v[0:1], v[8:9]
	s_waitcnt vmcnt(0)
	v_mul_f64 v[49:50], v[0:1], -v[14:15]
	v_mul_f64 v[51:52], v[0:1], v[12:13]
	v_fma_f64 v[16:17], v[16:17], v[2:3], v[24:25]
	v_fma_f64 v[18:19], v[18:19], v[2:3], v[26:27]
	;; [unrolled: 1-line block ×6, first 2 shown]
	v_add_co_u32_e32 v28, vcc, s14, v47
	v_addc_co_u32_e32 v29, vcc, v53, v48, vcc
	v_add_co_u32_e32 v36, vcc, s6, v44
	v_addc_co_u32_e32 v37, vcc, v46, v45, vcc
	global_store_dwordx4 v[30:31], v[24:27], off
	global_store_dwordx4 v[38:39], v[12:15], off
	;; [unrolled: 1-line block ×3, first 2 shown]
	global_store_dword v[36:37], v65, off
	s_and_saveexec_b64 s[4:5], s[0:1]
	s_cbranch_execz .LBB307_3
; %bb.63:                               ;   in Loop: Header=BB307_5 Depth=1
	v_add_u32_e32 v12, v61, v43
	v_ashrrev_i32_e32 v13, 31, v12
	v_lshlrev_b64 v[12:13], 4, v[12:13]
	v_mov_b32_e32 v14, s11
	v_add_co_u32_e32 v16, vcc, s10, v12
	v_addc_co_u32_e32 v17, vcc, v14, v13, vcc
	global_load_dwordx4 v[12:15], v[16:17], off
	v_mul_f64 v[18:19], v[0:1], v[4:5]
	v_mul_f64 v[24:25], v[0:1], -v[6:7]
	v_fma_f64 v[6:7], v[6:7], v[2:3], v[18:19]
	v_fma_f64 v[4:5], v[4:5], v[2:3], v[24:25]
	v_mul_f64 v[18:19], v[6:7], v[10:11]
	v_mul_f64 v[10:11], v[10:11], -v[4:5]
	v_fma_f64 v[4:5], -v[4:5], v[8:9], v[18:19]
	v_fma_f64 v[6:7], -v[6:7], v[8:9], v[10:11]
	s_waitcnt vmcnt(0)
	v_add_f64 v[4:5], v[4:5], v[12:13]
	v_add_f64 v[6:7], v[6:7], v[14:15]
	global_store_dwordx4 v[16:17], v[4:7], off
	s_branch .LBB307_3
.LBB307_64:
	s_or_b64 exec, exec, s[20:21]
.LBB307_65:
	v_subrev_u32_e32 v2, s28, v43
	v_add_u32_e32 v0, v2, v40
	v_ashrrev_i32_e32 v1, 31, v0
	v_lshlrev_b64 v[0:1], 2, v[0:1]
	s_waitcnt lgkmcnt(0)
	v_mov_b32_e32 v3, s7
	v_add_co_u32_e32 v0, vcc, s6, v0
	v_addc_co_u32_e32 v1, vcc, v3, v1, vcc
	s_waitcnt vmcnt(0)
	buffer_wbinvl1_vol
	global_load_dword v0, v[0:1], off
	s_waitcnt vmcnt(0)
	v_mul_lo_u32 v0, v0, s28
	v_sub_u32_e32 v4, v2, v0
	v_cmp_lt_i32_e32 vcc, -1, v4
	s_and_b64 exec, exec, vcc
	s_cbranch_execz .LBB307_72
; %bb.66:
	v_subrev_u32_e32 v14, s28, v40
	s_lshl_b32 s4, s28, 1
	s_mov_b64 s[0:1], 0
	v_mov_b32_e32 v15, s7
	v_mov_b32_e32 v16, s15
	s_branch .LBB307_68
.LBB307_67:                             ;   in Loop: Header=BB307_68 Depth=1
	s_or_b64 exec, exec, s[2:3]
	s_waitcnt vmcnt(0)
	v_lshlrev_b64 v[0:1], 4, v[6:7]
	v_mov_b32_e32 v2, s13
	v_add_co_u32_e32 v6, vcc, s12, v0
	v_addc_co_u32_e32 v7, vcc, v2, v1, vcc
	global_load_dwordx4 v[0:3], v[6:7], off
	v_sub_u32_e32 v4, v4, v5
	v_cmp_gt_i32_e32 vcc, 0, v4
	s_or_b64 s[0:1], vcc, s[0:1]
	s_waitcnt vmcnt(0)
	v_add_f64 v[0:1], v[0:1], v[10:11]
	v_add_f64 v[2:3], v[12:13], v[2:3]
	global_store_dwordx4 v[6:7], v[0:3], off
	s_andn2_b64 exec, exec, s[0:1]
	s_cbranch_execz .LBB307_72
.LBB307_68:                             ; =>This Inner Loop Header: Depth=1
	v_add_u32_e32 v6, v4, v40
	v_ashrrev_i32_e32 v7, 31, v6
	v_lshlrev_b64 v[0:1], 2, v[6:7]
	v_lshlrev_b64 v[8:9], 4, v[6:7]
	v_add_co_u32_e32 v0, vcc, s6, v0
	v_addc_co_u32_e32 v1, vcc, v15, v1, vcc
	global_load_dword v5, v[0:1], off
	v_add_co_u32_e32 v0, vcc, s14, v8
	v_addc_co_u32_e32 v1, vcc, v16, v9, vcc
	global_load_dwordx4 v[0:3], v[0:1], off
                                        ; implicit-def: $vgpr12_vgpr13
                                        ; implicit-def: $vgpr10_vgpr11
	s_waitcnt vmcnt(1)
	v_cmp_ne_u32_e32 vcc, 1, v5
	s_and_saveexec_b64 s[2:3], vcc
	s_xor_b64 s[2:3], exec, s[2:3]
	s_cbranch_execz .LBB307_70
; %bb.69:                               ;   in Loop: Header=BB307_68 Depth=1
	v_add_u32_e32 v5, v61, v4
	v_ashrrev_i32_e32 v6, 31, v5
	v_lshlrev_b64 v[5:6], 4, v[5:6]
	v_mov_b32_e32 v7, s11
	v_add_co_u32_e32 v29, vcc, s10, v5
	v_addc_co_u32_e32 v30, vcc, v7, v6, vcc
	global_load_dwordx4 v[10:13], v[29:30], off
	v_mov_b32_e32 v7, s13
	v_add_co_u32_e32 v31, vcc, s12, v5
	v_ashrrev_i32_e32 v5, 31, v4
	v_addc_co_u32_e32 v32, vcc, v7, v6, vcc
	v_lshlrev_b64 v[5:6], 4, v[4:5]
	global_load_dwordx4 v[17:20], v[31:32], off
	v_add_co_u32_e32 v33, vcc, v41, v5
	v_addc_co_u32_e32 v34, vcc, v42, v6, vcc
	global_load_dwordx4 v[21:24], v[33:34], off
	v_mov_b32_e32 v5, s13
	v_add_co_u32_e32 v35, vcc, s12, v8
	v_addc_co_u32_e32 v36, vcc, v5, v9, vcc
	global_load_dwordx4 v[25:28], v[35:36], off
	s_waitcnt vmcnt(3)
	v_mul_f64 v[5:6], v[2:3], v[12:13]
	v_mul_f64 v[7:8], v[12:13], -v[0:1]
	s_waitcnt vmcnt(2)
	v_mul_f64 v[12:13], v[2:3], v[19:20]
	v_fma_f64 v[37:38], -v[0:1], v[10:11], v[5:6]
	v_fma_f64 v[10:11], -v[2:3], v[10:11], v[7:8]
	v_mul_f64 v[19:20], v[19:20], -v[0:1]
	v_add_u32_e32 v6, v14, v4
	v_ashrrev_i32_e32 v7, 31, v6
	v_lshlrev_b64 v[43:44], 4, v[6:7]
	v_mov_b32_e32 v5, s15
	v_fma_f64 v[12:13], -v[0:1], v[17:18], v[12:13]
	s_waitcnt vmcnt(1)
	v_add_f64 v[8:9], v[21:22], v[37:38]
	v_add_f64 v[10:11], v[10:11], v[23:24]
	v_add_co_u32_e32 v0, vcc, s14, v43
	v_fma_f64 v[19:20], -v[2:3], v[17:18], v[19:20]
	v_addc_co_u32_e32 v1, vcc, v5, v44, vcc
	global_load_dwordx4 v[0:3], v[0:1], off
	s_waitcnt vmcnt(1)
	v_add_f64 v[17:18], v[25:26], v[12:13]
	global_store_dwordx4 v[33:34], v[8:11], off
	global_load_dwordx4 v[8:11], v[29:30], off
	v_mov_b32_e32 v5, s11
	v_add_f64 v[19:20], v[19:20], v[27:28]
	v_add_co_u32_e32 v25, vcc, s10, v43
	v_addc_co_u32_e32 v26, vcc, v5, v44, vcc
	global_load_dwordx4 v[21:24], v[25:26], off
	s_waitcnt vmcnt(1)
	v_mul_f64 v[12:13], v[2:3], v[10:11]
	global_store_dwordx4 v[35:36], v[17:20], off
	global_load_dwordx4 v[17:20], v[31:32], off
	v_mul_f64 v[10:11], v[10:11], -v[0:1]
	v_fma_f64 v[12:13], -v[0:1], v[8:9], v[12:13]
	v_fma_f64 v[8:9], -v[2:3], v[8:9], v[10:11]
	s_waitcnt vmcnt(0)
	v_mul_f64 v[10:11], v[2:3], v[19:20]
	v_mul_f64 v[27:28], v[19:20], -v[0:1]
	v_add_f64 v[19:20], v[21:22], v[12:13]
	v_add_f64 v[21:22], v[8:9], v[23:24]
	v_fma_f64 v[10:11], -v[0:1], v[17:18], v[10:11]
	v_fma_f64 v[12:13], -v[2:3], v[17:18], v[27:28]
                                        ; implicit-def: $vgpr2_vgpr3
	global_store_dwordx4 v[25:26], v[19:22], off
.LBB307_70:                             ;   in Loop: Header=BB307_68 Depth=1
	s_or_saveexec_b64 s[2:3], s[2:3]
	v_mov_b32_e32 v5, s4
	s_xor_b64 exec, exec, s[2:3]
	s_cbranch_execz .LBB307_67
; %bb.71:                               ;   in Loop: Header=BB307_68 Depth=1
	v_add_u32_e32 v8, v61, v4
	v_ashrrev_i32_e32 v9, 31, v8
	v_lshlrev_b64 v[12:13], 4, v[8:9]
	v_mov_b32_e32 v5, s11
	v_add_co_u32_e32 v8, vcc, s10, v12
	v_addc_co_u32_e32 v9, vcc, v5, v13, vcc
	global_load_dwordx4 v[8:11], v[8:9], off
	v_mov_b32_e32 v17, s13
	v_add_co_u32_e32 v12, vcc, s12, v12
	v_addc_co_u32_e32 v13, vcc, v17, v13, vcc
	global_load_dwordx4 v[17:20], v[12:13], off
	v_ashrrev_i32_e32 v5, 31, v4
	v_lshlrev_b64 v[12:13], 4, v[4:5]
	v_mov_b32_e32 v5, s28
	v_add_co_u32_e32 v25, vcc, v41, v12
	v_addc_co_u32_e32 v26, vcc, v42, v13, vcc
	global_load_dwordx4 v[21:24], v[25:26], off
	s_waitcnt vmcnt(2)
	v_mul_f64 v[12:13], v[2:3], v[10:11]
	v_mul_f64 v[10:11], v[10:11], -v[0:1]
	s_waitcnt vmcnt(1)
	v_mul_f64 v[27:28], v[19:20], -v[0:1]
	v_fma_f64 v[12:13], -v[0:1], v[8:9], v[12:13]
	v_fma_f64 v[8:9], -v[2:3], v[8:9], v[10:11]
	v_mul_f64 v[10:11], v[2:3], v[19:20]
	s_waitcnt vmcnt(0)
	v_add_f64 v[19:20], v[21:22], v[12:13]
	v_add_f64 v[21:22], v[8:9], v[23:24]
	v_fma_f64 v[10:11], -v[0:1], v[17:18], v[10:11]
	v_fma_f64 v[12:13], -v[2:3], v[17:18], v[27:28]
	global_store_dwordx4 v[25:26], v[19:22], off
	s_branch .LBB307_67
.LBB307_72:
	s_endpgm
	.section	.rodata,"a",@progbits
	.p2align	6, 0x0
	.amdhsa_kernel _ZN9rocsparseL18gtsv_LBM_wv_kernelILj256ELj16E21rocsparse_complex_numIdEEEviiiPKT1_S5_S5_PS3_S6_S6_Pi
		.amdhsa_group_segment_fixed_size 0
		.amdhsa_private_segment_fixed_size 0
		.amdhsa_kernarg_size 72
		.amdhsa_user_sgpr_count 6
		.amdhsa_user_sgpr_private_segment_buffer 1
		.amdhsa_user_sgpr_dispatch_ptr 0
		.amdhsa_user_sgpr_queue_ptr 0
		.amdhsa_user_sgpr_kernarg_segment_ptr 1
		.amdhsa_user_sgpr_dispatch_id 0
		.amdhsa_user_sgpr_flat_scratch_init 0
		.amdhsa_user_sgpr_private_segment_size 0
		.amdhsa_uses_dynamic_stack 0
		.amdhsa_system_sgpr_private_segment_wavefront_offset 0
		.amdhsa_system_sgpr_workgroup_id_x 1
		.amdhsa_system_sgpr_workgroup_id_y 0
		.amdhsa_system_sgpr_workgroup_id_z 0
		.amdhsa_system_sgpr_workgroup_info 0
		.amdhsa_system_vgpr_workitem_id 0
		.amdhsa_next_free_vgpr 80
		.amdhsa_next_free_sgpr 36
		.amdhsa_reserve_vcc 1
		.amdhsa_reserve_flat_scratch 0
		.amdhsa_float_round_mode_32 0
		.amdhsa_float_round_mode_16_64 0
		.amdhsa_float_denorm_mode_32 3
		.amdhsa_float_denorm_mode_16_64 3
		.amdhsa_dx10_clamp 1
		.amdhsa_ieee_mode 1
		.amdhsa_fp16_overflow 0
		.amdhsa_exception_fp_ieee_invalid_op 0
		.amdhsa_exception_fp_denorm_src 0
		.amdhsa_exception_fp_ieee_div_zero 0
		.amdhsa_exception_fp_ieee_overflow 0
		.amdhsa_exception_fp_ieee_underflow 0
		.amdhsa_exception_fp_ieee_inexact 0
		.amdhsa_exception_int_div_zero 0
	.end_amdhsa_kernel
	.section	.text._ZN9rocsparseL18gtsv_LBM_wv_kernelILj256ELj16E21rocsparse_complex_numIdEEEviiiPKT1_S5_S5_PS3_S6_S6_Pi,"axG",@progbits,_ZN9rocsparseL18gtsv_LBM_wv_kernelILj256ELj16E21rocsparse_complex_numIdEEEviiiPKT1_S5_S5_PS3_S6_S6_Pi,comdat
.Lfunc_end307:
	.size	_ZN9rocsparseL18gtsv_LBM_wv_kernelILj256ELj16E21rocsparse_complex_numIdEEEviiiPKT1_S5_S5_PS3_S6_S6_Pi, .Lfunc_end307-_ZN9rocsparseL18gtsv_LBM_wv_kernelILj256ELj16E21rocsparse_complex_numIdEEEviiiPKT1_S5_S5_PS3_S6_S6_Pi
                                        ; -- End function
	.set _ZN9rocsparseL18gtsv_LBM_wv_kernelILj256ELj16E21rocsparse_complex_numIdEEEviiiPKT1_S5_S5_PS3_S6_S6_Pi.num_vgpr, 80
	.set _ZN9rocsparseL18gtsv_LBM_wv_kernelILj256ELj16E21rocsparse_complex_numIdEEEviiiPKT1_S5_S5_PS3_S6_S6_Pi.num_agpr, 0
	.set _ZN9rocsparseL18gtsv_LBM_wv_kernelILj256ELj16E21rocsparse_complex_numIdEEEviiiPKT1_S5_S5_PS3_S6_S6_Pi.numbered_sgpr, 36
	.set _ZN9rocsparseL18gtsv_LBM_wv_kernelILj256ELj16E21rocsparse_complex_numIdEEEviiiPKT1_S5_S5_PS3_S6_S6_Pi.num_named_barrier, 0
	.set _ZN9rocsparseL18gtsv_LBM_wv_kernelILj256ELj16E21rocsparse_complex_numIdEEEviiiPKT1_S5_S5_PS3_S6_S6_Pi.private_seg_size, 0
	.set _ZN9rocsparseL18gtsv_LBM_wv_kernelILj256ELj16E21rocsparse_complex_numIdEEEviiiPKT1_S5_S5_PS3_S6_S6_Pi.uses_vcc, 1
	.set _ZN9rocsparseL18gtsv_LBM_wv_kernelILj256ELj16E21rocsparse_complex_numIdEEEviiiPKT1_S5_S5_PS3_S6_S6_Pi.uses_flat_scratch, 0
	.set _ZN9rocsparseL18gtsv_LBM_wv_kernelILj256ELj16E21rocsparse_complex_numIdEEEviiiPKT1_S5_S5_PS3_S6_S6_Pi.has_dyn_sized_stack, 0
	.set _ZN9rocsparseL18gtsv_LBM_wv_kernelILj256ELj16E21rocsparse_complex_numIdEEEviiiPKT1_S5_S5_PS3_S6_S6_Pi.has_recursion, 0
	.set _ZN9rocsparseL18gtsv_LBM_wv_kernelILj256ELj16E21rocsparse_complex_numIdEEEviiiPKT1_S5_S5_PS3_S6_S6_Pi.has_indirect_call, 0
	.section	.AMDGPU.csdata,"",@progbits
; Kernel info:
; codeLenInByte = 7364
; TotalNumSgprs: 40
; NumVgprs: 80
; ScratchSize: 0
; MemoryBound: 1
; FloatMode: 240
; IeeeMode: 1
; LDSByteSize: 0 bytes/workgroup (compile time only)
; SGPRBlocks: 4
; VGPRBlocks: 19
; NumSGPRsForWavesPerEU: 40
; NumVGPRsForWavesPerEU: 80
; Occupancy: 3
; WaveLimiterHint : 0
; COMPUTE_PGM_RSRC2:SCRATCH_EN: 0
; COMPUTE_PGM_RSRC2:USER_SGPR: 6
; COMPUTE_PGM_RSRC2:TRAP_HANDLER: 0
; COMPUTE_PGM_RSRC2:TGID_X_EN: 1
; COMPUTE_PGM_RSRC2:TGID_Y_EN: 0
; COMPUTE_PGM_RSRC2:TGID_Z_EN: 0
; COMPUTE_PGM_RSRC2:TIDIG_COMP_CNT: 0
	.section	.text._ZN9rocsparseL19gtsv_LBM_rhs_kernelILj256ELj16ELj8E21rocsparse_complex_numIdEEEviiiPKT2_S5_S5_PS3_S5_PKi,"axG",@progbits,_ZN9rocsparseL19gtsv_LBM_rhs_kernelILj256ELj16ELj8E21rocsparse_complex_numIdEEEviiiPKT2_S5_S5_PS3_S5_PKi,comdat
	.globl	_ZN9rocsparseL19gtsv_LBM_rhs_kernelILj256ELj16ELj8E21rocsparse_complex_numIdEEEviiiPKT2_S5_S5_PS3_S5_PKi ; -- Begin function _ZN9rocsparseL19gtsv_LBM_rhs_kernelILj256ELj16ELj8E21rocsparse_complex_numIdEEEviiiPKT2_S5_S5_PS3_S5_PKi
	.p2align	8
	.type	_ZN9rocsparseL19gtsv_LBM_rhs_kernelILj256ELj16ELj8E21rocsparse_complex_numIdEEEviiiPKT2_S5_S5_PS3_S5_PKi,@function
_ZN9rocsparseL19gtsv_LBM_rhs_kernelILj256ELj16ELj8E21rocsparse_complex_numIdEEEviiiPKT2_S5_S5_PS3_S5_PKi: ; @_ZN9rocsparseL19gtsv_LBM_rhs_kernelILj256ELj16ELj8E21rocsparse_complex_numIdEEEviiiPKT2_S5_S5_PS3_S5_PKi
; %bb.0:
	s_load_dword s23, s[4:5], 0x0
	v_lshl_or_b32 v44, s6, 8, v0
	s_waitcnt lgkmcnt(0)
	s_lshr_b32 s22, s23, 4
	v_cmp_gt_i32_e32 vcc, s22, v44
	s_and_saveexec_b64 s[0:1], vcc
	s_cbranch_execz .LBB308_29
; %bb.1:
	s_load_dwordx4 s[8:11], s[4:5], 0x28
	s_load_dwordx2 s[16:17], s[4:5], 0x38
	s_cmp_lt_i32 s23, 1
	v_add_u32_e32 v103, s22, v44
	s_mul_i32 s24, s7, s23
	s_cbranch_scc1 .LBB308_21
; %bb.2:
	s_load_dwordx4 s[12:15], s[4:5], 0x10
	s_load_dwordx2 s[6:7], s[4:5], 0x20
	v_ashrrev_i32_e32 v45, 31, v44
	v_lshlrev_b64 v[0:1], 4, v[44:45]
	s_lshl_b32 s28, s24, 3
	s_waitcnt lgkmcnt(0)
	v_mov_b32_e32 v2, s15
	v_add_co_u32_e32 v0, vcc, s14, v0
	v_addc_co_u32_e32 v1, vcc, v2, v1, vcc
	global_load_dwordx4 v[0:3], v[0:1], off
	s_add_i32 s29, s28, s23
	s_add_i32 s30, s29, s23
	;; [unrolled: 1-line block ×6, first 2 shown]
	s_mul_i32 s25, s22, 15
	s_mul_i32 s26, s22, 14
	s_lshl_b32 s27, s22, 1
	v_add_u32_e32 v104, s22, v103
	s_add_i32 s36, s35, s23
	v_mov_b32_e32 v46, 0
	s_mov_b64 s[18:19], 0
	v_mov_b32_e32 v106, s7
	v_mov_b32_e32 v105, 0
	s_branch .LBB308_5
.LBB308_3:                              ;   in Loop: Header=BB308_5 Depth=1
	s_or_b64 exec, exec, s[4:5]
	v_fma_f64 v[0:1], v[6:7], v[8:9], v[49:50]
	v_fma_f64 v[2:3], v[4:5], v[8:9], v[47:48]
	v_mul_f64 v[4:5], v[51:52], -v[0:1]
	v_mul_f64 v[6:7], v[51:52], v[2:3]
	v_fma_f64 v[2:3], v[2:3], v[10:11], v[4:5]
	v_fma_f64 v[4:5], v[0:1], v[10:11], v[6:7]
	v_mov_b32_e32 v10, s22
	v_add_f64 v[0:1], v[12:13], -v[2:3]
	v_add_f64 v[2:3], v[14:15], -v[4:5]
.LBB308_4:                              ;   in Loop: Header=BB308_5 Depth=1
	s_or_b64 exec, exec, s[2:3]
	v_add_u32_e32 v105, v10, v105
	v_cmp_le_i32_e32 vcc, s23, v105
	s_or_b64 s[18:19], vcc, s[18:19]
	s_andn2_b64 exec, exec, s[18:19]
	s_cbranch_execz .LBB308_20
.LBB308_5:                              ; =>This Inner Loop Header: Depth=1
	v_add_u32_e32 v24, v105, v44
	v_ashrrev_i32_e32 v25, 31, v24
	v_lshlrev_b64 v[4:5], 4, v[24:25]
	v_mov_b32_e32 v12, 0
	v_add_co_u32_e32 v4, vcc, s6, v4
	v_addc_co_u32_e32 v5, vcc, v106, v5, vcc
	global_load_dwordx4 v[8:11], v[4:5], off
	v_mov_b32_e32 v4, 0
	v_mov_b32_e32 v6, 0
	;; [unrolled: 1-line block ×5, first 2 shown]
	v_cmp_gt_u32_e64 s[0:1], s25, v105
	s_and_saveexec_b64 s[2:3], s[0:1]
	s_cbranch_execz .LBB308_7
; %bb.6:                                ;   in Loop: Header=BB308_5 Depth=1
	v_add_u32_e32 v4, v103, v105
	v_ashrrev_i32_e32 v5, 31, v4
	v_lshlrev_b64 v[4:5], 4, v[4:5]
	v_mov_b32_e32 v6, s13
	v_add_co_u32_e32 v4, vcc, s12, v4
	v_addc_co_u32_e32 v5, vcc, v6, v5, vcc
	global_load_dwordx4 v[4:7], v[4:5], off
.LBB308_7:                              ;   in Loop: Header=BB308_5 Depth=1
	s_or_b64 exec, exec, s[2:3]
	v_mov_b32_e32 v14, 0
	v_mov_b32_e32 v15, 0
	s_and_saveexec_b64 s[2:3], s[0:1]
	s_cbranch_execz .LBB308_9
; %bb.8:                                ;   in Loop: Header=BB308_5 Depth=1
	v_add_u32_e32 v12, v103, v105
	v_ashrrev_i32_e32 v13, 31, v12
	v_lshlrev_b64 v[12:13], 4, v[12:13]
	v_mov_b32_e32 v14, s15
	v_add_co_u32_e32 v12, vcc, s14, v12
	v_addc_co_u32_e32 v13, vcc, v14, v13, vcc
	global_load_dwordx4 v[12:15], v[12:13], off
.LBB308_9:                              ;   in Loop: Header=BB308_5 Depth=1
	s_or_b64 exec, exec, s[2:3]
	v_mov_b32_e32 v20, 0
	v_mov_b32_e32 v16, 0
	;; [unrolled: 1-line block ×6, first 2 shown]
	s_and_saveexec_b64 s[2:3], s[0:1]
	s_cbranch_execz .LBB308_11
; %bb.10:                               ;   in Loop: Header=BB308_5 Depth=1
	v_add_u32_e32 v16, v103, v105
	v_ashrrev_i32_e32 v17, 31, v16
	v_lshlrev_b64 v[16:17], 4, v[16:17]
	v_mov_b32_e32 v18, s7
	v_add_co_u32_e32 v16, vcc, s6, v16
	v_addc_co_u32_e32 v17, vcc, v18, v17, vcc
	global_load_dwordx4 v[16:19], v[16:17], off
.LBB308_11:                             ;   in Loop: Header=BB308_5 Depth=1
	s_or_b64 exec, exec, s[2:3]
	v_mov_b32_e32 v22, 0
	v_mov_b32_e32 v23, 0
	v_cmp_gt_u32_e64 s[2:3], s26, v105
	s_and_saveexec_b64 s[4:5], s[2:3]
	s_cbranch_execz .LBB308_13
; %bb.12:                               ;   in Loop: Header=BB308_5 Depth=1
	v_add_u32_e32 v20, v104, v105
	v_ashrrev_i32_e32 v21, 31, v20
	v_lshlrev_b64 v[20:21], 4, v[20:21]
	v_mov_b32_e32 v22, s13
	v_add_co_u32_e32 v20, vcc, s12, v20
	v_addc_co_u32_e32 v21, vcc, v22, v21, vcc
	global_load_dwordx4 v[20:23], v[20:21], off
.LBB308_13:                             ;   in Loop: Header=BB308_5 Depth=1
	s_or_b64 exec, exec, s[4:5]
	v_lshlrev_b64 v[25:26], 2, v[24:25]
	v_mov_b32_e32 v27, s17
	v_add_co_u32_e32 v25, vcc, s16, v25
	v_addc_co_u32_e32 v26, vcc, v27, v26, vcc
	global_load_dword v25, v[25:26], off
	s_waitcnt vmcnt(1)
	v_mul_f64 v[47:48], v[10:11], -v[6:7]
	v_mul_f64 v[49:50], v[10:11], v[4:5]
	v_cmp_ne_u32_e32 vcc, s25, v105
	v_add_u32_e32 v45, s28, v24
	v_add_u32_e32 v36, s29, v24
	;; [unrolled: 1-line block ×8, first 2 shown]
	s_waitcnt vmcnt(0)
	v_cmp_ne_u32_e64 s[4:5], 1, v25
	s_and_b64 s[4:5], vcc, s[4:5]
	s_and_saveexec_b64 s[20:21], s[4:5]
	s_xor_b64 s[20:21], exec, s[20:21]
	s_cbranch_execz .LBB308_17
; %bb.14:                               ;   in Loop: Header=BB308_5 Depth=1
	v_mul_f64 v[37:38], v[0:1], v[14:15]
	v_mul_f64 v[39:40], v[14:15], -v[2:3]
	v_fma_f64 v[41:42], v[6:7], v[8:9], v[49:50]
	v_fma_f64 v[47:48], v[4:5], v[8:9], v[47:48]
	v_mov_b32_e32 v53, s9
	v_mov_b32_e32 v35, v46
	;; [unrolled: 1-line block ×3, first 2 shown]
	v_add_u32_e32 v81, v103, v105
	v_fma_f64 v[37:38], v[2:3], v[12:13], v[37:38]
	v_fma_f64 v[49:50], v[0:1], v[12:13], v[39:40]
	v_lshlrev_b64 v[34:35], 4, v[34:35]
	v_mov_b32_e32 v33, v46
	v_mov_b32_e32 v62, s9
	v_lshlrev_b64 v[51:52], 4, v[32:33]
	v_mov_b32_e32 v64, s9
	v_mov_b32_e32 v31, v46
	v_add_f64 v[38:39], v[37:38], -v[41:42]
	v_add_f64 v[40:41], v[49:50], -v[47:48]
	v_lshlrev_b64 v[47:48], 4, v[45:46]
	v_mov_b32_e32 v37, v46
	v_add_co_u32_e32 v79, vcc, s8, v47
	v_lshlrev_b64 v[36:37], 4, v[36:37]
	v_addc_co_u32_e32 v80, vcc, v53, v48, vcc
	v_mul_f64 v[42:43], v[38:39], v[38:39]
	v_add_co_u32_e32 v139, vcc, s8, v36
	v_add_u32_e32 v45, s28, v81
	v_addc_co_u32_e32 v140, vcc, v61, v37, vcc
	v_lshlrev_b64 v[32:33], 4, v[45:46]
	v_add_co_u32_e32 v141, vcc, s8, v34
	v_fma_f64 v[42:43], v[40:41], v[40:41], v[42:43]
	v_addc_co_u32_e32 v142, vcc, v62, v35, vcc
	v_add_co_u32_e32 v85, vcc, s8, v32
	v_mov_b32_e32 v29, v46
	v_addc_co_u32_e32 v86, vcc, v64, v33, vcc
	v_div_scale_f64 v[55:56], s[4:5], v[42:43], v[42:43], 1.0
	v_lshlrev_b64 v[57:58], 4, v[30:31]
	v_lshlrev_b64 v[59:60], 4, v[28:29]
	global_load_dwordx4 v[28:31], v[79:80], off
	global_load_dwordx4 v[32:35], v[85:86], off
	v_add_u32_e32 v45, s29, v81
	v_lshlrev_b64 v[53:54], 4, v[45:46]
	v_mov_b32_e32 v63, s9
	v_mov_b32_e32 v71, s9
	v_add_co_u32_e32 v143, vcc, s8, v51
	v_add_co_u32_e64 v36, s[4:5], s8, v53
	v_addc_co_u32_e32 v144, vcc, v63, v52, vcc
	v_rcp_f64_e32 v[49:50], v[55:56]
	v_addc_co_u32_e64 v37, s[4:5], v71, v54, s[4:5]
	v_div_scale_f64 v[65:66], vcc, 1.0, v[42:43], 1.0
	global_load_dwordx4 v[51:54], v[36:37], off
	v_mov_b32_e32 v67, s9
	v_add_co_u32_e64 v145, s[4:5], s8, v57
	v_mov_b32_e32 v27, v46
	v_addc_co_u32_e64 v146, s[4:5], v67, v58, s[4:5]
	v_mov_b32_e32 v68, s9
	v_lshlrev_b64 v[26:27], 4, v[26:27]
	v_add_co_u32_e64 v147, s[4:5], s8, v59
	v_fma_f64 v[47:48], -v[55:56], v[49:50], 1.0
	v_mov_b32_e32 v25, v46
	v_addc_co_u32_e64 v148, s[4:5], v68, v60, s[4:5]
	v_mov_b32_e32 v69, s9
	v_lshlrev_b64 v[24:25], 4, v[24:25]
	v_add_co_u32_e64 v149, s[4:5], s8, v26
	v_fma_f64 v[61:62], v[49:50], v[47:48], v[49:50]
	global_load_dwordx4 v[47:50], v[139:140], off
	v_addc_co_u32_e64 v150, s[4:5], v69, v27, s[4:5]
	v_mov_b32_e32 v70, s9
	v_add_u32_e32 v45, s30, v81
	v_add_co_u32_e64 v151, s[4:5], s8, v24
	v_fma_f64 v[63:64], -v[55:56], v[61:62], 1.0
	v_addc_co_u32_e64 v152, s[4:5], v70, v25, s[4:5]
	v_lshlrev_b64 v[24:25], 4, v[45:46]
	v_mov_b32_e32 v72, s9
	v_add_co_u32_e64 v89, s[4:5], s8, v24
	v_addc_co_u32_e64 v90, s[4:5], v72, v25, s[4:5]
	v_fma_f64 v[63:64], v[61:62], v[63:64], v[61:62]
	global_load_dwordx4 v[59:62], v[141:142], off
	global_load_dwordx4 v[71:74], v[143:144], off
	v_add_u32_e32 v45, s31, v81
	v_mov_b32_e32 v82, s9
	v_mov_b32_e32 v83, s9
	;; [unrolled: 1-line block ×4, first 2 shown]
	v_mul_f64 v[57:58], v[65:66], v[63:64]
	v_mov_b32_e32 v88, s9
	v_fma_f64 v[26:27], -v[55:56], v[57:58], v[65:66]
	global_load_dwordx4 v[65:68], v[89:90], off
	global_load_dwordx4 v[75:78], v[145:146], off
	;; [unrolled: 1-line block ×5, first 2 shown]
	v_div_fmas_f64 v[24:25], v[26:27], v[63:64], v[57:58]
	v_lshlrev_b64 v[26:27], 4, v[45:46]
	v_add_u32_e32 v45, s33, v81
	v_add_co_u32_e32 v97, vcc, s8, v26
	v_addc_co_u32_e32 v98, vcc, v82, v27, vcc
	global_load_dwordx4 v[119:122], v[97:98], off
	v_lshlrev_b64 v[26:27], 4, v[45:46]
	v_fma_f64 v[57:58], v[40:41], 0, -v[38:39]
	v_add_co_u32_e32 v153, vcc, s8, v26
	v_addc_co_u32_e32 v154, vcc, v83, v27, vcc
	global_load_dwordx4 v[123:126], v[153:154], off
	v_fma_f64 v[26:27], v[38:39], 0, v[40:41]
	v_div_fixup_f64 v[42:43], v[24:25], v[42:43], 1.0
	v_add_u32_e32 v45, s34, v81
	v_lshlrev_b64 v[55:56], 4, v[45:46]
	v_add_u32_e32 v45, s35, v81
	v_add_co_u32_e32 v155, vcc, s8, v55
	v_addc_co_u32_e32 v156, vcc, v84, v56, vcc
	v_mul_f64 v[24:25], v[57:58], v[42:43]
	v_mul_f64 v[26:27], v[26:27], v[42:43]
	global_load_dwordx4 v[127:130], v[155:156], off
	v_lshlrev_b64 v[63:64], 4, v[45:46]
	v_add_u32_e32 v45, s36, v81
	v_lshlrev_b64 v[38:39], 4, v[45:46]
	v_add_co_u32_e32 v157, vcc, s8, v63
	s_waitcnt vmcnt(13)
	v_mul_f64 v[40:41], v[24:25], v[28:29]
	s_waitcnt vmcnt(12)
	v_mul_f64 v[42:43], v[24:25], v[32:33]
	v_mul_f64 v[55:56], v[24:25], -v[30:31]
	v_mul_f64 v[57:58], v[24:25], -v[34:35]
	v_addc_co_u32_e32 v158, vcc, v87, v64, vcc
	v_add_co_u32_e32 v159, vcc, s8, v38
	v_fma_f64 v[93:94], v[30:31], v[26:27], v[40:41]
	v_fma_f64 v[95:96], v[34:35], v[26:27], v[42:43]
	s_waitcnt vmcnt(10)
	v_mul_f64 v[30:31], v[24:25], v[47:48]
	v_mul_f64 v[34:35], v[24:25], v[51:52]
	v_addc_co_u32_e32 v160, vcc, v88, v39, vcc
	global_load_dwordx4 v[131:134], v[157:158], off
	v_fma_f64 v[101:102], v[28:29], v[26:27], v[55:56]
	v_fma_f64 v[99:100], v[32:33], v[26:27], v[57:58]
	v_mul_f64 v[28:29], v[93:94], -v[14:15]
	v_mul_f64 v[32:33], v[12:13], v[93:94]
	v_mul_f64 v[38:39], v[95:96], -v[10:11]
	v_mul_f64 v[40:41], v[8:9], v[95:96]
	v_mul_f64 v[42:43], v[24:25], -v[49:50]
	v_fma_f64 v[55:56], v[49:50], v[26:27], v[30:31]
	v_mul_f64 v[30:31], v[24:25], -v[53:54]
	v_fma_f64 v[57:58], v[53:54], v[26:27], v[34:35]
	v_fma_f64 v[28:29], v[12:13], v[101:102], v[28:29]
	;; [unrolled: 1-line block ×6, first 2 shown]
	v_mul_f64 v[40:41], v[55:56], -v[14:15]
	v_mul_f64 v[42:43], v[12:13], v[55:56]
	v_fma_f64 v[69:70], v[51:52], v[26:27], v[30:31]
	v_mul_f64 v[47:48], v[57:58], -v[10:11]
	v_mul_f64 v[49:50], v[8:9], v[57:58]
	v_add_f64 v[28:29], v[28:29], -v[34:35]
	v_add_f64 v[30:31], v[32:33], -v[38:39]
	s_waitcnt vmcnt(10)
	v_mul_f64 v[32:33], v[24:25], v[59:60]
	v_fma_f64 v[34:35], v[12:13], v[63:64], v[40:41]
	v_fma_f64 v[38:39], v[14:15], v[63:64], v[42:43]
	global_load_dwordx4 v[135:138], v[159:160], off
	s_waitcnt vmcnt(9)
	v_mul_f64 v[40:41], v[24:25], v[65:66]
	v_fma_f64 v[42:43], v[8:9], v[69:70], v[47:48]
	v_fma_f64 v[47:48], v[10:11], v[69:70], v[49:50]
	v_mul_f64 v[49:50], v[24:25], -v[61:62]
	v_fma_f64 v[83:84], v[61:62], v[26:27], v[32:33]
	v_mul_f64 v[32:33], v[24:25], -v[67:68]
	global_store_dwordx4 v[79:80], v[28:31], off
	v_mul_f64 v[53:54], v[24:25], -v[73:74]
	v_fma_f64 v[87:88], v[67:68], v[26:27], v[40:41]
	v_add_f64 v[28:29], v[34:35], -v[42:43]
	v_mul_f64 v[34:35], v[24:25], v[71:72]
	v_add_f64 v[30:31], v[38:39], -v[47:48]
	v_fma_f64 v[81:82], v[59:60], v[26:27], v[49:50]
	v_mul_f64 v[38:39], v[83:84], -v[14:15]
	v_fma_f64 v[91:92], v[65:66], v[26:27], v[32:33]
	s_waitcnt vmcnt(5)
	v_mul_f64 v[32:33], v[24:25], v[119:120]
	v_mul_f64 v[42:43], v[87:88], -v[10:11]
	v_mul_f64 v[49:50], v[12:13], v[83:84]
	v_mul_f64 v[51:52], v[8:9], v[87:88]
	v_fma_f64 v[40:41], v[73:74], v[26:27], v[34:35]
	v_mul_f64 v[59:60], v[24:25], -v[121:122]
	v_fma_f64 v[34:35], v[12:13], v[81:82], v[38:39]
	v_fma_f64 v[38:39], v[71:72], v[26:27], v[53:54]
	;; [unrolled: 1-line block ×6, first 2 shown]
	v_mul_f64 v[53:54], v[40:41], -v[14:15]
	v_mul_f64 v[61:62], v[12:13], v[40:41]
	v_fma_f64 v[42:43], v[119:120], v[26:27], v[59:60]
	v_mul_f64 v[65:66], v[24:25], v[75:76]
	v_mul_f64 v[59:60], v[47:48], -v[10:11]
	v_add_f64 v[32:33], v[34:35], -v[32:33]
	v_mul_f64 v[67:68], v[8:9], v[47:48]
	v_add_f64 v[34:35], v[49:50], -v[51:52]
	v_fma_f64 v[49:50], v[12:13], v[38:39], v[53:54]
	s_waitcnt vmcnt(4)
	v_mul_f64 v[53:54], v[24:25], v[123:124]
	v_fma_f64 v[51:52], v[14:15], v[38:39], v[61:62]
	v_mul_f64 v[61:62], v[24:25], -v[77:78]
	v_fma_f64 v[59:60], v[8:9], v[42:43], v[59:60]
	v_fma_f64 v[73:74], v[77:78], v[26:27], v[65:66]
	;; [unrolled: 1-line block ×3, first 2 shown]
	v_mul_f64 v[67:68], v[24:25], -v[125:126]
	global_store_dwordx4 v[139:140], v[28:31], off
	global_store_dwordx4 v[141:142], v[32:35], off
	v_fma_f64 v[77:78], v[125:126], v[26:27], v[53:54]
	v_mul_f64 v[34:35], v[24:25], v[107:108]
	v_fma_f64 v[71:72], v[75:76], v[26:27], v[61:62]
	v_add_f64 v[28:29], v[49:50], -v[59:60]
	v_mul_f64 v[32:33], v[73:74], -v[14:15]
	v_add_f64 v[30:31], v[51:52], -v[65:66]
	v_fma_f64 v[75:76], v[123:124], v[26:27], v[67:68]
	s_waitcnt vmcnt(5)
	v_mul_f64 v[49:50], v[24:25], v[127:128]
	v_mul_f64 v[51:52], v[77:78], -v[10:11]
	v_mul_f64 v[53:54], v[12:13], v[73:74]
	v_mul_f64 v[65:66], v[8:9], v[77:78]
	v_mul_f64 v[67:68], v[24:25], -v[109:110]
	v_fma_f64 v[32:33], v[12:13], v[71:72], v[32:33]
	v_mul_f64 v[79:80], v[24:25], -v[129:130]
	v_fma_f64 v[61:62], v[109:110], v[26:27], v[34:35]
	v_fma_f64 v[59:60], v[129:130], v[26:27], v[49:50]
	;; [unrolled: 1-line block ×5, first 2 shown]
	global_store_dwordx4 v[143:144], v[28:31], off
	v_fma_f64 v[67:68], v[107:108], v[26:27], v[67:68]
	v_fma_f64 v[65:66], v[127:128], v[26:27], v[79:80]
	v_mul_f64 v[53:54], v[61:62], -v[14:15]
	v_mul_f64 v[79:80], v[59:60], -v[10:11]
	v_add_f64 v[28:29], v[32:33], -v[34:35]
	v_mul_f64 v[32:33], v[12:13], v[61:62]
	v_add_f64 v[30:31], v[49:50], -v[51:52]
	v_mul_f64 v[34:35], v[24:25], v[111:112]
	s_waitcnt vmcnt(5)
	v_mul_f64 v[49:50], v[24:25], v[131:132]
	v_mul_f64 v[107:108], v[8:9], v[59:60]
	v_fma_f64 v[53:54], v[12:13], v[67:68], v[53:54]
	v_fma_f64 v[79:80], v[8:9], v[65:66], v[79:80]
	v_mul_f64 v[109:110], v[24:25], -v[113:114]
	v_fma_f64 v[32:33], v[14:15], v[67:68], v[32:33]
	v_mul_f64 v[119:120], v[24:25], -v[133:134]
	v_fma_f64 v[51:52], v[113:114], v[26:27], v[34:35]
	v_fma_f64 v[49:50], v[133:134], v[26:27], v[49:50]
	;; [unrolled: 1-line block ×3, first 2 shown]
	global_store_dwordx4 v[145:146], v[28:31], off
	v_add_f64 v[107:108], v[53:54], -v[79:80]
	v_fma_f64 v[53:54], v[111:112], v[26:27], v[109:110]
	v_mul_f64 v[28:29], v[24:25], v[115:116]
	v_fma_f64 v[79:80], v[131:132], v[26:27], v[119:120]
	v_mul_f64 v[30:31], v[51:52], -v[14:15]
	v_mul_f64 v[111:112], v[49:50], -v[10:11]
	v_add_f64 v[109:110], v[32:33], -v[34:35]
	s_waitcnt vmcnt(5)
	v_mul_f64 v[32:33], v[24:25], v[135:136]
	v_mul_f64 v[34:35], v[12:13], v[51:52]
	v_mul_f64 v[113:114], v[24:25], -v[117:118]
	v_fma_f64 v[28:29], v[117:118], v[26:27], v[28:29]
	v_mul_f64 v[117:118], v[8:9], v[49:50]
	v_fma_f64 v[119:120], v[12:13], v[53:54], v[30:31]
	v_fma_f64 v[111:112], v[8:9], v[79:80], v[111:112]
	v_mul_f64 v[121:122], v[24:25], -v[137:138]
	v_fma_f64 v[32:33], v[137:138], v[26:27], v[32:33]
	global_store_dwordx4 v[147:148], v[107:110], off
	v_fma_f64 v[30:31], v[115:116], v[26:27], v[113:114]
	v_mul_f64 v[109:110], v[28:29], -v[14:15]
	v_fma_f64 v[113:114], v[14:15], v[53:54], v[34:35]
	v_fma_f64 v[115:116], v[10:11], v[79:80], v[117:118]
	v_add_f64 v[107:108], v[119:120], -v[111:112]
	v_fma_f64 v[34:35], v[135:136], v[26:27], v[121:122]
	v_mul_f64 v[111:112], v[32:33], -v[10:11]
	v_mul_f64 v[117:118], v[12:13], v[28:29]
	v_mul_f64 v[119:120], v[8:9], v[32:33]
	v_fma_f64 v[12:13], v[12:13], v[30:31], v[109:110]
	v_mul_f64 v[121:122], v[6:7], v[93:94]
	v_mul_f64 v[123:124], v[93:94], -v[4:5]
	v_mul_f64 v[125:126], v[95:96], -v[2:3]
	v_mul_f64 v[127:128], v[0:1], v[95:96]
	v_fma_f64 v[8:9], v[8:9], v[34:35], v[111:112]
	v_fma_f64 v[14:15], v[14:15], v[30:31], v[117:118]
	;; [unrolled: 1-line block ×3, first 2 shown]
	v_add_f64 v[109:110], v[113:114], -v[115:116]
	v_fma_f64 v[111:112], -v[4:5], v[101:102], v[121:122]
	v_fma_f64 v[113:114], -v[6:7], v[101:102], v[123:124]
	v_fma_f64 v[115:116], v[0:1], v[99:100], v[125:126]
	v_fma_f64 v[117:118], v[2:3], v[99:100], v[127:128]
	v_add_f64 v[8:9], v[12:13], -v[8:9]
	v_mul_f64 v[119:120], v[6:7], v[55:56]
	v_mul_f64 v[121:122], v[55:56], -v[4:5]
	v_add_f64 v[10:11], v[14:15], -v[10:11]
	v_mul_f64 v[123:124], v[57:58], -v[2:3]
	v_mul_f64 v[125:126], v[0:1], v[57:58]
	global_store_dwordx4 v[149:150], v[107:110], off
	v_add_f64 v[12:13], v[111:112], v[115:116]
	v_add_f64 v[14:15], v[113:114], v[117:118]
	v_fma_f64 v[107:108], -v[4:5], v[63:64], v[119:120]
	v_fma_f64 v[109:110], -v[6:7], v[63:64], v[121:122]
	global_store_dwordx4 v[151:152], v[8:11], off
	v_mul_f64 v[115:116], v[87:88], -v[2:3]
	v_mul_f64 v[8:9], v[6:7], v[83:84]
	v_mul_f64 v[10:11], v[83:84], -v[4:5]
	v_mul_f64 v[117:118], v[0:1], v[87:88]
	v_mul_f64 v[119:120], v[6:7], v[40:41]
	v_mul_f64 v[121:122], v[47:48], -v[2:3]
	v_fma_f64 v[111:112], v[0:1], v[69:70], v[123:124]
	v_fma_f64 v[113:114], v[2:3], v[69:70], v[125:126]
	v_mul_f64 v[123:124], v[40:41], -v[4:5]
	v_mul_f64 v[125:126], v[0:1], v[47:48]
	v_fma_f64 v[127:128], -v[4:5], v[81:82], v[8:9]
	v_fma_f64 v[129:130], -v[6:7], v[81:82], v[10:11]
	v_fma_f64 v[115:116], v[0:1], v[91:92], v[115:116]
	v_fma_f64 v[117:118], v[2:3], v[91:92], v[117:118]
	v_fma_f64 v[119:120], -v[4:5], v[38:39], v[119:120]
	v_fma_f64 v[121:122], v[0:1], v[42:43], v[121:122]
	v_add_f64 v[8:9], v[107:108], v[111:112]
	v_add_f64 v[10:11], v[109:110], v[113:114]
	v_mul_f64 v[111:112], v[6:7], v[73:74]
	v_mul_f64 v[113:114], v[77:78], -v[2:3]
	global_store_dwordx4 v[85:86], v[12:15], off
	v_fma_f64 v[85:86], -v[6:7], v[38:39], v[123:124]
	v_fma_f64 v[109:110], v[2:3], v[42:43], v[125:126]
	v_add_f64 v[12:13], v[127:128], v[115:116]
	v_add_f64 v[14:15], v[129:130], v[117:118]
	;; [unrolled: 1-line block ×3, first 2 shown]
	v_mul_f64 v[115:116], v[73:74], -v[4:5]
	v_mul_f64 v[117:118], v[0:1], v[77:78]
	v_mul_f64 v[119:120], v[6:7], v[61:62]
	v_mul_f64 v[121:122], v[61:62], -v[4:5]
	v_mul_f64 v[123:124], v[59:60], -v[2:3]
	v_mul_f64 v[125:126], v[0:1], v[59:60]
	v_fma_f64 v[111:112], -v[4:5], v[71:72], v[111:112]
	v_fma_f64 v[113:114], v[0:1], v[75:76], v[113:114]
	v_add_f64 v[109:110], v[85:86], v[109:110]
	v_fma_f64 v[85:86], -v[6:7], v[71:72], v[115:116]
	v_fma_f64 v[115:116], v[2:3], v[75:76], v[117:118]
	v_fma_f64 v[117:118], -v[4:5], v[67:68], v[119:120]
	v_fma_f64 v[119:120], -v[6:7], v[67:68], v[121:122]
	v_fma_f64 v[121:122], v[0:1], v[65:66], v[123:124]
	v_fma_f64 v[123:124], v[2:3], v[65:66], v[125:126]
	v_mul_f64 v[125:126], v[51:52], -v[4:5]
	v_mul_f64 v[129:130], v[0:1], v[49:50]
	v_mul_f64 v[131:132], v[6:7], v[28:29]
	v_mul_f64 v[133:134], v[28:29], -v[4:5]
	v_mul_f64 v[135:136], v[32:33], -v[2:3]
	v_mul_f64 v[137:138], v[0:1], v[32:33]
	v_add_f64 v[111:112], v[111:112], v[113:114]
	v_mul_f64 v[113:114], v[6:7], v[51:52]
	v_mul_f64 v[127:128], v[49:50], -v[2:3]
	v_fma_f64 v[125:126], -v[6:7], v[53:54], v[125:126]
	v_fma_f64 v[129:130], v[2:3], v[79:80], v[129:130]
	v_fma_f64 v[131:132], -v[4:5], v[30:31], v[131:132]
	v_fma_f64 v[133:134], -v[6:7], v[30:31], v[133:134]
	v_fma_f64 v[135:136], v[0:1], v[34:35], v[135:136]
	v_fma_f64 v[137:138], v[2:3], v[34:35], v[137:138]
	v_fma_f64 v[139:140], -v[4:5], v[53:54], v[113:114]
	v_fma_f64 v[127:128], v[0:1], v[79:80], v[127:128]
	v_add_f64 v[113:114], v[85:86], v[115:116]
	v_add_f64 v[115:116], v[117:118], v[121:122]
	;; [unrolled: 1-line block ×6, first 2 shown]
	global_store_dwordx4 v[36:37], v[8:11], off
	v_add_f64 v[119:120], v[139:140], v[127:128]
	v_mov_b32_e32 v8, 0
	v_mov_b32_e32 v10, 0
	;; [unrolled: 1-line block ×4, first 2 shown]
	global_store_dwordx4 v[89:90], v[12:15], off
	global_store_dwordx4 v[97:98], v[107:110], off
	;; [unrolled: 1-line block ×6, first 2 shown]
	s_and_saveexec_b64 s[4:5], s[2:3]
	s_cbranch_execz .LBB308_16
; %bb.15:                               ;   in Loop: Header=BB308_5 Depth=1
	v_add_u32_e32 v12, v104, v105
	v_add_u32_e32 v45, s28, v12
	v_lshlrev_b64 v[8:9], 4, v[45:46]
	v_mov_b32_e32 v10, s9
	v_add_co_u32_e32 v13, vcc, s8, v8
	v_addc_co_u32_e32 v14, vcc, v10, v9, vcc
	global_load_dwordx4 v[8:11], v[13:14], off
	v_mul_f64 v[36:37], v[22:23], -v[4:5]
	v_mul_f64 v[85:86], v[6:7], v[22:23]
	v_mul_f64 v[89:90], v[0:1], v[22:23]
	v_mul_f64 v[97:98], v[22:23], -v[2:3]
	v_add_u32_e32 v45, s29, v12
	v_mov_b32_e32 v15, s9
	v_fma_f64 v[36:37], -v[6:7], v[20:21], v[36:37]
	v_fma_f64 v[85:86], -v[4:5], v[20:21], v[85:86]
	v_fma_f64 v[89:90], v[2:3], v[20:21], v[89:90]
	v_fma_f64 v[97:98], v[0:1], v[20:21], v[97:98]
	v_mul_f64 v[4:5], v[36:37], v[93:94]
	v_mul_f64 v[6:7], v[93:94], -v[85:86]
	v_mul_f64 v[93:94], v[95:96], -v[89:90]
	v_mul_f64 v[95:96], v[97:98], v[95:96]
	v_fma_f64 v[4:5], -v[85:86], v[101:102], v[4:5]
	v_fma_f64 v[6:7], -v[36:37], v[101:102], v[6:7]
	v_fma_f64 v[93:94], v[97:98], v[99:100], v[93:94]
	v_fma_f64 v[95:96], v[89:90], v[99:100], v[95:96]
	v_mul_f64 v[101:102], v[36:37], v[83:84]
	v_add_f64 v[93:94], v[4:5], -v[93:94]
	v_add_f64 v[95:96], v[6:7], -v[95:96]
	v_lshlrev_b64 v[4:5], 4, v[45:46]
	v_add_u32_e32 v45, s30, v12
	v_add_co_u32_e32 v99, vcc, s8, v4
	v_addc_co_u32_e32 v100, vcc, v15, v5, vcc
	global_load_dwordx4 v[4:7], v[99:100], off
	s_waitcnt vmcnt(1)
	v_add_f64 v[8:9], v[93:94], v[8:9]
	v_add_f64 v[10:11], v[95:96], v[10:11]
	v_lshlrev_b64 v[93:94], 4, v[45:46]
	v_mul_f64 v[95:96], v[57:58], -v[89:90]
	v_add_co_u32_e32 v93, vcc, s8, v93
	v_addc_co_u32_e32 v94, vcc, v15, v94, vcc
	v_mul_f64 v[57:58], v[97:98], v[57:58]
	global_store_dwordx4 v[13:14], v[8:11], off
	global_load_dwordx4 v[8:11], v[93:94], off
	v_mul_f64 v[13:14], v[36:37], v[55:56]
	v_mul_f64 v[55:56], v[55:56], -v[85:86]
	v_add_u32_e32 v45, s31, v12
	v_fma_f64 v[57:58], v[89:90], v[69:70], v[57:58]
	v_fma_f64 v[13:14], -v[85:86], v[63:64], v[13:14]
	v_fma_f64 v[55:56], -v[36:37], v[63:64], v[55:56]
	v_fma_f64 v[63:64], v[97:98], v[69:70], v[95:96]
	v_mul_f64 v[69:70], v[83:84], -v[85:86]
	v_mul_f64 v[83:84], v[87:88], -v[89:90]
	v_mul_f64 v[87:88], v[97:98], v[87:88]
	v_fma_f64 v[95:96], -v[85:86], v[81:82], v[101:102]
	v_add_f64 v[55:56], v[55:56], -v[57:58]
	v_add_f64 v[13:14], v[13:14], -v[63:64]
	v_fma_f64 v[57:58], -v[36:37], v[81:82], v[69:70]
	v_fma_f64 v[63:64], v[97:98], v[91:92], v[83:84]
	v_fma_f64 v[69:70], v[89:90], v[91:92], v[87:88]
	v_mul_f64 v[81:82], v[77:78], -v[89:90]
	v_mul_f64 v[77:78], v[97:98], v[77:78]
	v_add_f64 v[57:58], v[57:58], -v[69:70]
	v_mul_f64 v[69:70], v[36:37], v[73:74]
	v_mul_f64 v[73:74], v[73:74], -v[85:86]
	s_waitcnt vmcnt(2)
	v_add_f64 v[6:7], v[55:56], v[6:7]
	v_add_f64 v[55:56], v[95:96], -v[63:64]
	v_add_f64 v[4:5], v[13:14], v[4:5]
	v_lshlrev_b64 v[13:14], 4, v[45:46]
	v_add_u32_e32 v45, s33, v12
	v_add_co_u32_e32 v13, vcc, s8, v13
	v_addc_co_u32_e32 v14, vcc, v15, v14, vcc
	v_mul_f64 v[63:64], v[47:48], -v[89:90]
	global_store_dwordx4 v[99:100], v[4:7], off
	global_load_dwordx4 v[4:7], v[13:14], off
	v_mul_f64 v[47:48], v[97:98], v[47:48]
	s_waitcnt vmcnt(2)
	v_add_f64 v[8:9], v[55:56], v[8:9]
	v_add_f64 v[10:11], v[57:58], v[10:11]
	v_lshlrev_b64 v[55:56], 4, v[45:46]
	v_mul_f64 v[57:58], v[36:37], v[40:41]
	v_add_co_u32_e32 v55, vcc, s8, v55
	v_addc_co_u32_e32 v56, vcc, v15, v56, vcc
	v_mul_f64 v[40:41], v[40:41], -v[85:86]
	global_store_dwordx4 v[93:94], v[8:11], off
	global_load_dwordx4 v[8:11], v[55:56], off
	v_fma_f64 v[57:58], -v[85:86], v[38:39], v[57:58]
	v_add_u32_e32 v45, s34, v12
	v_fma_f64 v[38:39], -v[36:37], v[38:39], v[40:41]
	v_fma_f64 v[40:41], v[97:98], v[42:43], v[63:64]
	v_fma_f64 v[42:43], v[89:90], v[42:43], v[47:48]
	v_fma_f64 v[47:48], -v[85:86], v[71:72], v[69:70]
	v_fma_f64 v[63:64], -v[36:37], v[71:72], v[73:74]
	v_fma_f64 v[69:70], v[97:98], v[75:76], v[81:82]
	v_fma_f64 v[71:72], v[89:90], v[75:76], v[77:78]
	v_add_f64 v[40:41], v[57:58], -v[40:41]
	v_add_f64 v[38:39], v[38:39], -v[42:43]
	;; [unrolled: 1-line block ×4, first 2 shown]
	s_waitcnt vmcnt(2)
	v_add_f64 v[4:5], v[40:41], v[4:5]
	v_add_f64 v[6:7], v[38:39], v[6:7]
	v_lshlrev_b64 v[38:39], 4, v[45:46]
	v_mul_f64 v[40:41], v[97:98], v[59:60]
	v_add_co_u32_e32 v38, vcc, s8, v38
	v_addc_co_u32_e32 v39, vcc, v15, v39, vcc
	v_add_u32_e32 v45, s35, v12
	v_fma_f64 v[40:41], v[89:90], v[65:66], v[40:41]
	s_waitcnt vmcnt(0)
	v_add_f64 v[8:9], v[42:43], v[8:9]
	v_add_f64 v[10:11], v[47:48], v[10:11]
	global_store_dwordx4 v[13:14], v[4:7], off
	global_store_dwordx4 v[55:56], v[8:11], off
	global_load_dwordx4 v[4:7], v[38:39], off
	v_mul_f64 v[8:9], v[36:37], v[61:62]
	v_mul_f64 v[10:11], v[61:62], -v[85:86]
	v_mul_f64 v[13:14], v[59:60], -v[89:90]
	v_fma_f64 v[8:9], -v[85:86], v[67:68], v[8:9]
	v_fma_f64 v[10:11], -v[36:37], v[67:68], v[10:11]
	v_fma_f64 v[13:14], v[97:98], v[65:66], v[13:14]
	v_add_f64 v[10:11], v[10:11], -v[40:41]
	v_add_f64 v[8:9], v[8:9], -v[13:14]
	v_mul_f64 v[13:14], v[51:52], -v[85:86]
	v_mul_f64 v[40:41], v[97:98], v[49:50]
	v_fma_f64 v[13:14], -v[36:37], v[53:54], v[13:14]
	v_fma_f64 v[40:41], v[89:90], v[79:80], v[40:41]
	v_add_f64 v[14:15], v[13:14], -v[40:41]
	v_ashrrev_i32_e32 v13, 31, v12
	s_waitcnt vmcnt(0)
	v_add_f64 v[4:5], v[8:9], v[4:5]
	v_add_f64 v[6:7], v[10:11], v[6:7]
	v_lshlrev_b64 v[8:9], 4, v[45:46]
	v_mov_b32_e32 v10, s9
	v_add_co_u32_e32 v8, vcc, s8, v8
	v_addc_co_u32_e32 v9, vcc, v10, v9, vcc
	v_mul_f64 v[10:11], v[36:37], v[51:52]
	global_store_dwordx4 v[38:39], v[4:7], off
	global_load_dwordx4 v[4:7], v[8:9], off
	v_mul_f64 v[38:39], v[49:50], -v[89:90]
	v_add_u32_e32 v45, s36, v12
	v_fma_f64 v[10:11], -v[85:86], v[53:54], v[10:11]
	v_fma_f64 v[38:39], v[97:98], v[79:80], v[38:39]
	v_add_f64 v[10:11], v[10:11], -v[38:39]
	v_mov_b32_e32 v38, s9
	v_mov_b32_e32 v39, s15
	s_waitcnt vmcnt(0)
	v_add_f64 v[4:5], v[10:11], v[4:5]
	v_add_f64 v[6:7], v[14:15], v[6:7]
	v_lshlrev_b64 v[10:11], 4, v[12:13]
	v_lshlrev_b64 v[12:13], 4, v[45:46]
	v_add_co_u32_e32 v14, vcc, s8, v12
	v_addc_co_u32_e32 v15, vcc, v38, v13, vcc
	global_store_dwordx4 v[8:9], v[4:7], off
	v_add_co_u32_e32 v8, vcc, s14, v10
	v_addc_co_u32_e32 v9, vcc, v39, v11, vcc
	global_load_dwordx4 v[4:7], v[14:15], off
	global_load_dwordx4 v[10:13], v[8:9], off
	v_mul_f64 v[8:9], v[2:3], -v[22:23]
	v_mul_f64 v[2:3], v[2:3], v[20:21]
	v_fma_f64 v[8:9], v[20:21], v[0:1], v[8:9]
	v_fma_f64 v[0:1], v[22:23], v[0:1], v[2:3]
	v_mul_f64 v[20:21], v[36:37], v[28:29]
	v_mul_f64 v[22:23], v[28:29], -v[85:86]
	v_mul_f64 v[28:29], v[32:33], -v[89:90]
	v_mul_f64 v[32:33], v[97:98], v[32:33]
	v_mul_f64 v[2:3], v[18:19], v[8:9]
	v_mul_f64 v[18:19], v[18:19], -v[0:1]
	v_fma_f64 v[0:1], v[0:1], v[16:17], v[2:3]
	v_fma_f64 v[2:3], v[8:9], v[16:17], v[18:19]
	v_fma_f64 v[8:9], -v[85:86], v[30:31], v[20:21]
	v_fma_f64 v[16:17], -v[36:37], v[30:31], v[22:23]
	v_fma_f64 v[18:19], v[97:98], v[34:35], v[28:29]
	v_fma_f64 v[20:21], v[89:90], v[34:35], v[32:33]
	v_mul_f64 v[22:23], v[24:25], -v[0:1]
	v_mul_f64 v[24:25], v[24:25], v[2:3]
	v_add_f64 v[8:9], v[8:9], -v[18:19]
	v_add_f64 v[16:17], v[16:17], -v[20:21]
	v_fma_f64 v[18:19], v[2:3], v[26:27], v[22:23]
	v_fma_f64 v[20:21], v[0:1], v[26:27], v[24:25]
	s_waitcnt vmcnt(1)
	v_add_f64 v[0:1], v[8:9], v[4:5]
	v_add_f64 v[2:3], v[16:17], v[6:7]
	s_waitcnt vmcnt(0)
	v_add_f64 v[10:11], v[10:11], -v[18:19]
	v_add_f64 v[8:9], v[12:13], -v[20:21]
	global_store_dwordx4 v[14:15], v[0:3], off
.LBB308_16:                             ;   in Loop: Header=BB308_5 Depth=1
	s_or_b64 exec, exec, s[4:5]
	v_mov_b32_e32 v2, v8
	v_mov_b32_e32 v0, v10
	;; [unrolled: 1-line block ×4, first 2 shown]
                                        ; implicit-def: $vgpr4_vgpr5
                                        ; implicit-def: $vgpr12_vgpr13
                                        ; implicit-def: $vgpr8_vgpr9
                                        ; implicit-def: $vgpr47_vgpr48
                                        ; implicit-def: $vgpr49_vgpr50
                                        ; implicit-def: $vgpr36
                                        ; implicit-def: $vgpr34
                                        ; implicit-def: $vgpr32
                                        ; implicit-def: $vgpr30
                                        ; implicit-def: $vgpr28
                                        ; implicit-def: $vgpr26
                                        ; implicit-def: $vgpr24
.LBB308_17:                             ;   in Loop: Header=BB308_5 Depth=1
	s_or_saveexec_b64 s[2:3], s[20:21]
	v_mov_b32_e32 v10, s27
	s_xor_b64 exec, exec, s[2:3]
	s_cbranch_execz .LBB308_4
; %bb.18:                               ;   in Loop: Header=BB308_5 Depth=1
	v_mul_f64 v[10:11], v[2:3], v[2:3]
	v_lshlrev_b64 v[16:17], 4, v[45:46]
	v_mov_b32_e32 v35, v46
	v_mov_b32_e32 v37, v46
	v_lshlrev_b64 v[20:21], 4, v[34:35]
	v_mov_b32_e32 v25, s9
	v_lshlrev_b64 v[18:19], 4, v[36:37]
	v_add_co_u32_e32 v73, vcc, s8, v16
	v_fma_f64 v[10:11], v[0:1], v[0:1], v[10:11]
	v_addc_co_u32_e32 v74, vcc, v25, v17, vcc
	v_mov_b32_e32 v40, s9
	v_add_co_u32_e32 v75, vcc, s8, v18
	v_mov_b32_e32 v33, v46
	v_addc_co_u32_e32 v76, vcc, v40, v19, vcc
	v_div_scale_f64 v[38:39], s[4:5], v[10:11], v[10:11], 1.0
	v_mov_b32_e32 v41, s9
	v_lshlrev_b64 v[22:23], 4, v[32:33]
	v_add_co_u32_e32 v77, vcc, s8, v20
	v_mov_b32_e32 v31, v46
	v_addc_co_u32_e32 v78, vcc, v41, v21, vcc
	v_mov_b32_e32 v42, s9
	v_lshlrev_b64 v[30:31], 4, v[30:31]
	v_add_co_u32_e32 v79, vcc, s8, v22
	v_mov_b32_e32 v29, v46
	v_addc_co_u32_e32 v80, vcc, v42, v23, vcc
	v_rcp_f64_e32 v[34:35], v[38:39]
	v_mov_b32_e32 v43, s9
	v_lshlrev_b64 v[28:29], 4, v[28:29]
	v_add_co_u32_e32 v81, vcc, s8, v30
	v_mov_b32_e32 v27, v46
	v_addc_co_u32_e32 v82, vcc, v43, v31, vcc
	v_mov_b32_e32 v45, s9
	v_lshlrev_b64 v[32:33], 4, v[26:27]
	v_add_co_u32_e32 v83, vcc, s8, v28
	v_addc_co_u32_e32 v84, vcc, v45, v29, vcc
	v_mov_b32_e32 v25, v46
	v_mov_b32_e32 v51, s9
	v_add_co_u32_e32 v85, vcc, s8, v32
	v_lshlrev_b64 v[24:25], 4, v[24:25]
	v_addc_co_u32_e32 v86, vcc, v51, v33, vcc
	v_mov_b32_e32 v32, s9
	v_add_co_u32_e32 v87, vcc, s8, v24
	v_fma_f64 v[30:31], -v[38:39], v[34:35], 1.0
	global_load_dwordx4 v[16:19], v[73:74], off
	global_load_dwordx4 v[20:23], v[75:76], off
	;; [unrolled: 1-line block ×6, first 2 shown]
	v_addc_co_u32_e32 v88, vcc, v32, v25, vcc
	global_load_dwordx4 v[65:68], v[85:86], off
	global_load_dwordx4 v[69:72], v[87:88], off
	v_div_scale_f64 v[24:25], vcc, 1.0, v[10:11], 1.0
	v_fma_f64 v[30:31], v[34:35], v[30:31], v[34:35]
	v_fma_f64 v[32:33], -v[38:39], v[30:31], 1.0
	v_fma_f64 v[30:31], v[30:31], v[32:33], v[30:31]
	v_mul_f64 v[32:33], v[24:25], v[30:31]
	v_fma_f64 v[24:25], -v[38:39], v[32:33], v[24:25]
	v_div_fmas_f64 v[24:25], v[24:25], v[30:31], v[32:33]
	v_fma_f64 v[30:31], v[0:1], 0, -v[2:3]
	v_fma_f64 v[0:1], v[2:3], 0, v[0:1]
	v_div_fixup_f64 v[10:11], v[24:25], v[10:11], 1.0
	v_mul_f64 v[51:52], v[30:31], v[10:11]
	v_mul_f64 v[10:11], v[0:1], v[10:11]
	s_waitcnt vmcnt(7)
	v_mul_f64 v[0:1], v[51:52], -v[18:19]
	v_mul_f64 v[2:3], v[51:52], v[16:17]
	s_waitcnt vmcnt(6)
	v_mul_f64 v[24:25], v[51:52], -v[22:23]
	;; [unrolled: 3-line block ×8, first 2 shown]
	v_mul_f64 v[111:112], v[51:52], v[69:70]
	v_fma_f64 v[40:41], v[16:17], v[10:11], v[0:1]
	v_fma_f64 v[42:43], v[18:19], v[10:11], v[2:3]
	;; [unrolled: 1-line block ×16, first 2 shown]
	global_store_dwordx4 v[73:74], v[40:43], off
	global_store_dwordx4 v[75:76], v[36:39], off
	;; [unrolled: 1-line block ×8, first 2 shown]
	s_and_saveexec_b64 s[4:5], s[0:1]
	s_cbranch_execz .LBB308_3
; %bb.19:                               ;   in Loop: Header=BB308_5 Depth=1
	v_add_u32_e32 v65, v103, v105
	v_add_u32_e32 v45, s28, v65
	v_lshlrev_b64 v[53:54], 4, v[45:46]
	v_mov_b32_e32 v45, s9
	v_add_co_u32_e32 v61, vcc, s8, v53
	v_addc_co_u32_e32 v62, vcc, v45, v54, vcc
	global_load_dwordx4 v[53:56], v[61:62], off
	v_add_u32_e32 v45, s29, v65
	v_lshlrev_b64 v[57:58], 4, v[45:46]
	v_add_u32_e32 v45, s30, v65
	v_mov_b32_e32 v59, s9
	v_add_co_u32_e32 v63, vcc, s8, v57
	v_addc_co_u32_e32 v64, vcc, v59, v58, vcc
	global_load_dwordx4 v[57:60], v[63:64], off
	s_waitcnt vmcnt(1)
	v_fma_f64 v[53:54], -v[4:5], v[40:41], v[53:54]
	v_fma_f64 v[55:56], -v[6:7], v[40:41], v[55:56]
	v_fma_f64 v[40:41], v[6:7], v[42:43], v[53:54]
	v_fma_f64 v[42:43], -v[4:5], v[42:43], v[55:56]
	v_lshlrev_b64 v[53:54], 4, v[45:46]
	v_mov_b32_e32 v55, s9
	v_add_co_u32_e32 v53, vcc, s8, v53
	v_addc_co_u32_e32 v54, vcc, v55, v54, vcc
	v_add_u32_e32 v45, s31, v65
	global_store_dwordx4 v[61:62], v[40:43], off
	global_load_dwordx4 v[40:43], v[53:54], off
	s_waitcnt vmcnt(2)
	v_fma_f64 v[55:56], -v[4:5], v[36:37], v[57:58]
	v_fma_f64 v[57:58], -v[6:7], v[36:37], v[59:60]
	v_fma_f64 v[36:37], v[6:7], v[38:39], v[55:56]
	v_fma_f64 v[38:39], -v[4:5], v[38:39], v[57:58]
	v_lshlrev_b64 v[55:56], 4, v[45:46]
	v_add_u32_e32 v45, s33, v65
	v_mov_b32_e32 v57, s9
	v_add_co_u32_e32 v55, vcc, s8, v55
	v_addc_co_u32_e32 v56, vcc, v57, v56, vcc
	global_store_dwordx4 v[63:64], v[36:39], off
	global_load_dwordx4 v[36:39], v[55:56], off
	s_waitcnt vmcnt(2)
	v_fma_f64 v[40:41], -v[4:5], v[32:33], v[40:41]
	v_fma_f64 v[42:43], -v[6:7], v[32:33], v[42:43]
	v_fma_f64 v[32:33], v[6:7], v[34:35], v[40:41]
	v_fma_f64 v[34:35], -v[4:5], v[34:35], v[42:43]
	v_lshlrev_b64 v[40:41], 4, v[45:46]
	v_mov_b32_e32 v42, s9
	v_add_co_u32_e32 v40, vcc, s8, v40
	v_addc_co_u32_e32 v41, vcc, v42, v41, vcc
	v_add_u32_e32 v45, s34, v65
	global_store_dwordx4 v[53:54], v[32:35], off
	global_load_dwordx4 v[32:35], v[40:41], off
	s_waitcnt vmcnt(2)
	v_fma_f64 v[36:37], -v[4:5], v[28:29], v[36:37]
	v_fma_f64 v[38:39], -v[6:7], v[28:29], v[38:39]
	v_fma_f64 v[28:29], v[6:7], v[30:31], v[36:37]
	v_fma_f64 v[30:31], -v[4:5], v[30:31], v[38:39]
	s_waitcnt vmcnt(0)
	v_fma_f64 v[32:33], -v[4:5], v[24:25], v[32:33]
	v_fma_f64 v[34:35], -v[6:7], v[24:25], v[34:35]
	v_fma_f64 v[24:25], v[6:7], v[26:27], v[32:33]
	v_fma_f64 v[26:27], -v[4:5], v[26:27], v[34:35]
	v_lshlrev_b64 v[32:33], 4, v[45:46]
	global_store_dwordx4 v[55:56], v[28:31], off
	global_store_dwordx4 v[40:41], v[24:27], off
	v_add_co_u32_e32 v32, vcc, s8, v32
	v_addc_co_u32_e32 v33, vcc, v42, v33, vcc
	global_load_dwordx4 v[24:27], v[32:33], off
	v_add_u32_e32 v45, s35, v65
	s_waitcnt vmcnt(0)
	v_fma_f64 v[24:25], -v[4:5], v[20:21], v[24:25]
	v_fma_f64 v[26:27], -v[6:7], v[20:21], v[26:27]
	v_fma_f64 v[20:21], v[6:7], v[22:23], v[24:25]
	v_fma_f64 v[22:23], -v[4:5], v[22:23], v[26:27]
	v_lshlrev_b64 v[24:25], 4, v[45:46]
	v_mov_b32_e32 v26, s9
	v_add_co_u32_e32 v24, vcc, s8, v24
	v_addc_co_u32_e32 v25, vcc, v26, v25, vcc
	v_add_u32_e32 v45, s36, v65
	global_store_dwordx4 v[32:33], v[20:23], off
	global_load_dwordx4 v[20:23], v[24:25], off
	s_waitcnt vmcnt(0)
	v_fma_f64 v[20:21], -v[4:5], v[16:17], v[20:21]
	v_fma_f64 v[22:23], -v[6:7], v[16:17], v[22:23]
	v_fma_f64 v[16:17], v[6:7], v[18:19], v[20:21]
	v_fma_f64 v[18:19], -v[4:5], v[18:19], v[22:23]
	v_lshlrev_b64 v[20:21], 4, v[45:46]
	v_mov_b32_e32 v22, s9
	v_add_co_u32_e32 v20, vcc, s8, v20
	v_addc_co_u32_e32 v21, vcc, v22, v21, vcc
	global_store_dwordx4 v[24:25], v[16:19], off
	global_load_dwordx4 v[16:19], v[20:21], off
	s_waitcnt vmcnt(0)
	v_fma_f64 v[16:17], -v[4:5], v[0:1], v[16:17]
	v_fma_f64 v[18:19], -v[6:7], v[0:1], v[18:19]
	v_fma_f64 v[0:1], v[6:7], v[2:3], v[16:17]
	v_fma_f64 v[2:3], -v[4:5], v[2:3], v[18:19]
	global_store_dwordx4 v[20:21], v[0:3], off
	s_branch .LBB308_3
.LBB308_20:
	s_or_b64 exec, exec, s[18:19]
	s_branch .LBB308_22
.LBB308_21:
	v_mov_b32_e32 v105, 0
.LBB308_22:
	v_subrev_u32_e32 v2, s22, v105
	v_add_u32_e32 v0, v2, v44
	v_ashrrev_i32_e32 v1, 31, v0
	v_lshlrev_b64 v[0:1], 2, v[0:1]
	s_waitcnt lgkmcnt(0)
	v_mov_b32_e32 v3, s17
	v_add_co_u32_e32 v0, vcc, s16, v0
	v_addc_co_u32_e32 v1, vcc, v3, v1, vcc
	s_waitcnt vmcnt(0)
	buffer_wbinvl1_vol
	global_load_dword v0, v[0:1], off
	s_waitcnt vmcnt(0)
	v_mul_lo_u32 v0, v0, s22
	v_sub_u32_e32 v8, v2, v0
	v_cmp_lt_i32_e32 vcc, -1, v8
	s_and_b64 exec, exec, vcc
	s_cbranch_execz .LBB308_29
; %bb.23:
	s_lshl_b32 s4, s24, 3
	s_add_i32 s5, s4, s23
	s_add_i32 s6, s5, s23
	;; [unrolled: 1-line block ×7, first 2 shown]
	s_lshl_b32 s18, s22, 1
	s_mov_b64 s[0:1], 0
	v_mov_b32_e32 v9, s17
	v_mov_b32_e32 v10, s11
	;; [unrolled: 1-line block ×3, first 2 shown]
	s_branch .LBB308_25
.LBB308_24:                             ;   in Loop: Header=BB308_25 Depth=1
	s_or_b64 exec, exec, s[2:3]
	v_sub_u32_e32 v8, v8, v4
	v_cmp_gt_i32_e32 vcc, 0, v8
	s_or_b64 s[0:1], vcc, s[0:1]
	s_andn2_b64 exec, exec, s[0:1]
	s_cbranch_execz .LBB308_29
.LBB308_25:                             ; =>This Inner Loop Header: Depth=1
	v_add_u32_e32 v6, v8, v44
	v_ashrrev_i32_e32 v7, 31, v6
	s_waitcnt vmcnt(0)
	v_lshlrev_b64 v[0:1], 2, v[6:7]
	v_add_co_u32_e32 v0, vcc, s16, v0
	v_addc_co_u32_e32 v1, vcc, v9, v1, vcc
	global_load_dword v4, v[0:1], off
	v_lshlrev_b64 v[0:1], 4, v[6:7]
	v_add_co_u32_e32 v0, vcc, s10, v0
	v_addc_co_u32_e32 v1, vcc, v10, v1, vcc
	global_load_dwordx4 v[0:3], v[0:1], off
	s_waitcnt vmcnt(1)
	v_cmp_ne_u32_e32 vcc, 1, v4
	s_and_saveexec_b64 s[2:3], vcc
	s_xor_b64 s[2:3], exec, s[2:3]
	s_cbranch_execz .LBB308_27
; %bb.26:                               ;   in Loop: Header=BB308_25 Depth=1
	v_add_u32_e32 v7, v103, v8
	v_add_u32_e32 v4, s4, v7
	v_lshlrev_b64 v[11:12], 4, v[4:5]
	v_mov_b32_e32 v4, s9
	v_add_co_u32_e32 v11, vcc, s8, v11
	v_addc_co_u32_e32 v12, vcc, v4, v12, vcc
	v_add_u32_e32 v4, s5, v7
	v_lshlrev_b64 v[19:20], 4, v[4:5]
	v_add_u32_e32 v4, s6, v7
	v_lshlrev_b64 v[23:24], 4, v[4:5]
	;; [unrolled: 2-line block ×8, first 2 shown]
	v_mov_b32_e32 v4, s9
	v_add_co_u32_e32 v49, vcc, s8, v15
	v_addc_co_u32_e32 v50, vcc, v4, v16, vcc
	global_load_dwordx4 v[11:14], v[11:12], off
	v_add_co_u32_e32 v19, vcc, s8, v19
	global_load_dwordx4 v[15:18], v[49:50], off
	v_addc_co_u32_e32 v20, vcc, v4, v20, vcc
	global_load_dwordx4 v[19:22], v[19:20], off
	v_mov_b32_e32 v7, s9
	v_add_co_u32_e32 v35, vcc, s8, v23
	v_addc_co_u32_e32 v36, vcc, v7, v24, vcc
	v_mov_b32_e32 v27, s9
	v_add_co_u32_e32 v37, vcc, s8, v25
	v_addc_co_u32_e32 v38, vcc, v27, v26, vcc
	;; [unrolled: 3-line block ×5, first 2 shown]
	v_add_u32_e32 v4, s5, v6
	v_mov_b32_e32 v54, s9
	v_add_co_u32_e32 v53, vcc, s8, v41
	v_lshlrev_b64 v[55:56], 4, v[4:5]
	v_addc_co_u32_e32 v54, vcc, v54, v42, vcc
	v_mov_b32_e32 v57, s9
	global_load_dwordx4 v[23:26], v[35:36], off
	global_load_dwordx4 v[27:30], v[37:38], off
	;; [unrolled: 1-line block ×3, first 2 shown]
	s_nop 0
	global_load_dwordx4 v[35:38], v[47:48], off
	global_load_dwordx4 v[39:42], v[51:52], off
	s_nop 0
	global_load_dwordx4 v[45:48], v[53:54], off
	v_add_co_u32_e32 v51, vcc, s8, v55
	v_addc_co_u32_e32 v52, vcc, v57, v56, vcc
	v_add_u32_e32 v4, s6, v6
	s_waitcnt vmcnt(7)
	v_fma_f64 v[15:16], -v[0:1], v[11:12], v[15:16]
	v_fma_f64 v[17:18], -v[2:3], v[11:12], v[17:18]
	v_fma_f64 v[15:16], v[2:3], v[13:14], v[15:16]
	v_fma_f64 v[17:18], -v[0:1], v[13:14], v[17:18]
	global_store_dwordx4 v[49:50], v[15:18], off
	global_load_dwordx4 v[15:18], v[51:52], off
	v_lshlrev_b64 v[49:50], 4, v[4:5]
	v_add_u32_e32 v4, s7, v6
	v_add_co_u32_e32 v49, vcc, s8, v49
	v_addc_co_u32_e32 v50, vcc, v7, v50, vcc
	s_waitcnt vmcnt(0)
	v_fma_f64 v[15:16], -v[0:1], v[19:20], v[15:16]
	v_fma_f64 v[17:18], -v[2:3], v[19:20], v[17:18]
	v_fma_f64 v[15:16], v[2:3], v[21:22], v[15:16]
	v_fma_f64 v[17:18], -v[0:1], v[21:22], v[17:18]
	global_store_dwordx4 v[51:52], v[15:18], off
	global_load_dwordx4 v[15:18], v[49:50], off
	v_lshlrev_b64 v[51:52], 4, v[4:5]
	v_add_u32_e32 v4, s12, v6
	v_add_co_u32_e32 v51, vcc, s8, v51
	v_addc_co_u32_e32 v52, vcc, v7, v52, vcc
	s_waitcnt vmcnt(0)
	v_fma_f64 v[15:16], -v[0:1], v[23:24], v[15:16]
	v_fma_f64 v[17:18], -v[2:3], v[23:24], v[17:18]
	v_fma_f64 v[15:16], v[2:3], v[25:26], v[15:16]
	v_fma_f64 v[17:18], -v[0:1], v[25:26], v[17:18]
	global_store_dwordx4 v[49:50], v[15:18], off
	global_load_dwordx4 v[15:18], v[51:52], off
	v_lshlrev_b64 v[49:50], 4, v[4:5]
	v_add_u32_e32 v4, s13, v6
	v_add_co_u32_e32 v49, vcc, s8, v49
	v_addc_co_u32_e32 v50, vcc, v7, v50, vcc
	s_waitcnt vmcnt(0)
	v_fma_f64 v[15:16], -v[0:1], v[27:28], v[15:16]
	v_fma_f64 v[17:18], -v[2:3], v[27:28], v[17:18]
	v_fma_f64 v[15:16], v[2:3], v[29:30], v[15:16]
	v_fma_f64 v[17:18], -v[0:1], v[29:30], v[17:18]
	global_store_dwordx4 v[51:52], v[15:18], off
	global_load_dwordx4 v[15:18], v[49:50], off
	v_lshlrev_b64 v[51:52], 4, v[4:5]
	v_add_u32_e32 v4, s14, v6
	v_add_co_u32_e32 v51, vcc, s8, v51
	v_addc_co_u32_e32 v52, vcc, v7, v52, vcc
	s_waitcnt vmcnt(0)
	v_fma_f64 v[15:16], -v[0:1], v[31:32], v[15:16]
	v_fma_f64 v[17:18], -v[2:3], v[31:32], v[17:18]
	v_fma_f64 v[15:16], v[2:3], v[33:34], v[15:16]
	v_fma_f64 v[17:18], -v[0:1], v[33:34], v[17:18]
	global_store_dwordx4 v[49:50], v[15:18], off
	global_load_dwordx4 v[15:18], v[51:52], off
	v_lshlrev_b64 v[49:50], 4, v[4:5]
	v_add_u32_e32 v4, s15, v6
	v_add_co_u32_e32 v49, vcc, s8, v49
	v_addc_co_u32_e32 v50, vcc, v7, v50, vcc
	v_lshlrev_b64 v[6:7], 4, v[4:5]
	v_subrev_u32_e32 v4, s22, v8
	v_add_co_u32_e32 v6, vcc, s8, v6
	v_addc_co_u32_e32 v7, vcc, v43, v7, vcc
	v_mov_b32_e32 v43, s11
	s_waitcnt vmcnt(0)
	v_fma_f64 v[15:16], -v[0:1], v[35:36], v[15:16]
	v_fma_f64 v[17:18], -v[2:3], v[35:36], v[17:18]
	v_fma_f64 v[15:16], v[2:3], v[37:38], v[15:16]
	v_fma_f64 v[17:18], -v[0:1], v[37:38], v[17:18]
	global_store_dwordx4 v[51:52], v[15:18], off
	global_load_dwordx4 v[15:18], v[49:50], off
	v_mov_b32_e32 v52, s9
	s_waitcnt vmcnt(0)
	v_fma_f64 v[15:16], -v[0:1], v[39:40], v[15:16]
	v_fma_f64 v[17:18], -v[2:3], v[39:40], v[17:18]
	v_fma_f64 v[15:16], v[2:3], v[41:42], v[15:16]
	v_fma_f64 v[17:18], -v[0:1], v[41:42], v[17:18]
	global_store_dwordx4 v[49:50], v[15:18], off
	global_load_dwordx4 v[15:18], v[6:7], off
	v_add_u32_e32 v49, v4, v44
	v_ashrrev_i32_e32 v50, 31, v49
	v_lshlrev_b64 v[50:51], 4, v[49:50]
	v_add_u32_e32 v4, s4, v49
	v_add_co_u32_e32 v50, vcc, s10, v50
	v_addc_co_u32_e32 v51, vcc, v43, v51, vcc
	s_waitcnt vmcnt(0)
	v_fma_f64 v[15:16], -v[0:1], v[45:46], v[15:16]
	v_fma_f64 v[17:18], -v[2:3], v[45:46], v[17:18]
	v_fma_f64 v[15:16], v[2:3], v[47:48], v[15:16]
	v_fma_f64 v[17:18], -v[0:1], v[47:48], v[17:18]
	global_load_dwordx4 v[0:3], v[50:51], off
	v_lshlrev_b64 v[50:51], 4, v[4:5]
	v_add_u32_e32 v4, s5, v49
	v_add_co_u32_e32 v50, vcc, s8, v50
	v_addc_co_u32_e32 v51, vcc, v52, v51, vcc
	global_store_dwordx4 v[6:7], v[15:18], off
	global_load_dwordx4 v[15:18], v[50:51], off
	s_waitcnt vmcnt(0)
	v_fma_f64 v[6:7], -v[0:1], v[11:12], v[15:16]
	v_fma_f64 v[15:16], -v[2:3], v[11:12], v[17:18]
	v_mov_b32_e32 v17, s9
	v_fma_f64 v[11:12], v[2:3], v[13:14], v[6:7]
	v_fma_f64 v[13:14], -v[0:1], v[13:14], v[15:16]
	v_lshlrev_b64 v[6:7], 4, v[4:5]
	v_mov_b32_e32 v15, s9
	v_add_co_u32_e32 v6, vcc, s8, v6
	v_addc_co_u32_e32 v7, vcc, v15, v7, vcc
	v_add_u32_e32 v4, s6, v49
	global_store_dwordx4 v[50:51], v[11:14], off
	global_load_dwordx4 v[11:14], v[6:7], off
	v_lshlrev_b64 v[15:16], 4, v[4:5]
	v_add_u32_e32 v4, s7, v49
	v_add_co_u32_e32 v15, vcc, s8, v15
	v_addc_co_u32_e32 v16, vcc, v17, v16, vcc
	s_waitcnt vmcnt(0)
	v_fma_f64 v[11:12], -v[0:1], v[19:20], v[11:12]
	v_fma_f64 v[13:14], -v[2:3], v[19:20], v[13:14]
	v_fma_f64 v[11:12], v[2:3], v[21:22], v[11:12]
	v_fma_f64 v[13:14], -v[0:1], v[21:22], v[13:14]
	global_store_dwordx4 v[6:7], v[11:14], off
	global_load_dwordx4 v[11:14], v[15:16], off
	s_waitcnt vmcnt(0)
	v_fma_f64 v[6:7], -v[0:1], v[23:24], v[11:12]
	v_fma_f64 v[13:14], -v[2:3], v[23:24], v[13:14]
	v_fma_f64 v[11:12], v[2:3], v[25:26], v[6:7]
	v_fma_f64 v[13:14], -v[0:1], v[25:26], v[13:14]
	v_lshlrev_b64 v[6:7], 4, v[4:5]
	v_add_u32_e32 v4, s12, v49
	v_add_co_u32_e32 v6, vcc, s8, v6
	v_addc_co_u32_e32 v7, vcc, v17, v7, vcc
	global_store_dwordx4 v[15:16], v[11:14], off
	global_load_dwordx4 v[11:14], v[6:7], off
	v_lshlrev_b64 v[15:16], 4, v[4:5]
	v_add_u32_e32 v4, s13, v49
	v_add_co_u32_e32 v15, vcc, s8, v15
	v_addc_co_u32_e32 v16, vcc, v17, v16, vcc
	s_waitcnt vmcnt(0)
	v_fma_f64 v[11:12], -v[0:1], v[27:28], v[11:12]
	v_fma_f64 v[13:14], -v[2:3], v[27:28], v[13:14]
	v_fma_f64 v[11:12], v[2:3], v[29:30], v[11:12]
	v_fma_f64 v[13:14], -v[0:1], v[29:30], v[13:14]
	global_store_dwordx4 v[6:7], v[11:14], off
	global_load_dwordx4 v[11:14], v[15:16], off
	s_waitcnt vmcnt(0)
	v_fma_f64 v[6:7], -v[0:1], v[31:32], v[11:12]
	v_fma_f64 v[13:14], -v[2:3], v[31:32], v[13:14]
	v_fma_f64 v[11:12], v[2:3], v[33:34], v[6:7]
	v_fma_f64 v[13:14], -v[0:1], v[33:34], v[13:14]
	v_lshlrev_b64 v[6:7], 4, v[4:5]
	v_add_u32_e32 v4, s14, v49
	v_add_co_u32_e32 v6, vcc, s8, v6
	v_addc_co_u32_e32 v7, vcc, v17, v7, vcc
	global_store_dwordx4 v[15:16], v[11:14], off
	global_load_dwordx4 v[11:14], v[6:7], off
	v_lshlrev_b64 v[15:16], 4, v[4:5]
	v_add_u32_e32 v4, s15, v49
	v_add_co_u32_e32 v15, vcc, s8, v15
	v_addc_co_u32_e32 v16, vcc, v17, v16, vcc
	s_waitcnt vmcnt(0)
	v_fma_f64 v[11:12], -v[0:1], v[35:36], v[11:12]
	v_fma_f64 v[13:14], -v[2:3], v[35:36], v[13:14]
	v_fma_f64 v[11:12], v[2:3], v[37:38], v[11:12]
	v_fma_f64 v[13:14], -v[0:1], v[37:38], v[13:14]
	global_store_dwordx4 v[6:7], v[11:14], off
	global_load_dwordx4 v[11:14], v[15:16], off
	s_waitcnt vmcnt(0)
	v_fma_f64 v[6:7], -v[0:1], v[39:40], v[11:12]
	v_fma_f64 v[13:14], -v[2:3], v[39:40], v[13:14]
	v_fma_f64 v[11:12], v[2:3], v[41:42], v[6:7]
	v_fma_f64 v[13:14], -v[0:1], v[41:42], v[13:14]
	v_lshlrev_b64 v[6:7], 4, v[4:5]
	v_add_co_u32_e32 v6, vcc, s8, v6
	v_addc_co_u32_e32 v7, vcc, v17, v7, vcc
	global_store_dwordx4 v[15:16], v[11:14], off
	global_load_dwordx4 v[11:14], v[6:7], off
	s_waitcnt vmcnt(0)
	v_fma_f64 v[11:12], -v[0:1], v[45:46], v[11:12]
	v_fma_f64 v[13:14], -v[2:3], v[45:46], v[13:14]
	v_fma_f64 v[11:12], v[2:3], v[47:48], v[11:12]
	v_fma_f64 v[13:14], -v[0:1], v[47:48], v[13:14]
                                        ; implicit-def: $vgpr0_vgpr1
	global_store_dwordx4 v[6:7], v[11:14], off
                                        ; implicit-def: $vgpr6
.LBB308_27:                             ;   in Loop: Header=BB308_25 Depth=1
	s_or_saveexec_b64 s[2:3], s[2:3]
	v_mov_b32_e32 v4, s18
	s_xor_b64 exec, exec, s[2:3]
	s_cbranch_execz .LBB308_24
; %bb.28:                               ;   in Loop: Header=BB308_25 Depth=1
	v_add_u32_e32 v7, v103, v8
	v_add_u32_e32 v4, s4, v7
	v_lshlrev_b64 v[11:12], 4, v[4:5]
	v_mov_b32_e32 v4, s9
	v_add_co_u32_e32 v19, vcc, s8, v11
	v_addc_co_u32_e32 v20, vcc, v4, v12, vcc
	v_add_u32_e32 v4, s4, v6
	v_lshlrev_b64 v[11:12], 4, v[4:5]
	v_mov_b32_e32 v4, s9
	v_add_co_u32_e32 v21, vcc, s8, v11
	v_addc_co_u32_e32 v22, vcc, v4, v12, vcc
	global_load_dwordx4 v[11:14], v[19:20], off
	global_load_dwordx4 v[15:18], v[21:22], off
	v_add_u32_e32 v4, s5, v7
	v_lshlrev_b64 v[19:20], 4, v[4:5]
	v_add_u32_e32 v4, s5, v6
	v_mov_b32_e32 v25, s9
	v_lshlrev_b64 v[23:24], 4, v[4:5]
	v_add_co_u32_e32 v19, vcc, s8, v19
	v_addc_co_u32_e32 v20, vcc, v25, v20, vcc
	v_mov_b32_e32 v26, s9
	v_add_co_u32_e32 v23, vcc, s8, v23
	v_addc_co_u32_e32 v24, vcc, v26, v24, vcc
	v_add_u32_e32 v4, s6, v7
	s_waitcnt vmcnt(0)
	v_fma_f64 v[15:16], -v[0:1], v[11:12], v[15:16]
	v_fma_f64 v[17:18], -v[2:3], v[11:12], v[17:18]
	v_fma_f64 v[11:12], v[2:3], v[13:14], v[15:16]
	v_fma_f64 v[13:14], -v[0:1], v[13:14], v[17:18]
	global_store_dwordx4 v[21:22], v[11:14], off
	global_load_dwordx4 v[11:14], v[19:20], off
	s_nop 0
	global_load_dwordx4 v[15:18], v[23:24], off
	v_lshlrev_b64 v[19:20], 4, v[4:5]
	v_add_u32_e32 v4, s6, v6
	v_lshlrev_b64 v[21:22], 4, v[4:5]
	v_add_co_u32_e32 v19, vcc, s8, v19
	v_addc_co_u32_e32 v20, vcc, v25, v20, vcc
	v_add_co_u32_e32 v21, vcc, s8, v21
	v_addc_co_u32_e32 v22, vcc, v26, v22, vcc
	v_add_u32_e32 v4, s7, v7
	s_waitcnt vmcnt(0)
	v_fma_f64 v[15:16], -v[0:1], v[11:12], v[15:16]
	v_fma_f64 v[17:18], -v[2:3], v[11:12], v[17:18]
	v_fma_f64 v[11:12], v[2:3], v[13:14], v[15:16]
	v_fma_f64 v[13:14], -v[0:1], v[13:14], v[17:18]
	global_store_dwordx4 v[23:24], v[11:14], off
	global_load_dwordx4 v[11:14], v[19:20], off
	s_nop 0
	global_load_dwordx4 v[15:18], v[21:22], off
	v_lshlrev_b64 v[19:20], 4, v[4:5]
	v_add_u32_e32 v4, s7, v6
	v_lshlrev_b64 v[23:24], 4, v[4:5]
	v_add_co_u32_e32 v19, vcc, s8, v19
	v_addc_co_u32_e32 v20, vcc, v25, v20, vcc
	;; [unrolled: 17-line block ×5, first 2 shown]
	v_add_co_u32_e32 v21, vcc, s8, v21
	v_addc_co_u32_e32 v22, vcc, v26, v22, vcc
	v_add_u32_e32 v4, s15, v7
	s_waitcnt vmcnt(0)
	v_fma_f64 v[15:16], -v[0:1], v[11:12], v[15:16]
	v_fma_f64 v[17:18], -v[2:3], v[11:12], v[17:18]
	v_fma_f64 v[11:12], v[2:3], v[13:14], v[15:16]
	v_fma_f64 v[13:14], -v[0:1], v[13:14], v[17:18]
	global_store_dwordx4 v[23:24], v[11:14], off
	global_load_dwordx4 v[11:14], v[19:20], off
	s_nop 0
	global_load_dwordx4 v[15:18], v[21:22], off
	v_lshlrev_b64 v[19:20], 4, v[4:5]
	v_add_u32_e32 v4, s15, v6
	v_mov_b32_e32 v23, s9
	v_lshlrev_b64 v[6:7], 4, v[4:5]
	v_add_co_u32_e32 v19, vcc, s8, v19
	v_addc_co_u32_e32 v20, vcc, v23, v20, vcc
	v_mov_b32_e32 v24, s9
	v_add_co_u32_e32 v6, vcc, s8, v6
	v_addc_co_u32_e32 v7, vcc, v24, v7, vcc
	v_mov_b32_e32 v4, s22
	s_waitcnt vmcnt(0)
	v_fma_f64 v[15:16], -v[0:1], v[11:12], v[15:16]
	v_fma_f64 v[17:18], -v[2:3], v[11:12], v[17:18]
	v_fma_f64 v[11:12], v[2:3], v[13:14], v[15:16]
	v_fma_f64 v[13:14], -v[0:1], v[13:14], v[17:18]
	global_store_dwordx4 v[21:22], v[11:14], off
	global_load_dwordx4 v[11:14], v[19:20], off
	s_nop 0
	global_load_dwordx4 v[15:18], v[6:7], off
	s_waitcnt vmcnt(0)
	v_fma_f64 v[15:16], -v[0:1], v[11:12], v[15:16]
	v_fma_f64 v[17:18], -v[2:3], v[11:12], v[17:18]
	v_fma_f64 v[11:12], v[2:3], v[13:14], v[15:16]
	v_fma_f64 v[13:14], -v[0:1], v[13:14], v[17:18]
	global_store_dwordx4 v[6:7], v[11:14], off
	s_branch .LBB308_24
.LBB308_29:
	s_endpgm
	.section	.rodata,"a",@progbits
	.p2align	6, 0x0
	.amdhsa_kernel _ZN9rocsparseL19gtsv_LBM_rhs_kernelILj256ELj16ELj8E21rocsparse_complex_numIdEEEviiiPKT2_S5_S5_PS3_S5_PKi
		.amdhsa_group_segment_fixed_size 0
		.amdhsa_private_segment_fixed_size 0
		.amdhsa_kernarg_size 64
		.amdhsa_user_sgpr_count 6
		.amdhsa_user_sgpr_private_segment_buffer 1
		.amdhsa_user_sgpr_dispatch_ptr 0
		.amdhsa_user_sgpr_queue_ptr 0
		.amdhsa_user_sgpr_kernarg_segment_ptr 1
		.amdhsa_user_sgpr_dispatch_id 0
		.amdhsa_user_sgpr_flat_scratch_init 0
		.amdhsa_user_sgpr_private_segment_size 0
		.amdhsa_uses_dynamic_stack 0
		.amdhsa_system_sgpr_private_segment_wavefront_offset 0
		.amdhsa_system_sgpr_workgroup_id_x 1
		.amdhsa_system_sgpr_workgroup_id_y 1
		.amdhsa_system_sgpr_workgroup_id_z 0
		.amdhsa_system_sgpr_workgroup_info 0
		.amdhsa_system_vgpr_workitem_id 0
		.amdhsa_next_free_vgpr 161
		.amdhsa_next_free_sgpr 37
		.amdhsa_reserve_vcc 1
		.amdhsa_reserve_flat_scratch 0
		.amdhsa_float_round_mode_32 0
		.amdhsa_float_round_mode_16_64 0
		.amdhsa_float_denorm_mode_32 3
		.amdhsa_float_denorm_mode_16_64 3
		.amdhsa_dx10_clamp 1
		.amdhsa_ieee_mode 1
		.amdhsa_fp16_overflow 0
		.amdhsa_exception_fp_ieee_invalid_op 0
		.amdhsa_exception_fp_denorm_src 0
		.amdhsa_exception_fp_ieee_div_zero 0
		.amdhsa_exception_fp_ieee_overflow 0
		.amdhsa_exception_fp_ieee_underflow 0
		.amdhsa_exception_fp_ieee_inexact 0
		.amdhsa_exception_int_div_zero 0
	.end_amdhsa_kernel
	.section	.text._ZN9rocsparseL19gtsv_LBM_rhs_kernelILj256ELj16ELj8E21rocsparse_complex_numIdEEEviiiPKT2_S5_S5_PS3_S5_PKi,"axG",@progbits,_ZN9rocsparseL19gtsv_LBM_rhs_kernelILj256ELj16ELj8E21rocsparse_complex_numIdEEEviiiPKT2_S5_S5_PS3_S5_PKi,comdat
.Lfunc_end308:
	.size	_ZN9rocsparseL19gtsv_LBM_rhs_kernelILj256ELj16ELj8E21rocsparse_complex_numIdEEEviiiPKT2_S5_S5_PS3_S5_PKi, .Lfunc_end308-_ZN9rocsparseL19gtsv_LBM_rhs_kernelILj256ELj16ELj8E21rocsparse_complex_numIdEEEviiiPKT2_S5_S5_PS3_S5_PKi
                                        ; -- End function
	.set _ZN9rocsparseL19gtsv_LBM_rhs_kernelILj256ELj16ELj8E21rocsparse_complex_numIdEEEviiiPKT2_S5_S5_PS3_S5_PKi.num_vgpr, 161
	.set _ZN9rocsparseL19gtsv_LBM_rhs_kernelILj256ELj16ELj8E21rocsparse_complex_numIdEEEviiiPKT2_S5_S5_PS3_S5_PKi.num_agpr, 0
	.set _ZN9rocsparseL19gtsv_LBM_rhs_kernelILj256ELj16ELj8E21rocsparse_complex_numIdEEEviiiPKT2_S5_S5_PS3_S5_PKi.numbered_sgpr, 37
	.set _ZN9rocsparseL19gtsv_LBM_rhs_kernelILj256ELj16ELj8E21rocsparse_complex_numIdEEEviiiPKT2_S5_S5_PS3_S5_PKi.num_named_barrier, 0
	.set _ZN9rocsparseL19gtsv_LBM_rhs_kernelILj256ELj16ELj8E21rocsparse_complex_numIdEEEviiiPKT2_S5_S5_PS3_S5_PKi.private_seg_size, 0
	.set _ZN9rocsparseL19gtsv_LBM_rhs_kernelILj256ELj16ELj8E21rocsparse_complex_numIdEEEviiiPKT2_S5_S5_PS3_S5_PKi.uses_vcc, 1
	.set _ZN9rocsparseL19gtsv_LBM_rhs_kernelILj256ELj16ELj8E21rocsparse_complex_numIdEEEviiiPKT2_S5_S5_PS3_S5_PKi.uses_flat_scratch, 0
	.set _ZN9rocsparseL19gtsv_LBM_rhs_kernelILj256ELj16ELj8E21rocsparse_complex_numIdEEEviiiPKT2_S5_S5_PS3_S5_PKi.has_dyn_sized_stack, 0
	.set _ZN9rocsparseL19gtsv_LBM_rhs_kernelILj256ELj16ELj8E21rocsparse_complex_numIdEEEviiiPKT2_S5_S5_PS3_S5_PKi.has_recursion, 0
	.set _ZN9rocsparseL19gtsv_LBM_rhs_kernelILj256ELj16ELj8E21rocsparse_complex_numIdEEEviiiPKT2_S5_S5_PS3_S5_PKi.has_indirect_call, 0
	.section	.AMDGPU.csdata,"",@progbits
; Kernel info:
; codeLenInByte = 8768
; TotalNumSgprs: 41
; NumVgprs: 161
; ScratchSize: 0
; MemoryBound: 1
; FloatMode: 240
; IeeeMode: 1
; LDSByteSize: 0 bytes/workgroup (compile time only)
; SGPRBlocks: 5
; VGPRBlocks: 40
; NumSGPRsForWavesPerEU: 41
; NumVGPRsForWavesPerEU: 161
; Occupancy: 1
; WaveLimiterHint : 0
; COMPUTE_PGM_RSRC2:SCRATCH_EN: 0
; COMPUTE_PGM_RSRC2:USER_SGPR: 6
; COMPUTE_PGM_RSRC2:TRAP_HANDLER: 0
; COMPUTE_PGM_RSRC2:TGID_X_EN: 1
; COMPUTE_PGM_RSRC2:TGID_Y_EN: 1
; COMPUTE_PGM_RSRC2:TGID_Z_EN: 0
; COMPUTE_PGM_RSRC2:TIDIG_COMP_CNT: 0
	.section	.text._ZN9rocsparseL19gtsv_LBM_rhs_kernelILj256ELj16ELj4E21rocsparse_complex_numIdEEEviiiPKT2_S5_S5_PS3_S5_PKi,"axG",@progbits,_ZN9rocsparseL19gtsv_LBM_rhs_kernelILj256ELj16ELj4E21rocsparse_complex_numIdEEEviiiPKT2_S5_S5_PS3_S5_PKi,comdat
	.globl	_ZN9rocsparseL19gtsv_LBM_rhs_kernelILj256ELj16ELj4E21rocsparse_complex_numIdEEEviiiPKT2_S5_S5_PS3_S5_PKi ; -- Begin function _ZN9rocsparseL19gtsv_LBM_rhs_kernelILj256ELj16ELj4E21rocsparse_complex_numIdEEEviiiPKT2_S5_S5_PS3_S5_PKi
	.p2align	8
	.type	_ZN9rocsparseL19gtsv_LBM_rhs_kernelILj256ELj16ELj4E21rocsparse_complex_numIdEEEviiiPKT2_S5_S5_PS3_S5_PKi,@function
_ZN9rocsparseL19gtsv_LBM_rhs_kernelILj256ELj16ELj4E21rocsparse_complex_numIdEEEviiiPKT2_S5_S5_PS3_S5_PKi: ; @_ZN9rocsparseL19gtsv_LBM_rhs_kernelILj256ELj16ELj4E21rocsparse_complex_numIdEEEviiiPKT2_S5_S5_PS3_S5_PKi
; %bb.0:
	s_load_dword s23, s[4:5], 0x0
	v_lshl_or_b32 v28, s6, 8, v0
	s_waitcnt lgkmcnt(0)
	s_lshr_b32 s22, s23, 4
	v_cmp_gt_i32_e32 vcc, s22, v28
	s_and_saveexec_b64 s[0:1], vcc
	s_cbranch_execz .LBB309_29
; %bb.1:
	s_load_dwordx4 s[8:11], s[4:5], 0x28
	s_load_dwordx2 s[16:17], s[4:5], 0x38
	s_cmp_lt_i32 s23, 1
	v_add_u32_e32 v65, s22, v28
	s_mul_i32 s24, s7, s23
	s_cbranch_scc1 .LBB309_21
; %bb.2:
	s_load_dwordx4 s[12:15], s[4:5], 0x10
	s_load_dwordx2 s[6:7], s[4:5], 0x20
	v_ashrrev_i32_e32 v29, 31, v28
	v_lshlrev_b64 v[0:1], 4, v[28:29]
	s_lshl_b32 s28, s24, 2
	s_waitcnt lgkmcnt(0)
	v_mov_b32_e32 v2, s15
	v_add_co_u32_e32 v0, vcc, s14, v0
	v_addc_co_u32_e32 v1, vcc, v2, v1, vcc
	global_load_dwordx4 v[0:3], v[0:1], off
	s_add_i32 s29, s28, s23
	s_add_i32 s30, s29, s23
	s_mul_i32 s25, s22, 15
	s_mul_i32 s26, s22, 14
	s_lshl_b32 s27, s22, 1
	v_add_u32_e32 v67, s22, v65
	s_add_i32 s31, s30, s23
	v_mov_b32_e32 v30, 0
	s_mov_b64 s[18:19], 0
	v_mov_b32_e32 v68, s7
	v_mov_b32_e32 v66, 0
	s_branch .LBB309_5
.LBB309_3:                              ;   in Loop: Header=BB309_5 Depth=1
	s_or_b64 exec, exec, s[4:5]
	v_fma_f64 v[0:1], v[6:7], v[8:9], v[33:34]
	v_fma_f64 v[2:3], v[4:5], v[8:9], v[31:32]
	v_mov_b32_e32 v10, s22
	v_mul_f64 v[4:5], v[35:36], -v[0:1]
	v_mul_f64 v[6:7], v[35:36], v[2:3]
	v_fma_f64 v[2:3], v[2:3], v[14:15], v[4:5]
	v_fma_f64 v[4:5], v[0:1], v[14:15], v[6:7]
	v_add_f64 v[0:1], v[16:17], -v[2:3]
	v_add_f64 v[2:3], v[18:19], -v[4:5]
.LBB309_4:                              ;   in Loop: Header=BB309_5 Depth=1
	s_or_b64 exec, exec, s[2:3]
	v_add_u32_e32 v66, v10, v66
	v_cmp_le_i32_e32 vcc, s23, v66
	s_or_b64 s[18:19], vcc, s[18:19]
	s_andn2_b64 exec, exec, s[18:19]
	s_cbranch_execz .LBB309_20
.LBB309_5:                              ; =>This Inner Loop Header: Depth=1
	v_add_u32_e32 v25, v66, v28
	v_ashrrev_i32_e32 v26, 31, v25
	v_lshlrev_b64 v[4:5], 4, v[25:26]
	v_mov_b32_e32 v16, 0
	v_add_co_u32_e32 v4, vcc, s6, v4
	v_addc_co_u32_e32 v5, vcc, v68, v5, vcc
	global_load_dwordx4 v[8:11], v[4:5], off
	v_mov_b32_e32 v4, 0
	v_mov_b32_e32 v6, 0
	;; [unrolled: 1-line block ×5, first 2 shown]
	v_cmp_gt_u32_e64 s[0:1], s25, v66
	s_and_saveexec_b64 s[2:3], s[0:1]
	s_cbranch_execz .LBB309_7
; %bb.6:                                ;   in Loop: Header=BB309_5 Depth=1
	v_add_u32_e32 v4, v65, v66
	v_ashrrev_i32_e32 v5, 31, v4
	v_lshlrev_b64 v[4:5], 4, v[4:5]
	v_mov_b32_e32 v6, s13
	v_add_co_u32_e32 v4, vcc, s12, v4
	v_addc_co_u32_e32 v5, vcc, v6, v5, vcc
	global_load_dwordx4 v[4:7], v[4:5], off
.LBB309_7:                              ;   in Loop: Header=BB309_5 Depth=1
	s_or_b64 exec, exec, s[2:3]
	v_mov_b32_e32 v18, 0
	v_mov_b32_e32 v19, 0
	s_and_saveexec_b64 s[2:3], s[0:1]
	s_cbranch_execz .LBB309_9
; %bb.8:                                ;   in Loop: Header=BB309_5 Depth=1
	v_add_u32_e32 v12, v65, v66
	v_ashrrev_i32_e32 v13, 31, v12
	v_lshlrev_b64 v[12:13], 4, v[12:13]
	v_mov_b32_e32 v14, s15
	v_add_co_u32_e32 v12, vcc, s14, v12
	v_addc_co_u32_e32 v13, vcc, v14, v13, vcc
	global_load_dwordx4 v[16:19], v[12:13], off
.LBB309_9:                              ;   in Loop: Header=BB309_5 Depth=1
	s_or_b64 exec, exec, s[2:3]
	v_mov_b32_e32 v20, 0
	v_mov_b32_e32 v12, 0
	;; [unrolled: 1-line block ×6, first 2 shown]
	s_and_saveexec_b64 s[2:3], s[0:1]
	s_cbranch_execz .LBB309_11
; %bb.10:                               ;   in Loop: Header=BB309_5 Depth=1
	v_add_u32_e32 v12, v65, v66
	v_ashrrev_i32_e32 v13, 31, v12
	v_lshlrev_b64 v[12:13], 4, v[12:13]
	v_mov_b32_e32 v14, s7
	v_add_co_u32_e32 v12, vcc, s6, v12
	v_addc_co_u32_e32 v13, vcc, v14, v13, vcc
	global_load_dwordx4 v[12:15], v[12:13], off
.LBB309_11:                             ;   in Loop: Header=BB309_5 Depth=1
	s_or_b64 exec, exec, s[2:3]
	v_mov_b32_e32 v22, 0
	v_mov_b32_e32 v23, 0
	v_cmp_gt_u32_e64 s[2:3], s26, v66
	s_and_saveexec_b64 s[4:5], s[2:3]
	s_cbranch_execz .LBB309_13
; %bb.12:                               ;   in Loop: Header=BB309_5 Depth=1
	v_add_u32_e32 v20, v67, v66
	v_ashrrev_i32_e32 v21, 31, v20
	v_lshlrev_b64 v[20:21], 4, v[20:21]
	v_mov_b32_e32 v22, s13
	v_add_co_u32_e32 v20, vcc, s12, v20
	v_addc_co_u32_e32 v21, vcc, v22, v21, vcc
	global_load_dwordx4 v[20:23], v[20:21], off
.LBB309_13:                             ;   in Loop: Header=BB309_5 Depth=1
	s_or_b64 exec, exec, s[4:5]
	v_lshlrev_b64 v[26:27], 2, v[25:26]
	v_mov_b32_e32 v24, s17
	v_add_co_u32_e32 v26, vcc, s16, v26
	v_addc_co_u32_e32 v27, vcc, v24, v27, vcc
	global_load_dword v26, v[26:27], off
	s_waitcnt vmcnt(1)
	v_mul_f64 v[31:32], v[10:11], -v[6:7]
	v_mul_f64 v[33:34], v[10:11], v[4:5]
	v_cmp_ne_u32_e32 vcc, s25, v66
	v_add_u32_e32 v29, s28, v25
	v_add_u32_e32 v24, s29, v25
	;; [unrolled: 1-line block ×4, first 2 shown]
	s_waitcnt vmcnt(0)
	v_cmp_ne_u32_e64 s[4:5], 1, v26
	s_and_b64 s[4:5], vcc, s[4:5]
	s_and_saveexec_b64 s[20:21], s[4:5]
	s_xor_b64 s[20:21], exec, s[20:21]
	s_cbranch_execz .LBB309_17
; %bb.14:                               ;   in Loop: Header=BB309_5 Depth=1
	v_mul_f64 v[25:26], v[0:1], v[18:19]
	v_mul_f64 v[38:39], v[18:19], -v[2:3]
	v_fma_f64 v[33:34], v[6:7], v[8:9], v[33:34]
	v_fma_f64 v[31:32], v[4:5], v[8:9], v[31:32]
	v_add_u32_e32 v71, v65, v66
	v_mov_b32_e32 v36, s9
	v_mov_b32_e32 v63, s9
	;; [unrolled: 1-line block ×3, first 2 shown]
	v_fma_f64 v[25:26], v[2:3], v[16:17], v[25:26]
	v_fma_f64 v[38:39], v[0:1], v[16:17], v[38:39]
	v_mov_b32_e32 v75, s9
	v_mov_b32_e32 v76, s9
	v_add_f64 v[26:27], v[25:26], -v[33:34]
	v_add_f64 v[33:34], v[38:39], -v[31:32]
	v_mov_b32_e32 v25, s9
	v_mul_f64 v[31:32], v[26:27], v[26:27]
	v_fma_f64 v[59:60], v[33:34], 0, -v[26:27]
	v_fma_f64 v[26:27], v[26:27], 0, v[33:34]
	v_fma_f64 v[38:39], v[33:34], v[33:34], v[31:32]
	v_lshlrev_b64 v[31:32], 4, v[29:30]
	v_add_u32_e32 v29, s28, v71
	v_add_co_u32_e32 v57, vcc, s8, v31
	v_lshlrev_b64 v[45:46], 4, v[29:30]
	v_addc_co_u32_e32 v58, vcc, v25, v32, vcc
	v_div_scale_f64 v[49:50], s[4:5], v[38:39], v[38:39], 1.0
	v_add_co_u32_e32 v31, vcc, s8, v45
	v_addc_co_u32_e32 v32, vcc, v36, v46, vcc
	global_load_dwordx4 v[41:44], v[57:58], off
	global_load_dwordx4 v[45:48], v[31:32], off
	v_mov_b32_e32 v25, v30
	v_lshlrev_b64 v[24:25], 4, v[24:25]
	v_mov_b32_e32 v29, s9
	v_add_co_u32_e64 v81, s[4:5], s8, v24
	v_addc_co_u32_e64 v82, s[4:5], v29, v25, s[4:5]
	v_add_u32_e32 v29, s29, v71
	v_rcp_f64_e32 v[51:52], v[49:50]
	v_fma_f64 v[53:54], -v[49:50], v[51:52], 1.0
	v_fma_f64 v[51:52], v[51:52], v[53:54], v[51:52]
	v_div_scale_f64 v[53:54], vcc, 1.0, v[38:39], 1.0
	v_fma_f64 v[55:56], -v[49:50], v[51:52], 1.0
	v_fma_f64 v[51:52], v[51:52], v[55:56], v[51:52]
	v_mul_f64 v[55:56], v[53:54], v[51:52]
	v_fma_f64 v[49:50], -v[49:50], v[55:56], v[53:54]
	v_lshlrev_b64 v[53:54], 4, v[29:30]
	v_add_u32_e32 v29, s30, v71
	v_div_fmas_f64 v[24:25], v[49:50], v[51:52], v[55:56]
	global_load_dwordx4 v[49:52], v[81:82], off
	v_add_co_u32_e32 v83, vcc, s8, v53
	v_addc_co_u32_e32 v84, vcc, v36, v54, vcc
	global_load_dwordx4 v[53:56], v[83:84], off
	v_mov_b32_e32 v36, v30
	v_div_fixup_f64 v[39:40], v[24:25], v[38:39], 1.0
	v_mov_b32_e32 v38, v30
	v_mul_f64 v[24:25], v[59:60], v[39:40]
	v_mul_f64 v[26:27], v[26:27], v[39:40]
	s_waitcnt vmcnt(3)
	v_mul_f64 v[33:34], v[24:25], v[41:42]
	s_waitcnt vmcnt(2)
	v_mul_f64 v[39:40], v[24:25], v[45:46]
	v_mul_f64 v[59:60], v[24:25], -v[43:44]
	v_mul_f64 v[61:62], v[24:25], -v[47:48]
	v_fma_f64 v[33:34], v[43:44], v[26:27], v[33:34]
	v_fma_f64 v[39:40], v[47:48], v[26:27], v[39:40]
	v_lshlrev_b64 v[43:44], 4, v[37:38]
	v_lshlrev_b64 v[47:48], 4, v[35:36]
	v_fma_f64 v[37:38], v[41:42], v[26:27], v[59:60]
	v_fma_f64 v[35:36], v[45:46], v[26:27], v[61:62]
	v_add_co_u32_e32 v85, vcc, s8, v43
	v_mul_f64 v[45:46], v[16:17], v[33:34]
	v_mul_f64 v[59:60], v[39:40], -v[10:11]
	v_mul_f64 v[61:62], v[8:9], v[39:40]
	v_mul_f64 v[41:42], v[33:34], -v[18:19]
	v_add_co_u32_e64 v87, s[4:5], s8, v47
	v_addc_co_u32_e32 v86, vcc, v63, v44, vcc
	v_fma_f64 v[69:70], v[18:19], v[37:38], v[45:46]
	v_fma_f64 v[45:46], v[8:9], v[35:36], v[59:60]
	;; [unrolled: 1-line block ×3, first 2 shown]
	v_addc_co_u32_e64 v88, vcc, v72, v48, s[4:5]
	v_fma_f64 v[63:64], v[16:17], v[37:38], v[41:42]
	v_lshlrev_b64 v[61:62], 4, v[29:30]
	v_add_u32_e32 v29, s31, v71
	global_load_dwordx4 v[41:44], v[85:86], off
	v_lshlrev_b64 v[73:74], 4, v[29:30]
	v_add_f64 v[47:48], v[69:70], -v[59:60]
	global_load_dwordx4 v[69:72], v[87:88], off
	v_add_co_u32_e32 v89, vcc, s8, v61
	v_addc_co_u32_e32 v90, vcc, v75, v62, vcc
	v_add_f64 v[45:46], v[63:64], -v[45:46]
	v_add_co_u32_e32 v91, vcc, s8, v73
	v_addc_co_u32_e32 v92, vcc, v76, v74, vcc
	global_load_dwordx4 v[73:76], v[89:90], off
	global_load_dwordx4 v[77:80], v[91:92], off
	s_nop 0
	global_store_dwordx4 v[57:58], v[45:48], off
	s_waitcnt vmcnt(6)
	v_mul_f64 v[45:46], v[24:25], -v[51:52]
	v_fma_f64 v[57:58], v[49:50], v[26:27], v[45:46]
	v_mul_f64 v[45:46], v[24:25], v[49:50]
	v_fma_f64 v[61:62], v[51:52], v[26:27], v[45:46]
	s_waitcnt vmcnt(5)
	v_mul_f64 v[45:46], v[24:25], -v[55:56]
	v_mul_f64 v[47:48], v[16:17], v[61:62]
	v_fma_f64 v[59:60], v[53:54], v[26:27], v[45:46]
	v_mul_f64 v[45:46], v[24:25], v[53:54]
	v_fma_f64 v[47:48], v[18:19], v[57:58], v[47:48]
	v_fma_f64 v[63:64], v[55:56], v[26:27], v[45:46]
	v_mul_f64 v[45:46], v[61:62], -v[18:19]
	v_mul_f64 v[49:50], v[63:64], -v[10:11]
	v_mul_f64 v[51:52], v[8:9], v[63:64]
	v_fma_f64 v[45:46], v[16:17], v[57:58], v[45:46]
	v_fma_f64 v[49:50], v[8:9], v[59:60], v[49:50]
	;; [unrolled: 1-line block ×3, first 2 shown]
	v_add_f64 v[45:46], v[45:46], -v[49:50]
	v_add_f64 v[47:48], v[47:48], -v[51:52]
	s_waitcnt vmcnt(3)
	v_mul_f64 v[51:52], v[24:25], v[69:70]
	v_mul_f64 v[49:50], v[24:25], -v[71:72]
	global_store_dwordx4 v[81:82], v[45:48], off
	v_fma_f64 v[51:52], v[71:72], v[26:27], v[51:52]
	v_mul_f64 v[45:46], v[24:25], -v[43:44]
	v_mul_f64 v[47:48], v[24:25], v[41:42]
	v_fma_f64 v[49:50], v[69:70], v[26:27], v[49:50]
	s_waitcnt vmcnt(2)
	v_mul_f64 v[55:56], v[24:25], v[77:78]
	v_mul_f64 v[53:54], v[24:25], -v[79:80]
	v_fma_f64 v[41:42], v[41:42], v[26:27], v[45:46]
	v_fma_f64 v[45:46], v[43:44], v[26:27], v[47:48]
	v_mul_f64 v[43:44], v[24:25], -v[75:76]
	v_mul_f64 v[47:48], v[24:25], v[73:74]
	v_fma_f64 v[55:56], v[79:80], v[26:27], v[55:56]
	v_fma_f64 v[53:54], v[77:78], v[26:27], v[53:54]
	v_mul_f64 v[69:70], v[45:46], -v[18:19]
	v_fma_f64 v[43:44], v[73:74], v[26:27], v[43:44]
	v_mul_f64 v[73:74], v[51:52], -v[18:19]
	v_fma_f64 v[47:48], v[75:76], v[26:27], v[47:48]
	v_mul_f64 v[71:72], v[16:17], v[45:46]
	v_mul_f64 v[77:78], v[55:56], -v[10:11]
	v_fma_f64 v[69:70], v[16:17], v[41:42], v[69:70]
	v_fma_f64 v[73:74], v[16:17], v[49:50], v[73:74]
	v_mul_f64 v[16:17], v[16:17], v[51:52]
	v_fma_f64 v[71:72], v[18:19], v[41:42], v[71:72]
	v_mul_f64 v[75:76], v[8:9], v[47:48]
	v_fma_f64 v[77:78], v[8:9], v[53:54], v[77:78]
	v_fma_f64 v[18:19], v[18:19], v[49:50], v[16:17]
	v_mul_f64 v[16:17], v[47:48], -v[10:11]
	v_fma_f64 v[75:76], v[10:11], v[43:44], v[75:76]
	v_fma_f64 v[16:17], v[8:9], v[43:44], v[16:17]
	v_mul_f64 v[8:9], v[8:9], v[55:56]
	v_fma_f64 v[79:80], v[10:11], v[53:54], v[8:9]
	v_add_f64 v[8:9], v[69:70], -v[16:17]
	v_add_f64 v[10:11], v[71:72], -v[75:76]
	;; [unrolled: 1-line block ×3, first 2 shown]
	v_mul_f64 v[69:70], v[6:7], v[33:34]
	v_mul_f64 v[71:72], v[33:34], -v[4:5]
	v_mul_f64 v[73:74], v[6:7], v[61:62]
	v_mul_f64 v[75:76], v[0:1], v[63:64]
	v_add_f64 v[18:19], v[18:19], -v[79:80]
	v_mul_f64 v[79:80], v[0:1], v[55:56]
	global_store_dwordx4 v[85:86], v[8:11], off
	v_fma_f64 v[69:70], -v[4:5], v[37:38], v[69:70]
	v_mul_f64 v[8:9], v[39:40], -v[2:3]
	v_mul_f64 v[10:11], v[0:1], v[39:40]
	v_fma_f64 v[71:72], -v[6:7], v[37:38], v[71:72]
	global_store_dwordx4 v[87:88], v[16:19], off
	v_fma_f64 v[73:74], -v[4:5], v[57:58], v[73:74]
	v_mul_f64 v[16:17], v[61:62], -v[4:5]
	v_mul_f64 v[18:19], v[63:64], -v[2:3]
	v_fma_f64 v[79:80], v[2:3], v[53:54], v[79:80]
	v_fma_f64 v[8:9], v[0:1], v[35:36], v[8:9]
	;; [unrolled: 1-line block ×3, first 2 shown]
	v_fma_f64 v[77:78], -v[6:7], v[57:58], v[16:17]
	v_fma_f64 v[16:17], v[0:1], v[59:60], v[18:19]
	v_fma_f64 v[18:19], v[2:3], v[59:60], v[75:76]
	v_add_f64 v[8:9], v[69:70], v[8:9]
	v_add_f64 v[10:11], v[71:72], v[10:11]
	v_mul_f64 v[69:70], v[6:7], v[45:46]
	v_mul_f64 v[71:72], v[45:46], -v[4:5]
	v_mul_f64 v[75:76], v[0:1], v[47:48]
	v_add_f64 v[16:17], v[73:74], v[16:17]
	v_mul_f64 v[73:74], v[47:48], -v[2:3]
	v_add_f64 v[18:19], v[77:78], v[18:19]
	v_mul_f64 v[77:78], v[55:56], -v[2:3]
	v_fma_f64 v[69:70], -v[4:5], v[41:42], v[69:70]
	v_fma_f64 v[71:72], -v[6:7], v[41:42], v[71:72]
	v_fma_f64 v[75:76], v[2:3], v[43:44], v[75:76]
	v_fma_f64 v[73:74], v[0:1], v[43:44], v[73:74]
	;; [unrolled: 1-line block ×3, first 2 shown]
	v_add_f64 v[71:72], v[71:72], v[75:76]
	v_mul_f64 v[75:76], v[51:52], -v[4:5]
	v_add_f64 v[69:70], v[69:70], v[73:74]
	v_mul_f64 v[73:74], v[6:7], v[51:52]
	global_store_dwordx4 v[31:32], v[8:11], off
	global_store_dwordx4 v[83:84], v[16:19], off
	;; [unrolled: 1-line block ×3, first 2 shown]
	v_fma_f64 v[75:76], -v[6:7], v[49:50], v[75:76]
	v_mov_b32_e32 v8, 0
	v_fma_f64 v[73:74], -v[4:5], v[49:50], v[73:74]
	v_mov_b32_e32 v10, 0
	v_mov_b32_e32 v9, 0
	v_mov_b32_e32 v11, 0
	v_add_f64 v[75:76], v[75:76], v[79:80]
	v_add_f64 v[73:74], v[73:74], v[77:78]
	global_store_dwordx4 v[91:92], v[73:76], off
	s_and_saveexec_b64 s[4:5], s[2:3]
	s_cbranch_execz .LBB309_16
; %bb.15:                               ;   in Loop: Header=BB309_5 Depth=1
	v_add_u32_e32 v31, v67, v66
	v_add_u32_e32 v29, s28, v31
	v_lshlrev_b64 v[8:9], 4, v[29:30]
	v_add_u32_e32 v29, s29, v31
	v_mov_b32_e32 v10, s9
	v_add_co_u32_e32 v69, vcc, s8, v8
	v_lshlrev_b64 v[16:17], 4, v[29:30]
	v_addc_co_u32_e32 v70, vcc, v10, v9, vcc
	v_mov_b32_e32 v18, s9
	v_add_co_u32_e32 v71, vcc, s8, v16
	global_load_dwordx4 v[8:11], v[69:70], off
	v_addc_co_u32_e32 v72, vcc, v18, v17, vcc
	global_load_dwordx4 v[16:19], v[71:72], off
	v_mul_f64 v[73:74], v[22:23], -v[4:5]
	v_mul_f64 v[75:76], v[6:7], v[22:23]
	v_mul_f64 v[77:78], v[0:1], v[22:23]
	v_mul_f64 v[79:80], v[22:23], -v[2:3]
	v_add_u32_e32 v29, s30, v31
	v_mov_b32_e32 v85, s9
	v_fma_f64 v[73:74], -v[6:7], v[20:21], v[73:74]
	v_fma_f64 v[75:76], -v[4:5], v[20:21], v[75:76]
	v_fma_f64 v[77:78], v[2:3], v[20:21], v[77:78]
	v_fma_f64 v[79:80], v[0:1], v[20:21], v[79:80]
	v_mul_f64 v[4:5], v[73:74], v[33:34]
	v_mul_f64 v[6:7], v[33:34], -v[75:76]
	v_mul_f64 v[32:33], v[39:40], -v[77:78]
	v_mul_f64 v[39:40], v[79:80], v[39:40]
	v_mul_f64 v[81:82], v[73:74], v[61:62]
	v_mul_f64 v[61:62], v[61:62], -v[75:76]
	v_mul_f64 v[83:84], v[63:64], -v[77:78]
	v_mul_f64 v[63:64], v[79:80], v[63:64]
	v_fma_f64 v[4:5], -v[75:76], v[37:38], v[4:5]
	v_fma_f64 v[6:7], -v[73:74], v[37:38], v[6:7]
	v_fma_f64 v[33:34], v[79:80], v[35:36], v[32:33]
	v_fma_f64 v[35:36], v[77:78], v[35:36], v[39:40]
	v_fma_f64 v[37:38], -v[75:76], v[57:58], v[81:82]
	v_fma_f64 v[39:40], -v[73:74], v[57:58], v[61:62]
	v_fma_f64 v[57:58], v[79:80], v[59:60], v[83:84]
	v_fma_f64 v[59:60], v[77:78], v[59:60], v[63:64]
	v_ashrrev_i32_e32 v32, 31, v31
	v_lshlrev_b64 v[61:62], 4, v[31:32]
	v_add_f64 v[4:5], v[4:5], -v[33:34]
	v_add_f64 v[6:7], v[6:7], -v[35:36]
	v_mov_b32_e32 v63, s9
	v_mov_b32_e32 v64, s15
	v_add_f64 v[32:33], v[37:38], -v[57:58]
	v_add_f64 v[34:35], v[39:40], -v[59:60]
	v_lshlrev_b64 v[36:37], 4, v[29:30]
	v_add_u32_e32 v29, s31, v31
	v_lshlrev_b64 v[38:39], 4, v[29:30]
	v_add_co_u32_e32 v31, vcc, s8, v36
	s_waitcnt vmcnt(1)
	v_add_f64 v[4:5], v[4:5], v[8:9]
	v_add_f64 v[6:7], v[6:7], v[10:11]
	s_waitcnt vmcnt(0)
	v_add_f64 v[8:9], v[32:33], v[16:17]
	v_add_f64 v[10:11], v[34:35], v[18:19]
	v_addc_co_u32_e32 v32, vcc, v85, v37, vcc
	v_add_co_u32_e32 v33, vcc, s8, v38
	v_addc_co_u32_e32 v34, vcc, v63, v39, vcc
	v_add_co_u32_e32 v16, vcc, s14, v61
	global_store_dwordx4 v[69:70], v[4:7], off
	global_store_dwordx4 v[71:72], v[8:11], off
	v_addc_co_u32_e32 v17, vcc, v64, v62, vcc
	global_load_dwordx4 v[4:7], v[31:32], off
	global_load_dwordx4 v[8:11], v[33:34], off
	v_mul_f64 v[35:36], v[2:3], -v[22:23]
	global_load_dwordx4 v[16:19], v[16:17], off
	v_mul_f64 v[2:3], v[2:3], v[20:21]
	v_mul_f64 v[37:38], v[79:80], v[47:48]
	v_fma_f64 v[20:21], v[20:21], v[0:1], v[35:36]
	v_mul_f64 v[35:36], v[47:48], -v[77:78]
	v_fma_f64 v[0:1], v[22:23], v[0:1], v[2:3]
	v_mul_f64 v[2:3], v[73:74], v[45:46]
	v_mul_f64 v[22:23], v[45:46], -v[75:76]
	v_mul_f64 v[45:46], v[73:74], v[51:52]
	v_mul_f64 v[47:48], v[51:52], -v[75:76]
	v_mul_f64 v[51:52], v[55:56], -v[77:78]
	v_mul_f64 v[39:40], v[14:15], v[20:21]
	v_mul_f64 v[55:56], v[79:80], v[55:56]
	v_mul_f64 v[14:15], v[14:15], -v[0:1]
	v_fma_f64 v[2:3], -v[75:76], v[41:42], v[2:3]
	v_fma_f64 v[22:23], -v[73:74], v[41:42], v[22:23]
	v_fma_f64 v[0:1], v[0:1], v[12:13], v[39:40]
	v_fma_f64 v[39:40], v[79:80], v[53:54], v[51:52]
	;; [unrolled: 1-line block ×5, first 2 shown]
	v_fma_f64 v[35:36], -v[75:76], v[49:50], v[45:46]
	v_fma_f64 v[37:38], -v[73:74], v[49:50], v[47:48]
	v_fma_f64 v[41:42], v[77:78], v[53:54], v[55:56]
	v_mul_f64 v[43:44], v[24:25], -v[0:1]
	v_mul_f64 v[24:25], v[24:25], v[12:13]
	v_add_f64 v[2:3], v[2:3], -v[14:15]
	v_add_f64 v[14:15], v[22:23], -v[20:21]
	;; [unrolled: 1-line block ×4, first 2 shown]
	v_fma_f64 v[12:13], v[12:13], v[26:27], v[43:44]
	v_fma_f64 v[24:25], v[0:1], v[26:27], v[24:25]
	s_waitcnt vmcnt(2)
	v_add_f64 v[0:1], v[2:3], v[4:5]
	v_add_f64 v[2:3], v[14:15], v[6:7]
	s_waitcnt vmcnt(1)
	v_add_f64 v[4:5], v[20:21], v[8:9]
	v_add_f64 v[6:7], v[22:23], v[10:11]
	s_waitcnt vmcnt(0)
	v_add_f64 v[10:11], v[16:17], -v[12:13]
	v_add_f64 v[8:9], v[18:19], -v[24:25]
	global_store_dwordx4 v[31:32], v[0:3], off
	global_store_dwordx4 v[33:34], v[4:7], off
.LBB309_16:                             ;   in Loop: Header=BB309_5 Depth=1
	s_or_b64 exec, exec, s[4:5]
	v_mov_b32_e32 v2, v8
	v_mov_b32_e32 v0, v10
	;; [unrolled: 1-line block ×4, first 2 shown]
                                        ; implicit-def: $vgpr4_vgpr5
                                        ; implicit-def: $vgpr16_vgpr17
                                        ; implicit-def: $vgpr8_vgpr9
                                        ; implicit-def: $vgpr31_vgpr32
                                        ; implicit-def: $vgpr33_vgpr34
                                        ; implicit-def: $vgpr24
                                        ; implicit-def: $vgpr37
                                        ; implicit-def: $vgpr35
.LBB309_17:                             ;   in Loop: Header=BB309_5 Depth=1
	s_or_saveexec_b64 s[2:3], s[20:21]
	v_mov_b32_e32 v10, s27
	s_xor_b64 exec, exec, s[2:3]
	s_cbranch_execz .LBB309_4
; %bb.18:                               ;   in Loop: Header=BB309_5 Depth=1
	v_mul_f64 v[10:11], v[2:3], v[2:3]
	v_mov_b32_e32 v25, v30
	v_lshlrev_b64 v[12:13], 4, v[24:25]
	v_mov_b32_e32 v22, s9
	v_mov_b32_e32 v38, v30
	;; [unrolled: 1-line block ×3, first 2 shown]
	v_lshlrev_b64 v[20:21], 4, v[37:38]
	v_mov_b32_e32 v36, v30
	v_fma_f64 v[14:15], v[0:1], v[0:1], v[10:11]
	v_lshlrev_b64 v[10:11], 4, v[29:30]
	v_mov_b32_e32 v29, s9
	v_add_co_u32_e32 v45, vcc, s8, v10
	v_addc_co_u32_e32 v46, vcc, v22, v11, vcc
	v_add_co_u32_e32 v47, vcc, s8, v12
	v_div_scale_f64 v[26:27], s[4:5], v[14:15], v[14:15], 1.0
	v_addc_co_u32_e32 v48, vcc, v23, v13, vcc
	v_lshlrev_b64 v[35:36], 4, v[35:36]
	v_add_co_u32_e32 v49, vcc, s8, v20
	v_addc_co_u32_e32 v50, vcc, v29, v21, vcc
	v_mov_b32_e32 v41, s9
	v_add_co_u32_e32 v53, vcc, s8, v35
	v_addc_co_u32_e32 v54, vcc, v41, v36, vcc
	global_load_dwordx4 v[10:13], v[45:46], off
	global_load_dwordx4 v[20:23], v[47:48], off
	;; [unrolled: 1-line block ×4, first 2 shown]
	v_rcp_f64_e32 v[24:25], v[26:27]
	v_div_scale_f64 v[35:36], vcc, 1.0, v[14:15], 1.0
	v_fma_f64 v[51:52], -v[26:27], v[24:25], 1.0
	v_fma_f64 v[24:25], v[24:25], v[51:52], v[24:25]
	v_fma_f64 v[51:52], -v[26:27], v[24:25], 1.0
	v_fma_f64 v[24:25], v[24:25], v[51:52], v[24:25]
	v_mul_f64 v[51:52], v[35:36], v[24:25]
	v_fma_f64 v[26:27], -v[26:27], v[51:52], v[35:36]
	v_div_fmas_f64 v[24:25], v[26:27], v[24:25], v[51:52]
	v_fma_f64 v[26:27], v[0:1], 0, -v[2:3]
	v_fma_f64 v[0:1], v[2:3], 0, v[0:1]
	v_div_fixup_f64 v[14:15], v[24:25], v[14:15], 1.0
	v_mul_f64 v[35:36], v[26:27], v[14:15]
	v_mul_f64 v[14:15], v[0:1], v[14:15]
	s_waitcnt vmcnt(3)
	v_mul_f64 v[0:1], v[35:36], -v[12:13]
	v_mul_f64 v[2:3], v[35:36], v[10:11]
	s_waitcnt vmcnt(2)
	v_mul_f64 v[51:52], v[35:36], -v[22:23]
	;; [unrolled: 3-line block ×4, first 2 shown]
	v_mul_f64 v[63:64], v[35:36], v[41:42]
	v_fma_f64 v[24:25], v[10:11], v[14:15], v[0:1]
	v_fma_f64 v[26:27], v[12:13], v[14:15], v[2:3]
	;; [unrolled: 1-line block ×8, first 2 shown]
	global_store_dwordx4 v[45:46], v[24:27], off
	global_store_dwordx4 v[47:48], v[20:23], off
	;; [unrolled: 1-line block ×4, first 2 shown]
	s_and_saveexec_b64 s[4:5], s[0:1]
	s_cbranch_execz .LBB309_3
; %bb.19:                               ;   in Loop: Header=BB309_5 Depth=1
	v_add_u32_e32 v51, v65, v66
	v_add_u32_e32 v29, s28, v51
	v_lshlrev_b64 v[37:38], 4, v[29:30]
	v_mov_b32_e32 v29, s9
	v_add_co_u32_e32 v45, vcc, s8, v37
	v_addc_co_u32_e32 v46, vcc, v29, v38, vcc
	v_add_u32_e32 v29, s29, v51
	v_lshlrev_b64 v[41:42], 4, v[29:30]
	v_mov_b32_e32 v29, s9
	v_add_co_u32_e32 v47, vcc, s8, v41
	global_load_dwordx4 v[37:40], v[45:46], off
	v_addc_co_u32_e32 v48, vcc, v29, v42, vcc
	global_load_dwordx4 v[41:44], v[47:48], off
	v_add_u32_e32 v29, s30, v51
	v_lshlrev_b64 v[49:50], 4, v[29:30]
	v_add_u32_e32 v29, s31, v51
	v_mov_b32_e32 v53, s9
	v_lshlrev_b64 v[51:52], 4, v[29:30]
	v_mov_b32_e32 v54, s9
	s_waitcnt vmcnt(1)
	v_fma_f64 v[37:38], -v[4:5], v[24:25], v[37:38]
	v_fma_f64 v[39:40], -v[6:7], v[24:25], v[39:40]
	s_waitcnt vmcnt(0)
	v_fma_f64 v[41:42], -v[4:5], v[20:21], v[41:42]
	v_fma_f64 v[43:44], -v[6:7], v[20:21], v[43:44]
	v_fma_f64 v[24:25], v[6:7], v[26:27], v[37:38]
	v_fma_f64 v[26:27], -v[4:5], v[26:27], v[39:40]
	v_add_co_u32_e32 v37, vcc, s8, v49
	v_fma_f64 v[20:21], v[6:7], v[22:23], v[41:42]
	v_fma_f64 v[22:23], -v[4:5], v[22:23], v[43:44]
	v_addc_co_u32_e32 v38, vcc, v53, v50, vcc
	v_add_co_u32_e32 v39, vcc, s8, v51
	global_store_dwordx4 v[45:46], v[24:27], off
	v_addc_co_u32_e32 v40, vcc, v54, v52, vcc
	global_load_dwordx4 v[24:27], v[37:38], off
	s_nop 0
	global_store_dwordx4 v[47:48], v[20:23], off
	global_load_dwordx4 v[20:23], v[39:40], off
	s_waitcnt vmcnt(2)
	v_fma_f64 v[24:25], -v[4:5], v[10:11], v[24:25]
	v_fma_f64 v[26:27], -v[6:7], v[10:11], v[26:27]
	s_waitcnt vmcnt(0)
	v_fma_f64 v[20:21], -v[4:5], v[0:1], v[20:21]
	v_fma_f64 v[22:23], -v[6:7], v[0:1], v[22:23]
	v_fma_f64 v[10:11], v[6:7], v[12:13], v[24:25]
	v_fma_f64 v[12:13], -v[4:5], v[12:13], v[26:27]
	v_fma_f64 v[0:1], v[6:7], v[2:3], v[20:21]
	v_fma_f64 v[2:3], -v[4:5], v[2:3], v[22:23]
	global_store_dwordx4 v[37:38], v[10:13], off
	global_store_dwordx4 v[39:40], v[0:3], off
	s_branch .LBB309_3
.LBB309_20:
	s_or_b64 exec, exec, s[18:19]
	s_branch .LBB309_22
.LBB309_21:
	v_mov_b32_e32 v66, 0
.LBB309_22:
	v_subrev_u32_e32 v2, s22, v66
	v_add_u32_e32 v0, v2, v28
	v_ashrrev_i32_e32 v1, 31, v0
	v_lshlrev_b64 v[0:1], 2, v[0:1]
	s_waitcnt lgkmcnt(0)
	v_mov_b32_e32 v3, s17
	v_add_co_u32_e32 v0, vcc, s16, v0
	v_addc_co_u32_e32 v1, vcc, v3, v1, vcc
	s_waitcnt vmcnt(0)
	buffer_wbinvl1_vol
	global_load_dword v0, v[0:1], off
	s_waitcnt vmcnt(0)
	v_mul_lo_u32 v0, v0, s22
	v_sub_u32_e32 v8, v2, v0
	v_cmp_lt_i32_e32 vcc, -1, v8
	s_and_b64 exec, exec, vcc
	s_cbranch_execz .LBB309_29
; %bb.23:
	s_lshl_b32 s4, s24, 2
	s_add_i32 s5, s4, s23
	s_add_i32 s6, s5, s23
	;; [unrolled: 1-line block ×3, first 2 shown]
	s_lshl_b32 s12, s22, 1
	s_mov_b64 s[0:1], 0
	v_mov_b32_e32 v9, s17
	v_mov_b32_e32 v10, s11
	;; [unrolled: 1-line block ×3, first 2 shown]
	s_branch .LBB309_25
.LBB309_24:                             ;   in Loop: Header=BB309_25 Depth=1
	s_or_b64 exec, exec, s[2:3]
	v_sub_u32_e32 v8, v8, v4
	v_cmp_gt_i32_e32 vcc, 0, v8
	s_or_b64 s[0:1], vcc, s[0:1]
	s_andn2_b64 exec, exec, s[0:1]
	s_cbranch_execz .LBB309_29
.LBB309_25:                             ; =>This Inner Loop Header: Depth=1
	v_add_u32_e32 v6, v8, v28
	v_ashrrev_i32_e32 v7, 31, v6
	s_waitcnt vmcnt(0)
	v_lshlrev_b64 v[0:1], 2, v[6:7]
	v_add_co_u32_e32 v0, vcc, s16, v0
	v_addc_co_u32_e32 v1, vcc, v9, v1, vcc
	global_load_dword v4, v[0:1], off
	v_lshlrev_b64 v[0:1], 4, v[6:7]
	v_add_co_u32_e32 v0, vcc, s10, v0
	v_addc_co_u32_e32 v1, vcc, v10, v1, vcc
	global_load_dwordx4 v[0:3], v[0:1], off
	s_waitcnt vmcnt(1)
	v_cmp_ne_u32_e32 vcc, 1, v4
	s_and_saveexec_b64 s[2:3], vcc
	s_xor_b64 s[2:3], exec, s[2:3]
	s_cbranch_execz .LBB309_27
; %bb.26:                               ;   in Loop: Header=BB309_25 Depth=1
	v_add_u32_e32 v7, v65, v8
	v_add_u32_e32 v4, s4, v7
	v_lshlrev_b64 v[11:12], 4, v[4:5]
	v_mov_b32_e32 v4, s9
	v_add_co_u32_e32 v11, vcc, s8, v11
	v_addc_co_u32_e32 v12, vcc, v4, v12, vcc
	v_add_u32_e32 v4, s5, v7
	v_lshlrev_b64 v[19:20], 4, v[4:5]
	v_add_u32_e32 v4, s6, v7
	v_lshlrev_b64 v[23:24], 4, v[4:5]
	;; [unrolled: 2-line block ×4, first 2 shown]
	v_mov_b32_e32 v4, s9
	v_add_co_u32_e32 v33, vcc, s8, v15
	v_addc_co_u32_e32 v34, vcc, v4, v16, vcc
	global_load_dwordx4 v[11:14], v[11:12], off
	v_add_co_u32_e32 v19, vcc, s8, v19
	global_load_dwordx4 v[15:18], v[33:34], off
	v_addc_co_u32_e32 v20, vcc, v4, v20, vcc
	global_load_dwordx4 v[19:22], v[19:20], off
	v_mov_b32_e32 v7, s9
	v_add_co_u32_e32 v35, vcc, s8, v23
	v_addc_co_u32_e32 v36, vcc, v7, v24, vcc
	v_add_u32_e32 v4, s5, v6
	v_mov_b32_e32 v27, s9
	v_add_co_u32_e32 v37, vcc, s8, v25
	v_lshlrev_b64 v[39:40], 4, v[4:5]
	v_addc_co_u32_e32 v38, vcc, v27, v26, vcc
	v_mov_b32_e32 v41, s9
	global_load_dwordx4 v[23:26], v[35:36], off
	global_load_dwordx4 v[29:32], v[37:38], off
	v_add_co_u32_e32 v35, vcc, s8, v39
	v_addc_co_u32_e32 v36, vcc, v41, v40, vcc
	v_add_u32_e32 v4, s6, v6
	s_waitcnt vmcnt(3)
	v_fma_f64 v[15:16], -v[0:1], v[11:12], v[15:16]
	v_fma_f64 v[17:18], -v[2:3], v[11:12], v[17:18]
	v_fma_f64 v[15:16], v[2:3], v[13:14], v[15:16]
	v_fma_f64 v[17:18], -v[0:1], v[13:14], v[17:18]
	global_store_dwordx4 v[33:34], v[15:18], off
	global_load_dwordx4 v[15:18], v[35:36], off
	v_lshlrev_b64 v[33:34], 4, v[4:5]
	v_add_u32_e32 v4, s7, v6
	v_add_co_u32_e32 v33, vcc, s8, v33
	v_addc_co_u32_e32 v34, vcc, v7, v34, vcc
	v_lshlrev_b64 v[6:7], 4, v[4:5]
	v_subrev_u32_e32 v4, s22, v8
	v_add_co_u32_e32 v6, vcc, s8, v6
	v_addc_co_u32_e32 v7, vcc, v27, v7, vcc
	v_mov_b32_e32 v27, s11
	s_waitcnt vmcnt(0)
	v_fma_f64 v[15:16], -v[0:1], v[19:20], v[15:16]
	v_fma_f64 v[17:18], -v[2:3], v[19:20], v[17:18]
	v_fma_f64 v[15:16], v[2:3], v[21:22], v[15:16]
	v_fma_f64 v[17:18], -v[0:1], v[21:22], v[17:18]
	global_store_dwordx4 v[35:36], v[15:18], off
	global_load_dwordx4 v[15:18], v[33:34], off
	v_mov_b32_e32 v36, s9
	s_waitcnt vmcnt(0)
	v_fma_f64 v[15:16], -v[0:1], v[23:24], v[15:16]
	v_fma_f64 v[17:18], -v[2:3], v[23:24], v[17:18]
	v_fma_f64 v[15:16], v[2:3], v[25:26], v[15:16]
	v_fma_f64 v[17:18], -v[0:1], v[25:26], v[17:18]
	global_store_dwordx4 v[33:34], v[15:18], off
	global_load_dwordx4 v[15:18], v[6:7], off
	v_add_u32_e32 v33, v4, v28
	v_ashrrev_i32_e32 v34, 31, v33
	v_lshlrev_b64 v[34:35], 4, v[33:34]
	v_add_u32_e32 v4, s4, v33
	v_add_co_u32_e32 v34, vcc, s10, v34
	v_addc_co_u32_e32 v35, vcc, v27, v35, vcc
	s_waitcnt vmcnt(0)
	v_fma_f64 v[15:16], -v[0:1], v[29:30], v[15:16]
	v_fma_f64 v[17:18], -v[2:3], v[29:30], v[17:18]
	v_fma_f64 v[15:16], v[2:3], v[31:32], v[15:16]
	v_fma_f64 v[17:18], -v[0:1], v[31:32], v[17:18]
	global_load_dwordx4 v[0:3], v[34:35], off
	v_lshlrev_b64 v[34:35], 4, v[4:5]
	v_add_u32_e32 v4, s5, v33
	v_add_co_u32_e32 v34, vcc, s8, v34
	v_addc_co_u32_e32 v35, vcc, v36, v35, vcc
	global_store_dwordx4 v[6:7], v[15:18], off
	global_load_dwordx4 v[15:18], v[34:35], off
	s_waitcnt vmcnt(0)
	v_fma_f64 v[6:7], -v[0:1], v[11:12], v[15:16]
	v_fma_f64 v[15:16], -v[2:3], v[11:12], v[17:18]
	v_mov_b32_e32 v17, s9
	v_fma_f64 v[11:12], v[2:3], v[13:14], v[6:7]
	v_fma_f64 v[13:14], -v[0:1], v[13:14], v[15:16]
	v_lshlrev_b64 v[6:7], 4, v[4:5]
	v_mov_b32_e32 v15, s9
	v_add_co_u32_e32 v6, vcc, s8, v6
	v_addc_co_u32_e32 v7, vcc, v15, v7, vcc
	v_add_u32_e32 v4, s6, v33
	global_store_dwordx4 v[34:35], v[11:14], off
	global_load_dwordx4 v[11:14], v[6:7], off
	v_lshlrev_b64 v[15:16], 4, v[4:5]
	v_add_u32_e32 v4, s7, v33
	v_add_co_u32_e32 v15, vcc, s8, v15
	v_addc_co_u32_e32 v16, vcc, v17, v16, vcc
	s_waitcnt vmcnt(0)
	v_fma_f64 v[11:12], -v[0:1], v[19:20], v[11:12]
	v_fma_f64 v[13:14], -v[2:3], v[19:20], v[13:14]
	v_fma_f64 v[11:12], v[2:3], v[21:22], v[11:12]
	v_fma_f64 v[13:14], -v[0:1], v[21:22], v[13:14]
	global_store_dwordx4 v[6:7], v[11:14], off
	global_load_dwordx4 v[11:14], v[15:16], off
	s_waitcnt vmcnt(0)
	v_fma_f64 v[6:7], -v[0:1], v[23:24], v[11:12]
	v_fma_f64 v[13:14], -v[2:3], v[23:24], v[13:14]
	v_fma_f64 v[11:12], v[2:3], v[25:26], v[6:7]
	v_fma_f64 v[13:14], -v[0:1], v[25:26], v[13:14]
	v_lshlrev_b64 v[6:7], 4, v[4:5]
	v_add_co_u32_e32 v6, vcc, s8, v6
	v_addc_co_u32_e32 v7, vcc, v17, v7, vcc
	global_store_dwordx4 v[15:16], v[11:14], off
	global_load_dwordx4 v[11:14], v[6:7], off
	s_waitcnt vmcnt(0)
	v_fma_f64 v[11:12], -v[0:1], v[29:30], v[11:12]
	v_fma_f64 v[13:14], -v[2:3], v[29:30], v[13:14]
	v_fma_f64 v[11:12], v[2:3], v[31:32], v[11:12]
	v_fma_f64 v[13:14], -v[0:1], v[31:32], v[13:14]
                                        ; implicit-def: $vgpr0_vgpr1
	global_store_dwordx4 v[6:7], v[11:14], off
                                        ; implicit-def: $vgpr6
.LBB309_27:                             ;   in Loop: Header=BB309_25 Depth=1
	s_or_saveexec_b64 s[2:3], s[2:3]
	v_mov_b32_e32 v4, s12
	s_xor_b64 exec, exec, s[2:3]
	s_cbranch_execz .LBB309_24
; %bb.28:                               ;   in Loop: Header=BB309_25 Depth=1
	v_add_u32_e32 v7, v65, v8
	v_add_u32_e32 v4, s4, v7
	v_lshlrev_b64 v[11:12], 4, v[4:5]
	v_mov_b32_e32 v4, s9
	v_add_co_u32_e32 v19, vcc, s8, v11
	v_addc_co_u32_e32 v20, vcc, v4, v12, vcc
	v_add_u32_e32 v4, s4, v6
	v_lshlrev_b64 v[11:12], 4, v[4:5]
	v_mov_b32_e32 v4, s9
	v_add_co_u32_e32 v21, vcc, s8, v11
	v_addc_co_u32_e32 v22, vcc, v4, v12, vcc
	global_load_dwordx4 v[11:14], v[19:20], off
	global_load_dwordx4 v[15:18], v[21:22], off
	v_add_u32_e32 v4, s5, v7
	v_lshlrev_b64 v[19:20], 4, v[4:5]
	v_add_u32_e32 v4, s5, v6
	v_mov_b32_e32 v25, s9
	v_lshlrev_b64 v[23:24], 4, v[4:5]
	v_add_co_u32_e32 v19, vcc, s8, v19
	v_addc_co_u32_e32 v20, vcc, v25, v20, vcc
	v_mov_b32_e32 v26, s9
	v_add_co_u32_e32 v23, vcc, s8, v23
	v_addc_co_u32_e32 v24, vcc, v26, v24, vcc
	v_add_u32_e32 v4, s6, v7
	s_waitcnt vmcnt(0)
	v_fma_f64 v[15:16], -v[0:1], v[11:12], v[15:16]
	v_fma_f64 v[17:18], -v[2:3], v[11:12], v[17:18]
	v_fma_f64 v[11:12], v[2:3], v[13:14], v[15:16]
	v_fma_f64 v[13:14], -v[0:1], v[13:14], v[17:18]
	global_store_dwordx4 v[21:22], v[11:14], off
	global_load_dwordx4 v[11:14], v[19:20], off
	s_nop 0
	global_load_dwordx4 v[15:18], v[23:24], off
	v_lshlrev_b64 v[19:20], 4, v[4:5]
	v_add_u32_e32 v4, s6, v6
	v_lshlrev_b64 v[21:22], 4, v[4:5]
	v_add_co_u32_e32 v19, vcc, s8, v19
	v_addc_co_u32_e32 v20, vcc, v25, v20, vcc
	v_add_co_u32_e32 v21, vcc, s8, v21
	v_addc_co_u32_e32 v22, vcc, v26, v22, vcc
	v_add_u32_e32 v4, s7, v7
	s_waitcnt vmcnt(0)
	v_fma_f64 v[15:16], -v[0:1], v[11:12], v[15:16]
	v_fma_f64 v[17:18], -v[2:3], v[11:12], v[17:18]
	v_fma_f64 v[11:12], v[2:3], v[13:14], v[15:16]
	v_fma_f64 v[13:14], -v[0:1], v[13:14], v[17:18]
	global_store_dwordx4 v[23:24], v[11:14], off
	global_load_dwordx4 v[11:14], v[19:20], off
	s_nop 0
	global_load_dwordx4 v[15:18], v[21:22], off
	v_lshlrev_b64 v[19:20], 4, v[4:5]
	v_add_u32_e32 v4, s7, v6
	v_mov_b32_e32 v23, s9
	v_lshlrev_b64 v[6:7], 4, v[4:5]
	v_add_co_u32_e32 v19, vcc, s8, v19
	v_addc_co_u32_e32 v20, vcc, v23, v20, vcc
	v_mov_b32_e32 v24, s9
	v_add_co_u32_e32 v6, vcc, s8, v6
	v_addc_co_u32_e32 v7, vcc, v24, v7, vcc
	v_mov_b32_e32 v4, s22
	s_waitcnt vmcnt(0)
	v_fma_f64 v[15:16], -v[0:1], v[11:12], v[15:16]
	v_fma_f64 v[17:18], -v[2:3], v[11:12], v[17:18]
	v_fma_f64 v[11:12], v[2:3], v[13:14], v[15:16]
	v_fma_f64 v[13:14], -v[0:1], v[13:14], v[17:18]
	global_store_dwordx4 v[21:22], v[11:14], off
	global_load_dwordx4 v[11:14], v[19:20], off
	s_nop 0
	global_load_dwordx4 v[15:18], v[6:7], off
	s_waitcnt vmcnt(0)
	v_fma_f64 v[15:16], -v[0:1], v[11:12], v[15:16]
	v_fma_f64 v[17:18], -v[2:3], v[11:12], v[17:18]
	v_fma_f64 v[11:12], v[2:3], v[13:14], v[15:16]
	v_fma_f64 v[13:14], -v[0:1], v[13:14], v[17:18]
	global_store_dwordx4 v[6:7], v[11:14], off
	s_branch .LBB309_24
.LBB309_29:
	s_endpgm
	.section	.rodata,"a",@progbits
	.p2align	6, 0x0
	.amdhsa_kernel _ZN9rocsparseL19gtsv_LBM_rhs_kernelILj256ELj16ELj4E21rocsparse_complex_numIdEEEviiiPKT2_S5_S5_PS3_S5_PKi
		.amdhsa_group_segment_fixed_size 0
		.amdhsa_private_segment_fixed_size 0
		.amdhsa_kernarg_size 64
		.amdhsa_user_sgpr_count 6
		.amdhsa_user_sgpr_private_segment_buffer 1
		.amdhsa_user_sgpr_dispatch_ptr 0
		.amdhsa_user_sgpr_queue_ptr 0
		.amdhsa_user_sgpr_kernarg_segment_ptr 1
		.amdhsa_user_sgpr_dispatch_id 0
		.amdhsa_user_sgpr_flat_scratch_init 0
		.amdhsa_user_sgpr_private_segment_size 0
		.amdhsa_uses_dynamic_stack 0
		.amdhsa_system_sgpr_private_segment_wavefront_offset 0
		.amdhsa_system_sgpr_workgroup_id_x 1
		.amdhsa_system_sgpr_workgroup_id_y 1
		.amdhsa_system_sgpr_workgroup_id_z 0
		.amdhsa_system_sgpr_workgroup_info 0
		.amdhsa_system_vgpr_workitem_id 0
		.amdhsa_next_free_vgpr 93
		.amdhsa_next_free_sgpr 32
		.amdhsa_reserve_vcc 1
		.amdhsa_reserve_flat_scratch 0
		.amdhsa_float_round_mode_32 0
		.amdhsa_float_round_mode_16_64 0
		.amdhsa_float_denorm_mode_32 3
		.amdhsa_float_denorm_mode_16_64 3
		.amdhsa_dx10_clamp 1
		.amdhsa_ieee_mode 1
		.amdhsa_fp16_overflow 0
		.amdhsa_exception_fp_ieee_invalid_op 0
		.amdhsa_exception_fp_denorm_src 0
		.amdhsa_exception_fp_ieee_div_zero 0
		.amdhsa_exception_fp_ieee_overflow 0
		.amdhsa_exception_fp_ieee_underflow 0
		.amdhsa_exception_fp_ieee_inexact 0
		.amdhsa_exception_int_div_zero 0
	.end_amdhsa_kernel
	.section	.text._ZN9rocsparseL19gtsv_LBM_rhs_kernelILj256ELj16ELj4E21rocsparse_complex_numIdEEEviiiPKT2_S5_S5_PS3_S5_PKi,"axG",@progbits,_ZN9rocsparseL19gtsv_LBM_rhs_kernelILj256ELj16ELj4E21rocsparse_complex_numIdEEEviiiPKT2_S5_S5_PS3_S5_PKi,comdat
.Lfunc_end309:
	.size	_ZN9rocsparseL19gtsv_LBM_rhs_kernelILj256ELj16ELj4E21rocsparse_complex_numIdEEEviiiPKT2_S5_S5_PS3_S5_PKi, .Lfunc_end309-_ZN9rocsparseL19gtsv_LBM_rhs_kernelILj256ELj16ELj4E21rocsparse_complex_numIdEEEviiiPKT2_S5_S5_PS3_S5_PKi
                                        ; -- End function
	.set _ZN9rocsparseL19gtsv_LBM_rhs_kernelILj256ELj16ELj4E21rocsparse_complex_numIdEEEviiiPKT2_S5_S5_PS3_S5_PKi.num_vgpr, 93
	.set _ZN9rocsparseL19gtsv_LBM_rhs_kernelILj256ELj16ELj4E21rocsparse_complex_numIdEEEviiiPKT2_S5_S5_PS3_S5_PKi.num_agpr, 0
	.set _ZN9rocsparseL19gtsv_LBM_rhs_kernelILj256ELj16ELj4E21rocsparse_complex_numIdEEEviiiPKT2_S5_S5_PS3_S5_PKi.numbered_sgpr, 32
	.set _ZN9rocsparseL19gtsv_LBM_rhs_kernelILj256ELj16ELj4E21rocsparse_complex_numIdEEEviiiPKT2_S5_S5_PS3_S5_PKi.num_named_barrier, 0
	.set _ZN9rocsparseL19gtsv_LBM_rhs_kernelILj256ELj16ELj4E21rocsparse_complex_numIdEEEviiiPKT2_S5_S5_PS3_S5_PKi.private_seg_size, 0
	.set _ZN9rocsparseL19gtsv_LBM_rhs_kernelILj256ELj16ELj4E21rocsparse_complex_numIdEEEviiiPKT2_S5_S5_PS3_S5_PKi.uses_vcc, 1
	.set _ZN9rocsparseL19gtsv_LBM_rhs_kernelILj256ELj16ELj4E21rocsparse_complex_numIdEEEviiiPKT2_S5_S5_PS3_S5_PKi.uses_flat_scratch, 0
	.set _ZN9rocsparseL19gtsv_LBM_rhs_kernelILj256ELj16ELj4E21rocsparse_complex_numIdEEEviiiPKT2_S5_S5_PS3_S5_PKi.has_dyn_sized_stack, 0
	.set _ZN9rocsparseL19gtsv_LBM_rhs_kernelILj256ELj16ELj4E21rocsparse_complex_numIdEEEviiiPKT2_S5_S5_PS3_S5_PKi.has_recursion, 0
	.set _ZN9rocsparseL19gtsv_LBM_rhs_kernelILj256ELj16ELj4E21rocsparse_complex_numIdEEEviiiPKT2_S5_S5_PS3_S5_PKi.has_indirect_call, 0
	.section	.AMDGPU.csdata,"",@progbits
; Kernel info:
; codeLenInByte = 5184
; TotalNumSgprs: 36
; NumVgprs: 93
; ScratchSize: 0
; MemoryBound: 1
; FloatMode: 240
; IeeeMode: 1
; LDSByteSize: 0 bytes/workgroup (compile time only)
; SGPRBlocks: 4
; VGPRBlocks: 23
; NumSGPRsForWavesPerEU: 36
; NumVGPRsForWavesPerEU: 93
; Occupancy: 2
; WaveLimiterHint : 0
; COMPUTE_PGM_RSRC2:SCRATCH_EN: 0
; COMPUTE_PGM_RSRC2:USER_SGPR: 6
; COMPUTE_PGM_RSRC2:TRAP_HANDLER: 0
; COMPUTE_PGM_RSRC2:TGID_X_EN: 1
; COMPUTE_PGM_RSRC2:TGID_Y_EN: 1
; COMPUTE_PGM_RSRC2:TGID_Z_EN: 0
; COMPUTE_PGM_RSRC2:TIDIG_COMP_CNT: 0
	.section	.text._ZN9rocsparseL19gtsv_LBM_rhs_kernelILj256ELj16ELj2E21rocsparse_complex_numIdEEEviiiPKT2_S5_S5_PS3_S5_PKi,"axG",@progbits,_ZN9rocsparseL19gtsv_LBM_rhs_kernelILj256ELj16ELj2E21rocsparse_complex_numIdEEEviiiPKT2_S5_S5_PS3_S5_PKi,comdat
	.globl	_ZN9rocsparseL19gtsv_LBM_rhs_kernelILj256ELj16ELj2E21rocsparse_complex_numIdEEEviiiPKT2_S5_S5_PS3_S5_PKi ; -- Begin function _ZN9rocsparseL19gtsv_LBM_rhs_kernelILj256ELj16ELj2E21rocsparse_complex_numIdEEEviiiPKT2_S5_S5_PS3_S5_PKi
	.p2align	8
	.type	_ZN9rocsparseL19gtsv_LBM_rhs_kernelILj256ELj16ELj2E21rocsparse_complex_numIdEEEviiiPKT2_S5_S5_PS3_S5_PKi,@function
_ZN9rocsparseL19gtsv_LBM_rhs_kernelILj256ELj16ELj2E21rocsparse_complex_numIdEEEviiiPKT2_S5_S5_PS3_S5_PKi: ; @_ZN9rocsparseL19gtsv_LBM_rhs_kernelILj256ELj16ELj2E21rocsparse_complex_numIdEEEviiiPKT2_S5_S5_PS3_S5_PKi
; %bb.0:
	s_load_dword s25, s[4:5], 0x0
	v_lshl_or_b32 v24, s6, 8, v0
	s_waitcnt lgkmcnt(0)
	s_lshr_b32 s24, s25, 4
	v_cmp_gt_i32_e32 vcc, s24, v24
	s_and_saveexec_b64 s[0:1], vcc
	s_cbranch_execz .LBB310_29
; %bb.1:
	s_load_dwordx4 s[8:11], s[4:5], 0x28
	s_load_dwordx2 s[16:17], s[4:5], 0x38
	s_cmp_lt_i32 s25, 1
	v_add_u32_e32 v47, s24, v24
	s_mul_i32 s26, s7, s25
	s_cbranch_scc1 .LBB310_21
; %bb.2:
	s_load_dwordx4 s[12:15], s[4:5], 0x10
	s_load_dwordx2 s[18:19], s[4:5], 0x20
	v_ashrrev_i32_e32 v25, 31, v24
	v_lshlrev_b64 v[0:1], 4, v[24:25]
	s_lshl_b32 s30, s26, 1
	s_waitcnt lgkmcnt(0)
	v_mov_b32_e32 v2, s15
	v_add_co_u32_e32 v0, vcc, s14, v0
	v_addc_co_u32_e32 v1, vcc, v2, v1, vcc
	global_load_dwordx4 v[4:7], v[0:1], off
	s_mul_i32 s27, s24, 15
	s_mul_i32 s28, s24, 14
	s_lshl_b32 s29, s24, 1
	v_add_u32_e32 v49, s24, v47
	s_add_i32 s31, s30, s25
	v_mov_b32_e32 v26, 0
	s_mov_b64 s[20:21], 0
	v_mov_b32_e32 v50, s19
	v_mov_b32_e32 v48, 0
	s_branch .LBB310_5
.LBB310_3:                              ;   in Loop: Header=BB310_5 Depth=1
	s_or_b64 exec, exec, s[4:5]
	v_fma_f64 v[2:3], v[2:3], v[8:9], v[29:30]
	v_fma_f64 v[0:1], v[0:1], v[8:9], v[27:28]
	v_mul_f64 v[4:5], v[20:21], -v[2:3]
	v_mul_f64 v[6:7], v[20:21], v[0:1]
	v_fma_f64 v[0:1], v[0:1], v[10:11], v[4:5]
	v_fma_f64 v[2:3], v[2:3], v[10:11], v[6:7]
	v_mov_b32_e32 v10, s24
	v_add_f64 v[4:5], v[12:13], -v[0:1]
	v_add_f64 v[6:7], v[14:15], -v[2:3]
.LBB310_4:                              ;   in Loop: Header=BB310_5 Depth=1
	s_or_b64 exec, exec, s[2:3]
	v_add_u32_e32 v48, v10, v48
	v_cmp_le_i32_e32 vcc, s25, v48
	s_or_b64 s[20:21], vcc, s[20:21]
	s_andn2_b64 exec, exec, s[20:21]
	s_cbranch_execz .LBB310_20
.LBB310_5:                              ; =>This Inner Loop Header: Depth=1
	v_add_u32_e32 v31, v48, v24
	v_ashrrev_i32_e32 v32, 31, v31
	v_lshlrev_b64 v[0:1], 4, v[31:32]
	v_mov_b32_e32 v12, 0
	v_add_co_u32_e32 v0, vcc, s18, v0
	v_addc_co_u32_e32 v1, vcc, v50, v1, vcc
	global_load_dwordx4 v[8:11], v[0:1], off
	v_mov_b32_e32 v0, 0
	v_mov_b32_e32 v2, 0
	;; [unrolled: 1-line block ×5, first 2 shown]
	v_cmp_gt_u32_e64 s[0:1], s27, v48
	s_and_saveexec_b64 s[2:3], s[0:1]
	s_cbranch_execz .LBB310_7
; %bb.6:                                ;   in Loop: Header=BB310_5 Depth=1
	v_add_u32_e32 v0, v47, v48
	v_ashrrev_i32_e32 v1, 31, v0
	v_lshlrev_b64 v[0:1], 4, v[0:1]
	v_mov_b32_e32 v2, s13
	v_add_co_u32_e32 v0, vcc, s12, v0
	v_addc_co_u32_e32 v1, vcc, v2, v1, vcc
	global_load_dwordx4 v[0:3], v[0:1], off
.LBB310_7:                              ;   in Loop: Header=BB310_5 Depth=1
	s_or_b64 exec, exec, s[2:3]
	v_mov_b32_e32 v14, 0
	v_mov_b32_e32 v15, 0
	s_and_saveexec_b64 s[2:3], s[0:1]
	s_cbranch_execz .LBB310_9
; %bb.8:                                ;   in Loop: Header=BB310_5 Depth=1
	v_add_u32_e32 v12, v47, v48
	v_ashrrev_i32_e32 v13, 31, v12
	v_lshlrev_b64 v[12:13], 4, v[12:13]
	v_mov_b32_e32 v14, s15
	v_add_co_u32_e32 v12, vcc, s14, v12
	v_addc_co_u32_e32 v13, vcc, v14, v13, vcc
	global_load_dwordx4 v[12:15], v[12:13], off
.LBB310_9:                              ;   in Loop: Header=BB310_5 Depth=1
	s_or_b64 exec, exec, s[2:3]
	v_mov_b32_e32 v20, 0
	v_mov_b32_e32 v16, 0
	v_mov_b32_e32 v18, 0
	v_mov_b32_e32 v21, 0
	v_mov_b32_e32 v17, 0
	v_mov_b32_e32 v19, 0
	s_and_saveexec_b64 s[2:3], s[0:1]
	s_cbranch_execz .LBB310_11
; %bb.10:                               ;   in Loop: Header=BB310_5 Depth=1
	v_add_u32_e32 v16, v47, v48
	v_ashrrev_i32_e32 v17, 31, v16
	v_lshlrev_b64 v[16:17], 4, v[16:17]
	v_mov_b32_e32 v18, s19
	v_add_co_u32_e32 v16, vcc, s18, v16
	v_addc_co_u32_e32 v17, vcc, v18, v17, vcc
	global_load_dwordx4 v[16:19], v[16:17], off
.LBB310_11:                             ;   in Loop: Header=BB310_5 Depth=1
	s_or_b64 exec, exec, s[2:3]
	v_mov_b32_e32 v22, 0
	v_mov_b32_e32 v23, 0
	v_cmp_gt_u32_e64 s[2:3], s28, v48
	s_and_saveexec_b64 s[4:5], s[2:3]
	s_cbranch_execz .LBB310_13
; %bb.12:                               ;   in Loop: Header=BB310_5 Depth=1
	v_add_u32_e32 v20, v49, v48
	v_ashrrev_i32_e32 v21, 31, v20
	v_lshlrev_b64 v[20:21], 4, v[20:21]
	v_mov_b32_e32 v22, s13
	v_add_co_u32_e32 v20, vcc, s12, v20
	v_addc_co_u32_e32 v21, vcc, v22, v21, vcc
	global_load_dwordx4 v[20:23], v[20:21], off
.LBB310_13:                             ;   in Loop: Header=BB310_5 Depth=1
	s_or_b64 exec, exec, s[4:5]
	v_lshlrev_b64 v[27:28], 2, v[31:32]
	v_mov_b32_e32 v25, s17
	v_add_co_u32_e32 v27, vcc, s16, v27
	v_addc_co_u32_e32 v28, vcc, v25, v28, vcc
	global_load_dword v32, v[27:28], off
	s_waitcnt vmcnt(1)
	v_mul_f64 v[27:28], v[10:11], -v[2:3]
	v_mul_f64 v[29:30], v[10:11], v[0:1]
	v_cmp_ne_u32_e32 vcc, s27, v48
	v_add_u32_e32 v25, s30, v31
	v_add_u32_e32 v31, s31, v31
	s_waitcnt vmcnt(0)
	v_cmp_ne_u32_e64 s[4:5], 1, v32
	s_and_b64 s[4:5], vcc, s[4:5]
	s_and_saveexec_b64 s[6:7], s[4:5]
	s_xor_b64 s[22:23], exec, s[6:7]
	s_cbranch_execz .LBB310_17
; %bb.14:                               ;   in Loop: Header=BB310_5 Depth=1
	v_mul_f64 v[32:33], v[4:5], v[14:15]
	v_mul_f64 v[34:35], v[14:15], -v[6:7]
	v_fma_f64 v[29:30], v[2:3], v[8:9], v[29:30]
	v_fma_f64 v[27:28], v[0:1], v[8:9], v[27:28]
	v_lshlrev_b64 v[39:40], 4, v[25:26]
	v_mov_b32_e32 v53, s9
	v_add_u32_e32 v54, v47, v48
	v_add_u32_e32 v25, s30, v54
	v_fma_f64 v[32:33], v[6:7], v[12:13], v[32:33]
	v_fma_f64 v[34:35], v[4:5], v[12:13], v[34:35]
	v_mov_b32_e32 v58, s9
	v_mov_b32_e32 v57, s9
	;; [unrolled: 1-line block ×3, first 2 shown]
	v_add_f64 v[29:30], v[32:33], -v[29:30]
	v_add_f64 v[27:28], v[34:35], -v[27:28]
	v_mul_f64 v[32:33], v[29:30], v[29:30]
	v_fma_f64 v[35:36], v[27:28], v[27:28], v[32:33]
	v_mov_b32_e32 v32, v26
	v_lshlrev_b64 v[43:44], 4, v[31:32]
	v_div_scale_f64 v[41:42], s[4:5], v[35:36], v[35:36], 1.0
	v_div_scale_f64 v[45:46], vcc, 1.0, v[35:36], 1.0
	v_add_co_u32_e64 v55, s[4:5], s8, v39
	v_addc_co_u32_e64 v56, s[4:5], v53, v40, s[4:5]
	v_lshlrev_b64 v[39:40], 4, v[25:26]
	v_add_u32_e32 v25, s31, v54
	v_add_co_u32_e64 v61, s[6:7], s8, v39
	v_addc_co_u32_e64 v62, s[6:7], v58, v40, s[6:7]
	v_add_co_u32_e64 v59, s[4:5], s8, v43
	v_rcp_f64_e32 v[33:34], v[41:42]
	v_addc_co_u32_e64 v60, s[4:5], v57, v44, s[4:5]
	v_lshlrev_b64 v[43:44], 4, v[25:26]
	v_add_co_u32_e64 v63, s[4:5], s8, v43
	v_addc_co_u32_e64 v64, s[4:5], v64, v44, s[4:5]
	v_fma_f64 v[37:38], -v[41:42], v[33:34], 1.0
	v_fma_f64 v[37:38], v[33:34], v[37:38], v[33:34]
	global_load_dwordx4 v[31:34], v[55:56], off
	v_fma_f64 v[51:52], -v[41:42], v[37:38], 1.0
	v_fma_f64 v[51:52], v[37:38], v[51:52], v[37:38]
	global_load_dwordx4 v[37:40], v[61:62], off
	v_mul_f64 v[53:54], v[45:46], v[51:52]
	v_fma_f64 v[45:46], -v[41:42], v[53:54], v[45:46]
	global_load_dwordx4 v[41:44], v[59:60], off
	v_div_fmas_f64 v[45:46], v[45:46], v[51:52], v[53:54]
	global_load_dwordx4 v[51:54], v[63:64], off
	v_div_fixup_f64 v[35:36], v[45:46], v[35:36], 1.0
	v_fma_f64 v[45:46], v[27:28], 0, -v[29:30]
	v_fma_f64 v[27:28], v[29:30], 0, v[27:28]
	v_mul_f64 v[29:30], v[45:46], v[35:36]
	v_mul_f64 v[27:28], v[27:28], v[35:36]
	s_waitcnt vmcnt(3)
	v_mul_f64 v[35:36], v[29:30], -v[33:34]
	v_mul_f64 v[45:46], v[29:30], v[31:32]
	v_fma_f64 v[31:32], v[31:32], v[27:28], v[35:36]
	v_fma_f64 v[35:36], v[33:34], v[27:28], v[45:46]
	s_waitcnt vmcnt(2)
	v_mul_f64 v[33:34], v[29:30], -v[39:40]
	v_mul_f64 v[45:46], v[29:30], v[37:38]
	v_fma_f64 v[33:34], v[37:38], v[27:28], v[33:34]
	v_fma_f64 v[37:38], v[39:40], v[27:28], v[45:46]
	;; [unrolled: 5-line block ×3, first 2 shown]
	s_waitcnt vmcnt(0)
	v_mul_f64 v[41:42], v[29:30], -v[53:54]
	v_mul_f64 v[45:46], v[29:30], v[51:52]
	v_mul_f64 v[57:58], v[43:44], -v[14:15]
	v_fma_f64 v[41:42], v[51:52], v[27:28], v[41:42]
	v_mul_f64 v[51:52], v[35:36], -v[14:15]
	v_fma_f64 v[45:46], v[53:54], v[27:28], v[45:46]
	v_mul_f64 v[53:54], v[12:13], v[35:36]
	v_fma_f64 v[57:58], v[12:13], v[39:40], v[57:58]
	v_fma_f64 v[51:52], v[12:13], v[31:32], v[51:52]
	v_mul_f64 v[12:13], v[12:13], v[43:44]
	v_fma_f64 v[53:54], v[14:15], v[31:32], v[53:54]
	v_fma_f64 v[65:66], v[14:15], v[39:40], v[12:13]
	v_mul_f64 v[12:13], v[37:38], -v[10:11]
	v_mul_f64 v[14:15], v[8:9], v[37:38]
	v_fma_f64 v[12:13], v[8:9], v[33:34], v[12:13]
	v_fma_f64 v[14:15], v[10:11], v[33:34], v[14:15]
	v_add_f64 v[12:13], v[51:52], -v[12:13]
	v_mul_f64 v[51:52], v[45:46], -v[10:11]
	v_add_f64 v[14:15], v[53:54], -v[14:15]
	v_mul_f64 v[53:54], v[35:36], -v[0:1]
	v_fma_f64 v[51:52], v[8:9], v[41:42], v[51:52]
	v_mul_f64 v[8:9], v[8:9], v[45:46]
	global_store_dwordx4 v[55:56], v[12:15], off
	v_mul_f64 v[55:56], v[37:38], -v[6:7]
	v_mul_f64 v[14:15], v[2:3], v[35:36]
	v_fma_f64 v[53:54], -v[2:3], v[31:32], v[53:54]
	v_fma_f64 v[8:9], v[10:11], v[41:42], v[8:9]
	v_add_f64 v[10:11], v[57:58], -v[51:52]
	v_fma_f64 v[51:52], v[4:5], v[33:34], v[55:56]
	v_fma_f64 v[14:15], -v[0:1], v[31:32], v[14:15]
	v_mul_f64 v[55:56], v[2:3], v[43:44]
	v_mul_f64 v[57:58], v[4:5], v[45:46]
	v_add_f64 v[12:13], v[65:66], -v[8:9]
	v_mul_f64 v[8:9], v[4:5], v[37:38]
	v_add_f64 v[51:52], v[14:15], v[51:52]
	v_mul_f64 v[14:15], v[45:46], -v[6:7]
	v_fma_f64 v[55:56], -v[0:1], v[39:40], v[55:56]
	v_fma_f64 v[57:58], v[6:7], v[41:42], v[57:58]
	global_store_dwordx4 v[59:60], v[10:13], off
	v_fma_f64 v[8:9], v[6:7], v[33:34], v[8:9]
	v_mov_b32_e32 v10, 0
	v_mov_b32_e32 v11, 0
	v_fma_f64 v[14:15], v[4:5], v[41:42], v[14:15]
	v_add_f64 v[53:54], v[53:54], v[8:9]
	v_mul_f64 v[8:9], v[43:44], -v[0:1]
	v_add_f64 v[55:56], v[55:56], v[14:15]
	v_fma_f64 v[8:9], -v[2:3], v[39:40], v[8:9]
	v_add_f64 v[57:58], v[8:9], v[57:58]
	v_mov_b32_e32 v8, 0
	v_mov_b32_e32 v9, 0
	global_store_dwordx4 v[61:62], v[51:54], off
	global_store_dwordx4 v[63:64], v[55:58], off
	s_and_saveexec_b64 s[4:5], s[2:3]
	s_cbranch_execz .LBB310_16
; %bb.15:                               ;   in Loop: Header=BB310_5 Depth=1
	v_add_u32_e32 v51, v49, v48
	v_add_u32_e32 v25, s30, v51
	v_lshlrev_b64 v[8:9], 4, v[25:26]
	v_mov_b32_e32 v10, s9
	v_add_co_u32_e32 v55, vcc, s8, v8
	v_add_u32_e32 v25, s31, v51
	v_addc_co_u32_e32 v56, vcc, v10, v9, vcc
	v_lshlrev_b64 v[8:9], 4, v[25:26]
	v_ashrrev_i32_e32 v52, 31, v51
	v_add_co_u32_e32 v57, vcc, s8, v8
	v_lshlrev_b64 v[51:52], 4, v[51:52]
	v_addc_co_u32_e32 v58, vcc, v10, v9, vcc
	v_mov_b32_e32 v25, s15
	v_add_co_u32_e32 v51, vcc, s14, v51
	v_addc_co_u32_e32 v52, vcc, v25, v52, vcc
	global_load_dwordx4 v[8:11], v[55:56], off
	global_load_dwordx4 v[12:15], v[57:58], off
	v_mul_f64 v[59:60], v[22:23], -v[0:1]
	global_load_dwordx4 v[51:54], v[51:52], off
	v_mul_f64 v[61:62], v[2:3], v[22:23]
	v_mul_f64 v[63:64], v[4:5], v[22:23]
	v_mul_f64 v[65:66], v[22:23], -v[6:7]
	v_mul_f64 v[67:68], v[6:7], -v[22:23]
	v_mul_f64 v[69:70], v[6:7], v[20:21]
	v_fma_f64 v[2:3], -v[2:3], v[20:21], v[59:60]
	v_fma_f64 v[0:1], -v[0:1], v[20:21], v[61:62]
	v_fma_f64 v[6:7], v[6:7], v[20:21], v[63:64]
	v_fma_f64 v[59:60], v[4:5], v[20:21], v[65:66]
	;; [unrolled: 1-line block ×4, first 2 shown]
	v_mul_f64 v[22:23], v[2:3], v[35:36]
	v_mul_f64 v[65:66], v[2:3], v[43:44]
	v_mul_f64 v[35:36], v[35:36], -v[0:1]
	v_mul_f64 v[61:62], v[37:38], -v[6:7]
	v_mul_f64 v[37:38], v[59:60], v[37:38]
	v_mul_f64 v[63:64], v[18:19], v[20:21]
	v_mul_f64 v[18:19], v[18:19], -v[4:5]
	v_mul_f64 v[43:44], v[43:44], -v[0:1]
	;; [unrolled: 1-line block ×3, first 2 shown]
	v_mul_f64 v[45:46], v[59:60], v[45:46]
	v_fma_f64 v[22:23], -v[0:1], v[31:32], v[22:23]
	v_fma_f64 v[31:32], -v[2:3], v[31:32], v[35:36]
	;; [unrolled: 1-line block ×3, first 2 shown]
	v_fma_f64 v[4:5], v[4:5], v[16:17], v[63:64]
	v_fma_f64 v[16:17], v[20:21], v[16:17], v[18:19]
	;; [unrolled: 1-line block ×4, first 2 shown]
	v_fma_f64 v[2:3], -v[2:3], v[39:40], v[43:44]
	v_fma_f64 v[33:34], v[59:60], v[41:42], v[67:68]
	v_fma_f64 v[6:7], v[6:7], v[41:42], v[45:46]
	v_mul_f64 v[35:36], v[29:30], -v[4:5]
	v_mul_f64 v[29:30], v[29:30], v[16:17]
	v_add_f64 v[18:19], v[22:23], -v[18:19]
	v_add_f64 v[20:21], v[31:32], -v[20:21]
	;; [unrolled: 1-line block ×4, first 2 shown]
	v_fma_f64 v[16:17], v[16:17], v[27:28], v[35:36]
	v_fma_f64 v[27:28], v[4:5], v[27:28], v[29:30]
	s_waitcnt vmcnt(2)
	v_add_f64 v[0:1], v[18:19], v[8:9]
	v_add_f64 v[2:3], v[20:21], v[10:11]
	s_waitcnt vmcnt(1)
	v_add_f64 v[4:5], v[22:23], v[12:13]
	s_waitcnt vmcnt(0)
	v_add_f64 v[10:11], v[51:52], -v[16:17]
	v_add_f64 v[8:9], v[53:54], -v[27:28]
	v_add_f64 v[6:7], v[6:7], v[14:15]
	global_store_dwordx4 v[55:56], v[0:3], off
	global_store_dwordx4 v[57:58], v[4:7], off
.LBB310_16:                             ;   in Loop: Header=BB310_5 Depth=1
	s_or_b64 exec, exec, s[4:5]
	v_mov_b32_e32 v6, v8
	v_mov_b32_e32 v4, v10
	;; [unrolled: 1-line block ×4, first 2 shown]
                                        ; implicit-def: $vgpr0_vgpr1
                                        ; implicit-def: $vgpr12_vgpr13
                                        ; implicit-def: $vgpr8_vgpr9
                                        ; implicit-def: $vgpr27_vgpr28
                                        ; implicit-def: $vgpr29_vgpr30
                                        ; implicit-def: $vgpr31
.LBB310_17:                             ;   in Loop: Header=BB310_5 Depth=1
	s_or_saveexec_b64 s[2:3], s[22:23]
	v_mov_b32_e32 v10, s29
	s_xor_b64 exec, exec, s[2:3]
	s_cbranch_execz .LBB310_4
; %bb.18:                               ;   in Loop: Header=BB310_5 Depth=1
	v_mul_f64 v[10:11], v[6:7], v[6:7]
	v_lshlrev_b64 v[16:17], 4, v[25:26]
	v_mov_b32_e32 v32, v26
	v_mov_b32_e32 v18, s9
	v_lshlrev_b64 v[31:32], 4, v[31:32]
	v_add_co_u32_e32 v35, vcc, s8, v16
	v_addc_co_u32_e32 v36, vcc, v18, v17, vcc
	v_fma_f64 v[10:11], v[4:5], v[4:5], v[10:11]
	v_mov_b32_e32 v25, s9
	v_add_co_u32_e32 v39, vcc, s8, v31
	v_addc_co_u32_e32 v40, vcc, v25, v32, vcc
	global_load_dwordx4 v[16:19], v[35:36], off
	global_load_dwordx4 v[31:34], v[39:40], off
	v_div_scale_f64 v[20:21], s[4:5], v[10:11], v[10:11], 1.0
	v_rcp_f64_e32 v[22:23], v[20:21]
	v_fma_f64 v[37:38], -v[20:21], v[22:23], 1.0
	v_fma_f64 v[22:23], v[22:23], v[37:38], v[22:23]
	v_div_scale_f64 v[37:38], vcc, 1.0, v[10:11], 1.0
	v_fma_f64 v[41:42], -v[20:21], v[22:23], 1.0
	v_fma_f64 v[22:23], v[22:23], v[41:42], v[22:23]
	v_mul_f64 v[41:42], v[37:38], v[22:23]
	v_fma_f64 v[20:21], -v[20:21], v[41:42], v[37:38]
	v_div_fmas_f64 v[20:21], v[20:21], v[22:23], v[41:42]
	v_fma_f64 v[22:23], v[4:5], 0, -v[6:7]
	v_fma_f64 v[4:5], v[6:7], 0, v[4:5]
	v_div_fixup_f64 v[10:11], v[20:21], v[10:11], 1.0
	v_mul_f64 v[20:21], v[22:23], v[10:11]
	v_mul_f64 v[10:11], v[4:5], v[10:11]
	s_waitcnt vmcnt(1)
	v_mul_f64 v[4:5], v[20:21], -v[18:19]
	v_mul_f64 v[6:7], v[20:21], v[16:17]
	s_waitcnt vmcnt(0)
	v_mul_f64 v[22:23], v[20:21], -v[33:34]
	v_mul_f64 v[37:38], v[20:21], v[31:32]
	v_fma_f64 v[16:17], v[16:17], v[10:11], v[4:5]
	v_fma_f64 v[18:19], v[18:19], v[10:11], v[6:7]
	;; [unrolled: 1-line block ×4, first 2 shown]
	global_store_dwordx4 v[35:36], v[16:19], off
	global_store_dwordx4 v[39:40], v[4:7], off
	s_and_saveexec_b64 s[4:5], s[0:1]
	s_cbranch_execz .LBB310_3
; %bb.19:                               ;   in Loop: Header=BB310_5 Depth=1
	v_add_u32_e32 v35, v47, v48
	v_add_u32_e32 v25, s30, v35
	v_lshlrev_b64 v[22:23], 4, v[25:26]
	v_mov_b32_e32 v25, s9
	v_add_co_u32_e32 v22, vcc, s8, v22
	v_addc_co_u32_e32 v23, vcc, v25, v23, vcc
	v_add_u32_e32 v25, s31, v35
	v_lshlrev_b64 v[35:36], 4, v[25:26]
	v_mov_b32_e32 v25, s9
	v_add_co_u32_e32 v39, vcc, s8, v35
	global_load_dwordx4 v[31:34], v[22:23], off
	v_addc_co_u32_e32 v40, vcc, v25, v36, vcc
	global_load_dwordx4 v[35:38], v[39:40], off
	s_waitcnt vmcnt(1)
	v_fma_f64 v[31:32], -v[0:1], v[16:17], v[31:32]
	v_fma_f64 v[33:34], -v[2:3], v[16:17], v[33:34]
	s_waitcnt vmcnt(0)
	v_fma_f64 v[35:36], -v[0:1], v[4:5], v[35:36]
	v_fma_f64 v[37:38], -v[2:3], v[4:5], v[37:38]
	v_fma_f64 v[16:17], v[2:3], v[18:19], v[31:32]
	v_fma_f64 v[18:19], -v[0:1], v[18:19], v[33:34]
	v_fma_f64 v[4:5], v[2:3], v[6:7], v[35:36]
	v_fma_f64 v[6:7], -v[0:1], v[6:7], v[37:38]
	global_store_dwordx4 v[22:23], v[16:19], off
	global_store_dwordx4 v[39:40], v[4:7], off
	s_branch .LBB310_3
.LBB310_20:
	s_or_b64 exec, exec, s[20:21]
	s_branch .LBB310_22
.LBB310_21:
	v_mov_b32_e32 v48, 0
.LBB310_22:
	v_subrev_u32_e32 v2, s24, v48
	v_add_u32_e32 v0, v2, v24
	v_ashrrev_i32_e32 v1, 31, v0
	v_lshlrev_b64 v[0:1], 2, v[0:1]
	s_waitcnt lgkmcnt(0)
	v_mov_b32_e32 v3, s17
	v_add_co_u32_e32 v0, vcc, s16, v0
	v_addc_co_u32_e32 v1, vcc, v3, v1, vcc
	s_waitcnt vmcnt(0)
	buffer_wbinvl1_vol
	global_load_dword v0, v[0:1], off
	s_waitcnt vmcnt(0)
	v_mul_lo_u32 v0, v0, s24
	v_sub_u32_e32 v8, v2, v0
	v_cmp_lt_i32_e32 vcc, -1, v8
	s_and_b64 exec, exec, vcc
	s_cbranch_execz .LBB310_29
; %bb.23:
	s_lshl_b32 s4, s26, 1
	s_add_i32 s5, s4, s25
	s_lshl_b32 s6, s24, 1
	s_mov_b64 s[0:1], 0
	v_mov_b32_e32 v9, s17
	v_mov_b32_e32 v10, s11
	;; [unrolled: 1-line block ×3, first 2 shown]
	s_branch .LBB310_25
.LBB310_24:                             ;   in Loop: Header=BB310_25 Depth=1
	s_or_b64 exec, exec, s[2:3]
	v_sub_u32_e32 v8, v8, v4
	v_cmp_gt_i32_e32 vcc, 0, v8
	s_or_b64 s[0:1], vcc, s[0:1]
	s_andn2_b64 exec, exec, s[0:1]
	s_cbranch_execz .LBB310_29
.LBB310_25:                             ; =>This Inner Loop Header: Depth=1
	v_add_u32_e32 v6, v8, v24
	v_ashrrev_i32_e32 v7, 31, v6
	s_waitcnt vmcnt(0)
	v_lshlrev_b64 v[0:1], 2, v[6:7]
	v_add_co_u32_e32 v0, vcc, s16, v0
	v_addc_co_u32_e32 v1, vcc, v9, v1, vcc
	global_load_dword v4, v[0:1], off
	v_lshlrev_b64 v[0:1], 4, v[6:7]
	v_add_co_u32_e32 v0, vcc, s10, v0
	v_addc_co_u32_e32 v1, vcc, v10, v1, vcc
	global_load_dwordx4 v[0:3], v[0:1], off
	s_waitcnt vmcnt(1)
	v_cmp_ne_u32_e32 vcc, 1, v4
	s_and_saveexec_b64 s[2:3], vcc
	s_xor_b64 s[2:3], exec, s[2:3]
	s_cbranch_execz .LBB310_27
; %bb.26:                               ;   in Loop: Header=BB310_25 Depth=1
	v_add_u32_e32 v7, v47, v8
	v_add_u32_e32 v4, s4, v7
	v_lshlrev_b64 v[11:12], 4, v[4:5]
	v_mov_b32_e32 v4, s9
	v_add_co_u32_e32 v11, vcc, s8, v11
	v_addc_co_u32_e32 v12, vcc, v4, v12, vcc
	v_add_u32_e32 v4, s5, v7
	v_lshlrev_b64 v[19:20], 4, v[4:5]
	v_add_u32_e32 v4, s4, v6
	v_lshlrev_b64 v[15:16], 4, v[4:5]
	v_mov_b32_e32 v4, s9
	v_add_co_u32_e32 v25, vcc, s8, v15
	v_addc_co_u32_e32 v26, vcc, v4, v16, vcc
	global_load_dwordx4 v[11:14], v[11:12], off
	v_add_co_u32_e32 v19, vcc, s8, v19
	global_load_dwordx4 v[15:18], v[25:26], off
	v_addc_co_u32_e32 v20, vcc, v4, v20, vcc
	global_load_dwordx4 v[19:22], v[19:20], off
	v_add_u32_e32 v4, s5, v6
	v_lshlrev_b64 v[6:7], 4, v[4:5]
	v_mov_b32_e32 v23, s9
	v_add_co_u32_e32 v6, vcc, s8, v6
	v_addc_co_u32_e32 v7, vcc, v23, v7, vcc
	v_subrev_u32_e32 v4, s24, v8
	v_mov_b32_e32 v23, s11
	v_mov_b32_e32 v28, s9
	s_waitcnt vmcnt(1)
	v_fma_f64 v[15:16], -v[0:1], v[11:12], v[15:16]
	v_fma_f64 v[17:18], -v[2:3], v[11:12], v[17:18]
	v_fma_f64 v[15:16], v[2:3], v[13:14], v[15:16]
	v_fma_f64 v[17:18], -v[0:1], v[13:14], v[17:18]
	global_store_dwordx4 v[25:26], v[15:18], off
	global_load_dwordx4 v[15:18], v[6:7], off
	v_add_u32_e32 v25, v4, v24
	v_ashrrev_i32_e32 v26, 31, v25
	v_lshlrev_b64 v[26:27], 4, v[25:26]
	v_add_u32_e32 v4, s4, v25
	v_add_co_u32_e32 v26, vcc, s10, v26
	v_addc_co_u32_e32 v27, vcc, v23, v27, vcc
	s_waitcnt vmcnt(0)
	v_fma_f64 v[15:16], -v[0:1], v[19:20], v[15:16]
	v_fma_f64 v[17:18], -v[2:3], v[19:20], v[17:18]
	v_fma_f64 v[15:16], v[2:3], v[21:22], v[15:16]
	v_fma_f64 v[17:18], -v[0:1], v[21:22], v[17:18]
	global_load_dwordx4 v[0:3], v[26:27], off
	v_lshlrev_b64 v[26:27], 4, v[4:5]
	v_add_u32_e32 v4, s5, v25
	v_add_co_u32_e32 v26, vcc, s8, v26
	v_addc_co_u32_e32 v27, vcc, v28, v27, vcc
	global_store_dwordx4 v[6:7], v[15:18], off
	global_load_dwordx4 v[15:18], v[26:27], off
	s_waitcnt vmcnt(0)
	v_fma_f64 v[6:7], -v[0:1], v[11:12], v[15:16]
	v_fma_f64 v[15:16], -v[2:3], v[11:12], v[17:18]
	v_fma_f64 v[11:12], v[2:3], v[13:14], v[6:7]
	v_fma_f64 v[13:14], -v[0:1], v[13:14], v[15:16]
	v_lshlrev_b64 v[6:7], 4, v[4:5]
	v_mov_b32_e32 v15, s9
	v_add_co_u32_e32 v6, vcc, s8, v6
	v_addc_co_u32_e32 v7, vcc, v15, v7, vcc
	global_store_dwordx4 v[26:27], v[11:14], off
	global_load_dwordx4 v[11:14], v[6:7], off
	s_waitcnt vmcnt(0)
	v_fma_f64 v[11:12], -v[0:1], v[19:20], v[11:12]
	v_fma_f64 v[13:14], -v[2:3], v[19:20], v[13:14]
	v_fma_f64 v[11:12], v[2:3], v[21:22], v[11:12]
	v_fma_f64 v[13:14], -v[0:1], v[21:22], v[13:14]
                                        ; implicit-def: $vgpr0_vgpr1
	global_store_dwordx4 v[6:7], v[11:14], off
                                        ; implicit-def: $vgpr6
.LBB310_27:                             ;   in Loop: Header=BB310_25 Depth=1
	s_or_saveexec_b64 s[2:3], s[2:3]
	v_mov_b32_e32 v4, s6
	s_xor_b64 exec, exec, s[2:3]
	s_cbranch_execz .LBB310_24
; %bb.28:                               ;   in Loop: Header=BB310_25 Depth=1
	v_add_u32_e32 v7, v47, v8
	v_add_u32_e32 v4, s4, v7
	v_lshlrev_b64 v[11:12], 4, v[4:5]
	v_mov_b32_e32 v4, s9
	v_add_co_u32_e32 v19, vcc, s8, v11
	v_addc_co_u32_e32 v20, vcc, v4, v12, vcc
	v_add_u32_e32 v4, s4, v6
	v_lshlrev_b64 v[11:12], 4, v[4:5]
	v_mov_b32_e32 v4, s9
	v_add_co_u32_e32 v21, vcc, s8, v11
	v_addc_co_u32_e32 v22, vcc, v4, v12, vcc
	global_load_dwordx4 v[11:14], v[19:20], off
	global_load_dwordx4 v[15:18], v[21:22], off
	v_add_u32_e32 v4, s5, v7
	v_lshlrev_b64 v[19:20], 4, v[4:5]
	v_add_u32_e32 v4, s5, v6
	v_mov_b32_e32 v23, s9
	v_lshlrev_b64 v[6:7], 4, v[4:5]
	v_add_co_u32_e32 v19, vcc, s8, v19
	v_addc_co_u32_e32 v20, vcc, v23, v20, vcc
	v_mov_b32_e32 v25, s9
	v_add_co_u32_e32 v6, vcc, s8, v6
	v_addc_co_u32_e32 v7, vcc, v25, v7, vcc
	v_mov_b32_e32 v4, s24
	s_waitcnt vmcnt(0)
	v_fma_f64 v[15:16], -v[0:1], v[11:12], v[15:16]
	v_fma_f64 v[17:18], -v[2:3], v[11:12], v[17:18]
	v_fma_f64 v[11:12], v[2:3], v[13:14], v[15:16]
	v_fma_f64 v[13:14], -v[0:1], v[13:14], v[17:18]
	global_store_dwordx4 v[21:22], v[11:14], off
	global_load_dwordx4 v[11:14], v[19:20], off
	s_nop 0
	global_load_dwordx4 v[15:18], v[6:7], off
	s_waitcnt vmcnt(0)
	v_fma_f64 v[15:16], -v[0:1], v[11:12], v[15:16]
	v_fma_f64 v[17:18], -v[2:3], v[11:12], v[17:18]
	v_fma_f64 v[11:12], v[2:3], v[13:14], v[15:16]
	v_fma_f64 v[13:14], -v[0:1], v[13:14], v[17:18]
	global_store_dwordx4 v[6:7], v[11:14], off
	s_branch .LBB310_24
.LBB310_29:
	s_endpgm
	.section	.rodata,"a",@progbits
	.p2align	6, 0x0
	.amdhsa_kernel _ZN9rocsparseL19gtsv_LBM_rhs_kernelILj256ELj16ELj2E21rocsparse_complex_numIdEEEviiiPKT2_S5_S5_PS3_S5_PKi
		.amdhsa_group_segment_fixed_size 0
		.amdhsa_private_segment_fixed_size 0
		.amdhsa_kernarg_size 64
		.amdhsa_user_sgpr_count 6
		.amdhsa_user_sgpr_private_segment_buffer 1
		.amdhsa_user_sgpr_dispatch_ptr 0
		.amdhsa_user_sgpr_queue_ptr 0
		.amdhsa_user_sgpr_kernarg_segment_ptr 1
		.amdhsa_user_sgpr_dispatch_id 0
		.amdhsa_user_sgpr_flat_scratch_init 0
		.amdhsa_user_sgpr_private_segment_size 0
		.amdhsa_uses_dynamic_stack 0
		.amdhsa_system_sgpr_private_segment_wavefront_offset 0
		.amdhsa_system_sgpr_workgroup_id_x 1
		.amdhsa_system_sgpr_workgroup_id_y 1
		.amdhsa_system_sgpr_workgroup_id_z 0
		.amdhsa_system_sgpr_workgroup_info 0
		.amdhsa_system_vgpr_workitem_id 0
		.amdhsa_next_free_vgpr 71
		.amdhsa_next_free_sgpr 32
		.amdhsa_reserve_vcc 1
		.amdhsa_reserve_flat_scratch 0
		.amdhsa_float_round_mode_32 0
		.amdhsa_float_round_mode_16_64 0
		.amdhsa_float_denorm_mode_32 3
		.amdhsa_float_denorm_mode_16_64 3
		.amdhsa_dx10_clamp 1
		.amdhsa_ieee_mode 1
		.amdhsa_fp16_overflow 0
		.amdhsa_exception_fp_ieee_invalid_op 0
		.amdhsa_exception_fp_denorm_src 0
		.amdhsa_exception_fp_ieee_div_zero 0
		.amdhsa_exception_fp_ieee_overflow 0
		.amdhsa_exception_fp_ieee_underflow 0
		.amdhsa_exception_fp_ieee_inexact 0
		.amdhsa_exception_int_div_zero 0
	.end_amdhsa_kernel
	.section	.text._ZN9rocsparseL19gtsv_LBM_rhs_kernelILj256ELj16ELj2E21rocsparse_complex_numIdEEEviiiPKT2_S5_S5_PS3_S5_PKi,"axG",@progbits,_ZN9rocsparseL19gtsv_LBM_rhs_kernelILj256ELj16ELj2E21rocsparse_complex_numIdEEEviiiPKT2_S5_S5_PS3_S5_PKi,comdat
.Lfunc_end310:
	.size	_ZN9rocsparseL19gtsv_LBM_rhs_kernelILj256ELj16ELj2E21rocsparse_complex_numIdEEEviiiPKT2_S5_S5_PS3_S5_PKi, .Lfunc_end310-_ZN9rocsparseL19gtsv_LBM_rhs_kernelILj256ELj16ELj2E21rocsparse_complex_numIdEEEviiiPKT2_S5_S5_PS3_S5_PKi
                                        ; -- End function
	.set _ZN9rocsparseL19gtsv_LBM_rhs_kernelILj256ELj16ELj2E21rocsparse_complex_numIdEEEviiiPKT2_S5_S5_PS3_S5_PKi.num_vgpr, 71
	.set _ZN9rocsparseL19gtsv_LBM_rhs_kernelILj256ELj16ELj2E21rocsparse_complex_numIdEEEviiiPKT2_S5_S5_PS3_S5_PKi.num_agpr, 0
	.set _ZN9rocsparseL19gtsv_LBM_rhs_kernelILj256ELj16ELj2E21rocsparse_complex_numIdEEEviiiPKT2_S5_S5_PS3_S5_PKi.numbered_sgpr, 32
	.set _ZN9rocsparseL19gtsv_LBM_rhs_kernelILj256ELj16ELj2E21rocsparse_complex_numIdEEEviiiPKT2_S5_S5_PS3_S5_PKi.num_named_barrier, 0
	.set _ZN9rocsparseL19gtsv_LBM_rhs_kernelILj256ELj16ELj2E21rocsparse_complex_numIdEEEviiiPKT2_S5_S5_PS3_S5_PKi.private_seg_size, 0
	.set _ZN9rocsparseL19gtsv_LBM_rhs_kernelILj256ELj16ELj2E21rocsparse_complex_numIdEEEviiiPKT2_S5_S5_PS3_S5_PKi.uses_vcc, 1
	.set _ZN9rocsparseL19gtsv_LBM_rhs_kernelILj256ELj16ELj2E21rocsparse_complex_numIdEEEviiiPKT2_S5_S5_PS3_S5_PKi.uses_flat_scratch, 0
	.set _ZN9rocsparseL19gtsv_LBM_rhs_kernelILj256ELj16ELj2E21rocsparse_complex_numIdEEEviiiPKT2_S5_S5_PS3_S5_PKi.has_dyn_sized_stack, 0
	.set _ZN9rocsparseL19gtsv_LBM_rhs_kernelILj256ELj16ELj2E21rocsparse_complex_numIdEEEviiiPKT2_S5_S5_PS3_S5_PKi.has_recursion, 0
	.set _ZN9rocsparseL19gtsv_LBM_rhs_kernelILj256ELj16ELj2E21rocsparse_complex_numIdEEEviiiPKT2_S5_S5_PS3_S5_PKi.has_indirect_call, 0
	.section	.AMDGPU.csdata,"",@progbits
; Kernel info:
; codeLenInByte = 3396
; TotalNumSgprs: 36
; NumVgprs: 71
; ScratchSize: 0
; MemoryBound: 1
; FloatMode: 240
; IeeeMode: 1
; LDSByteSize: 0 bytes/workgroup (compile time only)
; SGPRBlocks: 4
; VGPRBlocks: 17
; NumSGPRsForWavesPerEU: 36
; NumVGPRsForWavesPerEU: 71
; Occupancy: 3
; WaveLimiterHint : 0
; COMPUTE_PGM_RSRC2:SCRATCH_EN: 0
; COMPUTE_PGM_RSRC2:USER_SGPR: 6
; COMPUTE_PGM_RSRC2:TRAP_HANDLER: 0
; COMPUTE_PGM_RSRC2:TGID_X_EN: 1
; COMPUTE_PGM_RSRC2:TGID_Y_EN: 1
; COMPUTE_PGM_RSRC2:TGID_Z_EN: 0
; COMPUTE_PGM_RSRC2:TIDIG_COMP_CNT: 0
	.section	.text._ZN9rocsparseL19gtsv_LBM_rhs_kernelILj256ELj16ELj1E21rocsparse_complex_numIdEEEviiiPKT2_S5_S5_PS3_S5_PKi,"axG",@progbits,_ZN9rocsparseL19gtsv_LBM_rhs_kernelILj256ELj16ELj1E21rocsparse_complex_numIdEEEviiiPKT2_S5_S5_PS3_S5_PKi,comdat
	.globl	_ZN9rocsparseL19gtsv_LBM_rhs_kernelILj256ELj16ELj1E21rocsparse_complex_numIdEEEviiiPKT2_S5_S5_PS3_S5_PKi ; -- Begin function _ZN9rocsparseL19gtsv_LBM_rhs_kernelILj256ELj16ELj1E21rocsparse_complex_numIdEEEviiiPKT2_S5_S5_PS3_S5_PKi
	.p2align	8
	.type	_ZN9rocsparseL19gtsv_LBM_rhs_kernelILj256ELj16ELj1E21rocsparse_complex_numIdEEEviiiPKT2_S5_S5_PS3_S5_PKi,@function
_ZN9rocsparseL19gtsv_LBM_rhs_kernelILj256ELj16ELj1E21rocsparse_complex_numIdEEEviiiPKT2_S5_S5_PS3_S5_PKi: ; @_ZN9rocsparseL19gtsv_LBM_rhs_kernelILj256ELj16ELj1E21rocsparse_complex_numIdEEEviiiPKT2_S5_S5_PS3_S5_PKi
; %bb.0:
	s_load_dword s24, s[4:5], 0x0
	v_lshl_or_b32 v24, s6, 8, v0
	s_waitcnt lgkmcnt(0)
	s_lshr_b32 s22, s24, 4
	v_cmp_gt_i32_e32 vcc, s22, v24
	s_and_saveexec_b64 s[0:1], vcc
	s_cbranch_execz .LBB311_29
; %bb.1:
	s_load_dwordx4 s[8:11], s[4:5], 0x28
	s_load_dwordx2 s[16:17], s[4:5], 0x38
	s_cmp_lt_i32 s24, 1
	s_mul_i32 s23, s24, s7
	s_cbranch_scc1 .LBB311_21
; %bb.2:
	s_load_dwordx4 s[12:15], s[4:5], 0x10
	s_load_dwordx2 s[6:7], s[4:5], 0x20
	v_ashrrev_i32_e32 v25, 31, v24
	v_lshlrev_b64 v[0:1], 4, v[24:25]
	v_add_u32_e32 v40, s22, v24
	s_waitcnt lgkmcnt(0)
	v_mov_b32_e32 v2, s15
	v_add_co_u32_e32 v0, vcc, s14, v0
	v_addc_co_u32_e32 v1, vcc, v2, v1, vcc
	global_load_dwordx4 v[0:3], v[0:1], off
	s_mul_i32 s25, s22, 15
	s_mul_i32 s26, s22, 14
	s_lshl_b32 s27, s22, 1
	v_add_u32_e32 v41, s22, v40
	v_add_u32_e32 v42, s23, v40
	v_mov_b32_e32 v26, 0
	s_mov_b64 s[18:19], 0
	v_mov_b32_e32 v43, s7
	v_mov_b32_e32 v39, 0
	s_branch .LBB311_5
.LBB311_3:                              ;   in Loop: Header=BB311_5 Depth=1
	s_or_b64 exec, exec, s[4:5]
	v_fma_f64 v[0:1], v[6:7], v[8:9], v[30:31]
	v_fma_f64 v[2:3], v[4:5], v[8:9], v[28:29]
	v_mul_f64 v[4:5], v[16:17], -v[0:1]
	v_mul_f64 v[6:7], v[16:17], v[2:3]
	v_fma_f64 v[2:3], v[2:3], v[10:11], v[4:5]
	v_fma_f64 v[4:5], v[0:1], v[10:11], v[6:7]
	v_mov_b32_e32 v10, s22
	v_add_f64 v[0:1], v[12:13], -v[2:3]
	v_add_f64 v[2:3], v[14:15], -v[4:5]
.LBB311_4:                              ;   in Loop: Header=BB311_5 Depth=1
	s_or_b64 exec, exec, s[2:3]
	v_add_u32_e32 v39, v10, v39
	v_cmp_le_i32_e32 vcc, s24, v39
	s_or_b64 s[18:19], vcc, s[18:19]
	s_andn2_b64 exec, exec, s[18:19]
	s_cbranch_execz .LBB311_20
.LBB311_5:                              ; =>This Inner Loop Header: Depth=1
	v_add_u32_e32 v27, v39, v24
	v_ashrrev_i32_e32 v28, 31, v27
	v_lshlrev_b64 v[4:5], 4, v[27:28]
	v_mov_b32_e32 v12, 0
	v_add_co_u32_e32 v4, vcc, s6, v4
	v_addc_co_u32_e32 v5, vcc, v43, v5, vcc
	global_load_dwordx4 v[8:11], v[4:5], off
	v_mov_b32_e32 v4, 0
	v_mov_b32_e32 v6, 0
	v_cmp_gt_u32_e64 s[0:1], s25, v39
	v_mov_b32_e32 v13, 0
	v_mov_b32_e32 v5, 0
	;; [unrolled: 1-line block ×3, first 2 shown]
	v_add_u32_e32 v22, v40, v39
	s_and_saveexec_b64 s[2:3], s[0:1]
	s_cbranch_execz .LBB311_7
; %bb.6:                                ;   in Loop: Header=BB311_5 Depth=1
	v_ashrrev_i32_e32 v23, 31, v22
	v_lshlrev_b64 v[4:5], 4, v[22:23]
	v_mov_b32_e32 v6, s13
	v_add_co_u32_e32 v4, vcc, s12, v4
	v_addc_co_u32_e32 v5, vcc, v6, v5, vcc
	global_load_dwordx4 v[4:7], v[4:5], off
.LBB311_7:                              ;   in Loop: Header=BB311_5 Depth=1
	s_or_b64 exec, exec, s[2:3]
	v_mov_b32_e32 v14, 0
	v_mov_b32_e32 v15, 0
	s_and_saveexec_b64 s[2:3], s[0:1]
	s_cbranch_execz .LBB311_9
; %bb.8:                                ;   in Loop: Header=BB311_5 Depth=1
	v_ashrrev_i32_e32 v23, 31, v22
	v_lshlrev_b64 v[12:13], 4, v[22:23]
	v_mov_b32_e32 v14, s15
	v_add_co_u32_e32 v12, vcc, s14, v12
	v_addc_co_u32_e32 v13, vcc, v14, v13, vcc
	global_load_dwordx4 v[12:15], v[12:13], off
.LBB311_9:                              ;   in Loop: Header=BB311_5 Depth=1
	s_or_b64 exec, exec, s[2:3]
	v_mov_b32_e32 v20, 0
	v_mov_b32_e32 v16, 0
	;; [unrolled: 1-line block ×6, first 2 shown]
	s_and_saveexec_b64 s[2:3], s[0:1]
	s_cbranch_execz .LBB311_11
; %bb.10:                               ;   in Loop: Header=BB311_5 Depth=1
	v_ashrrev_i32_e32 v23, 31, v22
	v_lshlrev_b64 v[16:17], 4, v[22:23]
	v_mov_b32_e32 v18, s7
	v_add_co_u32_e32 v16, vcc, s6, v16
	v_addc_co_u32_e32 v17, vcc, v18, v17, vcc
	global_load_dwordx4 v[16:19], v[16:17], off
.LBB311_11:                             ;   in Loop: Header=BB311_5 Depth=1
	s_or_b64 exec, exec, s[2:3]
	v_mov_b32_e32 v22, 0
	v_mov_b32_e32 v23, 0
	v_cmp_gt_u32_e64 s[2:3], s26, v39
	s_and_saveexec_b64 s[4:5], s[2:3]
	s_cbranch_execz .LBB311_13
; %bb.12:                               ;   in Loop: Header=BB311_5 Depth=1
	v_add_u32_e32 v20, v41, v39
	v_ashrrev_i32_e32 v21, 31, v20
	v_lshlrev_b64 v[20:21], 4, v[20:21]
	v_mov_b32_e32 v22, s13
	v_add_co_u32_e32 v20, vcc, s12, v20
	v_addc_co_u32_e32 v21, vcc, v22, v21, vcc
	global_load_dwordx4 v[20:23], v[20:21], off
.LBB311_13:                             ;   in Loop: Header=BB311_5 Depth=1
	s_or_b64 exec, exec, s[4:5]
	v_lshlrev_b64 v[28:29], 2, v[27:28]
	v_mov_b32_e32 v25, s17
	v_add_co_u32_e32 v28, vcc, s16, v28
	v_addc_co_u32_e32 v29, vcc, v25, v29, vcc
	global_load_dword v25, v[28:29], off
	s_waitcnt vmcnt(1)
	v_mul_f64 v[28:29], v[10:11], -v[6:7]
	v_mul_f64 v[30:31], v[10:11], v[4:5]
	v_cmp_ne_u32_e32 vcc, s25, v39
	s_waitcnt vmcnt(0)
	v_cmp_ne_u32_e64 s[4:5], 1, v25
	s_and_b64 s[4:5], vcc, s[4:5]
	v_add_u32_e32 v25, s23, v27
	s_and_saveexec_b64 s[20:21], s[4:5]
	s_xor_b64 s[20:21], exec, s[20:21]
	s_cbranch_execz .LBB311_17
; %bb.14:                               ;   in Loop: Header=BB311_5 Depth=1
	v_mul_f64 v[32:33], v[0:1], v[14:15]
	v_mul_f64 v[34:35], v[14:15], -v[2:3]
	v_fma_f64 v[30:31], v[6:7], v[8:9], v[30:31]
	v_fma_f64 v[27:28], v[4:5], v[8:9], v[28:29]
	v_lshlrev_b64 v[46:47], 4, v[25:26]
	v_add_u32_e32 v25, v42, v39
	v_mov_b32_e32 v51, s9
	v_fma_f64 v[32:33], v[2:3], v[12:13], v[32:33]
	v_fma_f64 v[34:35], v[0:1], v[12:13], v[34:35]
	v_add_f64 v[29:30], v[32:33], -v[30:31]
	v_add_f64 v[27:28], v[34:35], -v[27:28]
	v_mul_f64 v[31:32], v[29:30], v[29:30]
	v_fma_f64 v[31:32], v[27:28], v[27:28], v[31:32]
	v_div_scale_f64 v[37:38], s[4:5], v[31:32], v[31:32], 1.0
	v_div_scale_f64 v[44:45], vcc, 1.0, v[31:32], 1.0
	v_add_co_u32_e64 v50, s[4:5], s8, v46
	v_addc_co_u32_e64 v51, s[4:5], v51, v47, s[4:5]
	v_rcp_f64_e32 v[33:34], v[37:38]
	v_fma_f64 v[35:36], -v[37:38], v[33:34], 1.0
	v_fma_f64 v[33:34], v[33:34], v[35:36], v[33:34]
	v_fma_f64 v[35:36], -v[37:38], v[33:34], 1.0
	v_fma_f64 v[48:49], v[33:34], v[35:36], v[33:34]
	v_lshlrev_b64 v[33:34], 4, v[25:26]
	v_mov_b32_e32 v35, s9
	v_add_co_u32_e64 v54, s[4:5], s8, v33
	v_addc_co_u32_e64 v55, s[4:5], v35, v34, s[4:5]
	global_load_dwordx4 v[33:36], v[50:51], off
	v_mul_f64 v[52:53], v[44:45], v[48:49]
	v_fma_f64 v[37:38], -v[37:38], v[52:53], v[44:45]
	global_load_dwordx4 v[44:47], v[54:55], off
	v_div_fmas_f64 v[37:38], v[37:38], v[48:49], v[52:53]
	v_fma_f64 v[48:49], v[27:28], 0, -v[29:30]
	v_fma_f64 v[29:30], v[29:30], 0, v[27:28]
	v_div_fixup_f64 v[31:32], v[37:38], v[31:32], 1.0
	v_mul_f64 v[27:28], v[48:49], v[31:32]
	v_mul_f64 v[29:30], v[29:30], v[31:32]
	s_waitcnt vmcnt(1)
	v_mul_f64 v[31:32], v[27:28], v[33:34]
	v_mul_f64 v[48:49], v[27:28], -v[35:36]
	v_fma_f64 v[31:32], v[35:36], v[29:30], v[31:32]
	v_fma_f64 v[33:34], v[33:34], v[29:30], v[48:49]
	s_waitcnt vmcnt(0)
	v_mul_f64 v[37:38], v[27:28], v[44:45]
	v_mul_f64 v[52:53], v[27:28], -v[46:47]
	v_mul_f64 v[48:49], v[12:13], v[31:32]
	v_fma_f64 v[35:36], v[46:47], v[29:30], v[37:38]
	v_mul_f64 v[46:47], v[31:32], -v[14:15]
	v_fma_f64 v[37:38], v[44:45], v[29:30], v[52:53]
	v_fma_f64 v[14:15], v[14:15], v[33:34], v[48:49]
	v_mul_f64 v[48:49], v[31:32], -v[4:5]
	v_mul_f64 v[44:45], v[35:36], -v[10:11]
	v_mul_f64 v[52:53], v[8:9], v[35:36]
	v_fma_f64 v[12:13], v[12:13], v[33:34], v[46:47]
	v_mul_f64 v[46:47], v[6:7], v[31:32]
	v_fma_f64 v[48:49], -v[6:7], v[33:34], v[48:49]
	v_fma_f64 v[8:9], v[8:9], v[37:38], v[44:45]
	v_fma_f64 v[10:11], v[10:11], v[37:38], v[52:53]
	v_mul_f64 v[44:45], v[35:36], -v[2:3]
	v_mul_f64 v[52:53], v[0:1], v[35:36]
	v_fma_f64 v[46:47], -v[4:5], v[33:34], v[46:47]
	v_add_f64 v[12:13], v[12:13], -v[8:9]
	v_add_f64 v[14:15], v[14:15], -v[10:11]
	v_fma_f64 v[44:45], v[0:1], v[37:38], v[44:45]
	v_fma_f64 v[52:53], v[2:3], v[37:38], v[52:53]
	v_mov_b32_e32 v10, 0
	v_mov_b32_e32 v8, 0
	;; [unrolled: 1-line block ×4, first 2 shown]
	v_add_f64 v[44:45], v[46:47], v[44:45]
	v_add_f64 v[46:47], v[48:49], v[52:53]
	global_store_dwordx4 v[50:51], v[12:15], off
	global_store_dwordx4 v[54:55], v[44:47], off
	s_and_saveexec_b64 s[4:5], s[2:3]
	s_cbranch_execz .LBB311_16
; %bb.15:                               ;   in Loop: Header=BB311_5 Depth=1
	v_add_u32_e32 v12, v41, v39
	v_add_u32_e32 v25, s23, v12
	v_lshlrev_b64 v[8:9], 4, v[25:26]
	v_ashrrev_i32_e32 v13, 31, v12
	v_mov_b32_e32 v10, s9
	v_add_co_u32_e32 v44, vcc, s8, v8
	v_lshlrev_b64 v[12:13], 4, v[12:13]
	v_addc_co_u32_e32 v45, vcc, v10, v9, vcc
	v_mov_b32_e32 v14, s15
	v_add_co_u32_e32 v12, vcc, s14, v12
	v_addc_co_u32_e32 v13, vcc, v14, v13, vcc
	global_load_dwordx4 v[8:11], v[44:45], off
	v_mul_f64 v[46:47], v[2:3], -v[22:23]
	global_load_dwordx4 v[12:15], v[12:13], off
	v_mul_f64 v[48:49], v[2:3], v[20:21]
	v_mul_f64 v[50:51], v[22:23], -v[4:5]
	v_mul_f64 v[52:53], v[6:7], v[22:23]
	v_mul_f64 v[54:55], v[0:1], v[22:23]
	v_mul_f64 v[56:57], v[22:23], -v[2:3]
	v_fma_f64 v[46:47], v[20:21], v[0:1], v[46:47]
	v_fma_f64 v[22:23], v[22:23], v[0:1], v[48:49]
	v_fma_f64 v[6:7], -v[6:7], v[20:21], v[50:51]
	v_fma_f64 v[4:5], -v[4:5], v[20:21], v[52:53]
	v_fma_f64 v[2:3], v[2:3], v[20:21], v[54:55]
	v_fma_f64 v[0:1], v[0:1], v[20:21], v[56:57]
	v_mul_f64 v[20:21], v[18:19], v[46:47]
	v_mul_f64 v[18:19], v[18:19], -v[22:23]
	v_mul_f64 v[48:49], v[6:7], v[31:32]
	v_mul_f64 v[31:32], v[31:32], -v[4:5]
	v_mul_f64 v[50:51], v[35:36], -v[2:3]
	v_mul_f64 v[35:36], v[0:1], v[35:36]
	v_fma_f64 v[20:21], v[22:23], v[16:17], v[20:21]
	v_fma_f64 v[16:17], v[46:47], v[16:17], v[18:19]
	v_fma_f64 v[4:5], -v[4:5], v[33:34], v[48:49]
	v_fma_f64 v[6:7], -v[6:7], v[33:34], v[31:32]
	v_fma_f64 v[0:1], v[0:1], v[37:38], v[50:51]
	v_fma_f64 v[2:3], v[2:3], v[37:38], v[35:36]
	v_mul_f64 v[18:19], v[27:28], -v[20:21]
	v_mul_f64 v[22:23], v[27:28], v[16:17]
	v_add_f64 v[0:1], v[4:5], -v[0:1]
	v_add_f64 v[2:3], v[6:7], -v[2:3]
	v_fma_f64 v[4:5], v[16:17], v[29:30], v[18:19]
	v_fma_f64 v[6:7], v[20:21], v[29:30], v[22:23]
	s_waitcnt vmcnt(1)
	v_add_f64 v[0:1], v[0:1], v[8:9]
	v_add_f64 v[2:3], v[2:3], v[10:11]
	s_waitcnt vmcnt(0)
	v_add_f64 v[8:9], v[12:13], -v[4:5]
	v_add_f64 v[10:11], v[14:15], -v[6:7]
	global_store_dwordx4 v[44:45], v[0:3], off
.LBB311_16:                             ;   in Loop: Header=BB311_5 Depth=1
	s_or_b64 exec, exec, s[4:5]
	v_mov_b32_e32 v2, v10
	v_mov_b32_e32 v0, v8
	;; [unrolled: 1-line block ×4, first 2 shown]
                                        ; implicit-def: $vgpr4_vgpr5
                                        ; implicit-def: $vgpr12_vgpr13
                                        ; implicit-def: $vgpr8_vgpr9
                                        ; implicit-def: $vgpr28_vgpr29
                                        ; implicit-def: $vgpr30_vgpr31
.LBB311_17:                             ;   in Loop: Header=BB311_5 Depth=1
	s_or_saveexec_b64 s[2:3], s[20:21]
	v_mov_b32_e32 v10, s27
	s_xor_b64 exec, exec, s[2:3]
	s_cbranch_execz .LBB311_4
; %bb.18:                               ;   in Loop: Header=BB311_5 Depth=1
	v_mul_f64 v[10:11], v[2:3], v[2:3]
	v_lshlrev_b64 v[18:19], 4, v[25:26]
	v_mov_b32_e32 v20, s9
	v_add_co_u32_e32 v32, vcc, s8, v18
	v_addc_co_u32_e32 v33, vcc, v20, v19, vcc
	global_load_dwordx4 v[18:21], v[32:33], off
	v_fma_f64 v[10:11], v[0:1], v[0:1], v[10:11]
	v_div_scale_f64 v[16:17], s[4:5], v[10:11], v[10:11], 1.0
	v_rcp_f64_e32 v[22:23], v[16:17]
	v_fma_f64 v[34:35], -v[16:17], v[22:23], 1.0
	v_fma_f64 v[22:23], v[22:23], v[34:35], v[22:23]
	v_div_scale_f64 v[34:35], vcc, 1.0, v[10:11], 1.0
	v_fma_f64 v[36:37], -v[16:17], v[22:23], 1.0
	v_fma_f64 v[22:23], v[22:23], v[36:37], v[22:23]
	v_mul_f64 v[36:37], v[34:35], v[22:23]
	v_fma_f64 v[16:17], -v[16:17], v[36:37], v[34:35]
	v_div_fmas_f64 v[16:17], v[16:17], v[22:23], v[36:37]
	v_fma_f64 v[22:23], v[0:1], 0, -v[2:3]
	v_fma_f64 v[0:1], v[2:3], 0, v[0:1]
	v_div_fixup_f64 v[10:11], v[16:17], v[10:11], 1.0
	v_mul_f64 v[16:17], v[22:23], v[10:11]
	v_mul_f64 v[10:11], v[0:1], v[10:11]
	s_waitcnt vmcnt(0)
	v_mul_f64 v[0:1], v[16:17], -v[20:21]
	v_mul_f64 v[2:3], v[16:17], v[18:19]
	v_fma_f64 v[0:1], v[18:19], v[10:11], v[0:1]
	v_fma_f64 v[2:3], v[20:21], v[10:11], v[2:3]
	global_store_dwordx4 v[32:33], v[0:3], off
	s_and_saveexec_b64 s[4:5], s[0:1]
	s_cbranch_execz .LBB311_3
; %bb.19:                               ;   in Loop: Header=BB311_5 Depth=1
	v_add_u32_e32 v25, v42, v39
	v_lshlrev_b64 v[18:19], 4, v[25:26]
	v_mov_b32_e32 v20, s9
	v_add_co_u32_e32 v22, vcc, s8, v18
	v_addc_co_u32_e32 v23, vcc, v20, v19, vcc
	global_load_dwordx4 v[18:21], v[22:23], off
	s_waitcnt vmcnt(0)
	v_fma_f64 v[18:19], -v[4:5], v[0:1], v[18:19]
	v_fma_f64 v[20:21], -v[6:7], v[0:1], v[20:21]
	v_fma_f64 v[0:1], v[6:7], v[2:3], v[18:19]
	v_fma_f64 v[2:3], -v[4:5], v[2:3], v[20:21]
	global_store_dwordx4 v[22:23], v[0:3], off
	s_branch .LBB311_3
.LBB311_20:
	s_or_b64 exec, exec, s[18:19]
	s_branch .LBB311_22
.LBB311_21:
	v_mov_b32_e32 v39, 0
.LBB311_22:
	v_subrev_u32_e32 v2, s22, v39
	v_add_u32_e32 v0, v2, v24
	v_ashrrev_i32_e32 v1, 31, v0
	v_lshlrev_b64 v[0:1], 2, v[0:1]
	s_waitcnt lgkmcnt(0)
	v_mov_b32_e32 v3, s17
	v_add_co_u32_e32 v0, vcc, s16, v0
	v_addc_co_u32_e32 v1, vcc, v3, v1, vcc
	s_waitcnt vmcnt(0)
	buffer_wbinvl1_vol
	global_load_dword v0, v[0:1], off
	s_waitcnt vmcnt(0)
	v_mul_lo_u32 v0, v0, s22
	v_sub_u32_e32 v8, v2, v0
	v_cmp_lt_i32_e32 vcc, -1, v8
	s_and_b64 exec, exec, vcc
	s_cbranch_execz .LBB311_29
; %bb.23:
	s_add_i32 s0, s23, s22
	v_add_u32_e32 v9, s0, v24
	s_lshl_b32 s4, s22, 1
	s_mov_b64 s[0:1], 0
	v_mov_b32_e32 v10, s17
	v_mov_b32_e32 v11, s11
	;; [unrolled: 1-line block ×3, first 2 shown]
	s_branch .LBB311_25
.LBB311_24:                             ;   in Loop: Header=BB311_25 Depth=1
	s_or_b64 exec, exec, s[2:3]
	v_sub_u32_e32 v8, v8, v4
	v_cmp_gt_i32_e32 vcc, 0, v8
	s_or_b64 s[0:1], vcc, s[0:1]
	s_andn2_b64 exec, exec, s[0:1]
	s_cbranch_execz .LBB311_29
.LBB311_25:                             ; =>This Inner Loop Header: Depth=1
	v_add_u32_e32 v6, v8, v24
	v_ashrrev_i32_e32 v7, 31, v6
	s_waitcnt vmcnt(0)
	v_lshlrev_b64 v[0:1], 2, v[6:7]
	v_add_co_u32_e32 v0, vcc, s16, v0
	v_addc_co_u32_e32 v1, vcc, v10, v1, vcc
	global_load_dword v4, v[0:1], off
	v_lshlrev_b64 v[0:1], 4, v[6:7]
	v_add_co_u32_e32 v0, vcc, s10, v0
	v_addc_co_u32_e32 v1, vcc, v11, v1, vcc
	global_load_dwordx4 v[0:3], v[0:1], off
	s_waitcnt vmcnt(1)
	v_cmp_ne_u32_e32 vcc, 1, v4
	s_and_saveexec_b64 s[2:3], vcc
	s_xor_b64 s[2:3], exec, s[2:3]
	s_cbranch_execz .LBB311_27
; %bb.26:                               ;   in Loop: Header=BB311_25 Depth=1
	v_add_u32_e32 v4, v9, v8
	v_lshlrev_b64 v[12:13], 4, v[4:5]
	v_mov_b32_e32 v4, s9
	v_add_co_u32_e32 v20, vcc, s8, v12
	v_addc_co_u32_e32 v21, vcc, v4, v13, vcc
	v_add_u32_e32 v4, s23, v6
	v_lshlrev_b64 v[6:7], 4, v[4:5]
	v_mov_b32_e32 v4, s9
	v_add_co_u32_e32 v6, vcc, s8, v6
	v_addc_co_u32_e32 v7, vcc, v4, v7, vcc
	global_load_dwordx4 v[12:15], v[20:21], off
	global_load_dwordx4 v[16:19], v[6:7], off
	v_subrev_u32_e32 v4, s22, v8
	v_add_u32_e32 v20, v4, v24
	v_ashrrev_i32_e32 v21, 31, v20
	v_add_u32_e32 v4, s23, v20
	v_lshlrev_b64 v[20:21], 4, v[20:21]
	v_mov_b32_e32 v25, s11
	v_lshlrev_b64 v[22:23], 4, v[4:5]
	v_mov_b32_e32 v26, s9
	s_waitcnt vmcnt(0)
	v_fma_f64 v[16:17], -v[0:1], v[12:13], v[16:17]
	v_fma_f64 v[18:19], -v[2:3], v[12:13], v[18:19]
	v_fma_f64 v[16:17], v[2:3], v[14:15], v[16:17]
	v_fma_f64 v[18:19], -v[0:1], v[14:15], v[18:19]
	v_add_co_u32_e32 v0, vcc, s10, v20
	v_addc_co_u32_e32 v1, vcc, v25, v21, vcc
	v_add_co_u32_e32 v20, vcc, s8, v22
	v_addc_co_u32_e32 v21, vcc, v26, v23, vcc
	global_store_dwordx4 v[6:7], v[16:19], off
	global_load_dwordx4 v[0:3], v[0:1], off
	s_nop 0
	global_load_dwordx4 v[16:19], v[20:21], off
	s_waitcnt vmcnt(0)
	v_fma_f64 v[6:7], -v[0:1], v[12:13], v[16:17]
	v_fma_f64 v[16:17], -v[2:3], v[12:13], v[18:19]
	v_fma_f64 v[12:13], v[2:3], v[14:15], v[6:7]
	v_fma_f64 v[14:15], -v[0:1], v[14:15], v[16:17]
                                        ; implicit-def: $vgpr6
                                        ; implicit-def: $vgpr0_vgpr1
	global_store_dwordx4 v[20:21], v[12:15], off
.LBB311_27:                             ;   in Loop: Header=BB311_25 Depth=1
	s_or_saveexec_b64 s[2:3], s[2:3]
	v_mov_b32_e32 v4, s4
	s_xor_b64 exec, exec, s[2:3]
	s_cbranch_execz .LBB311_24
; %bb.28:                               ;   in Loop: Header=BB311_25 Depth=1
	v_add_u32_e32 v4, v9, v8
	v_lshlrev_b64 v[12:13], 4, v[4:5]
	v_mov_b32_e32 v4, s9
	v_add_co_u32_e32 v20, vcc, s8, v12
	v_addc_co_u32_e32 v21, vcc, v4, v13, vcc
	v_add_u32_e32 v4, s23, v6
	v_lshlrev_b64 v[6:7], 4, v[4:5]
	v_mov_b32_e32 v4, s9
	v_add_co_u32_e32 v6, vcc, s8, v6
	v_addc_co_u32_e32 v7, vcc, v4, v7, vcc
	global_load_dwordx4 v[12:15], v[20:21], off
	global_load_dwordx4 v[16:19], v[6:7], off
	v_mov_b32_e32 v4, s22
	s_waitcnt vmcnt(0)
	v_fma_f64 v[16:17], -v[0:1], v[12:13], v[16:17]
	v_fma_f64 v[18:19], -v[2:3], v[12:13], v[18:19]
	v_fma_f64 v[12:13], v[2:3], v[14:15], v[16:17]
	v_fma_f64 v[14:15], -v[0:1], v[14:15], v[18:19]
	global_store_dwordx4 v[6:7], v[12:15], off
	s_branch .LBB311_24
.LBB311_29:
	s_endpgm
	.section	.rodata,"a",@progbits
	.p2align	6, 0x0
	.amdhsa_kernel _ZN9rocsparseL19gtsv_LBM_rhs_kernelILj256ELj16ELj1E21rocsparse_complex_numIdEEEviiiPKT2_S5_S5_PS3_S5_PKi
		.amdhsa_group_segment_fixed_size 0
		.amdhsa_private_segment_fixed_size 0
		.amdhsa_kernarg_size 64
		.amdhsa_user_sgpr_count 6
		.amdhsa_user_sgpr_private_segment_buffer 1
		.amdhsa_user_sgpr_dispatch_ptr 0
		.amdhsa_user_sgpr_queue_ptr 0
		.amdhsa_user_sgpr_kernarg_segment_ptr 1
		.amdhsa_user_sgpr_dispatch_id 0
		.amdhsa_user_sgpr_flat_scratch_init 0
		.amdhsa_user_sgpr_private_segment_size 0
		.amdhsa_uses_dynamic_stack 0
		.amdhsa_system_sgpr_private_segment_wavefront_offset 0
		.amdhsa_system_sgpr_workgroup_id_x 1
		.amdhsa_system_sgpr_workgroup_id_y 1
		.amdhsa_system_sgpr_workgroup_id_z 0
		.amdhsa_system_sgpr_workgroup_info 0
		.amdhsa_system_vgpr_workitem_id 0
		.amdhsa_next_free_vgpr 58
		.amdhsa_next_free_sgpr 28
		.amdhsa_reserve_vcc 1
		.amdhsa_reserve_flat_scratch 0
		.amdhsa_float_round_mode_32 0
		.amdhsa_float_round_mode_16_64 0
		.amdhsa_float_denorm_mode_32 3
		.amdhsa_float_denorm_mode_16_64 3
		.amdhsa_dx10_clamp 1
		.amdhsa_ieee_mode 1
		.amdhsa_fp16_overflow 0
		.amdhsa_exception_fp_ieee_invalid_op 0
		.amdhsa_exception_fp_denorm_src 0
		.amdhsa_exception_fp_ieee_div_zero 0
		.amdhsa_exception_fp_ieee_overflow 0
		.amdhsa_exception_fp_ieee_underflow 0
		.amdhsa_exception_fp_ieee_inexact 0
		.amdhsa_exception_int_div_zero 0
	.end_amdhsa_kernel
	.section	.text._ZN9rocsparseL19gtsv_LBM_rhs_kernelILj256ELj16ELj1E21rocsparse_complex_numIdEEEviiiPKT2_S5_S5_PS3_S5_PKi,"axG",@progbits,_ZN9rocsparseL19gtsv_LBM_rhs_kernelILj256ELj16ELj1E21rocsparse_complex_numIdEEEviiiPKT2_S5_S5_PS3_S5_PKi,comdat
.Lfunc_end311:
	.size	_ZN9rocsparseL19gtsv_LBM_rhs_kernelILj256ELj16ELj1E21rocsparse_complex_numIdEEEviiiPKT2_S5_S5_PS3_S5_PKi, .Lfunc_end311-_ZN9rocsparseL19gtsv_LBM_rhs_kernelILj256ELj16ELj1E21rocsparse_complex_numIdEEEviiiPKT2_S5_S5_PS3_S5_PKi
                                        ; -- End function
	.set _ZN9rocsparseL19gtsv_LBM_rhs_kernelILj256ELj16ELj1E21rocsparse_complex_numIdEEEviiiPKT2_S5_S5_PS3_S5_PKi.num_vgpr, 58
	.set _ZN9rocsparseL19gtsv_LBM_rhs_kernelILj256ELj16ELj1E21rocsparse_complex_numIdEEEviiiPKT2_S5_S5_PS3_S5_PKi.num_agpr, 0
	.set _ZN9rocsparseL19gtsv_LBM_rhs_kernelILj256ELj16ELj1E21rocsparse_complex_numIdEEEviiiPKT2_S5_S5_PS3_S5_PKi.numbered_sgpr, 28
	.set _ZN9rocsparseL19gtsv_LBM_rhs_kernelILj256ELj16ELj1E21rocsparse_complex_numIdEEEviiiPKT2_S5_S5_PS3_S5_PKi.num_named_barrier, 0
	.set _ZN9rocsparseL19gtsv_LBM_rhs_kernelILj256ELj16ELj1E21rocsparse_complex_numIdEEEviiiPKT2_S5_S5_PS3_S5_PKi.private_seg_size, 0
	.set _ZN9rocsparseL19gtsv_LBM_rhs_kernelILj256ELj16ELj1E21rocsparse_complex_numIdEEEviiiPKT2_S5_S5_PS3_S5_PKi.uses_vcc, 1
	.set _ZN9rocsparseL19gtsv_LBM_rhs_kernelILj256ELj16ELj1E21rocsparse_complex_numIdEEEviiiPKT2_S5_S5_PS3_S5_PKi.uses_flat_scratch, 0
	.set _ZN9rocsparseL19gtsv_LBM_rhs_kernelILj256ELj16ELj1E21rocsparse_complex_numIdEEEviiiPKT2_S5_S5_PS3_S5_PKi.has_dyn_sized_stack, 0
	.set _ZN9rocsparseL19gtsv_LBM_rhs_kernelILj256ELj16ELj1E21rocsparse_complex_numIdEEEviiiPKT2_S5_S5_PS3_S5_PKi.has_recursion, 0
	.set _ZN9rocsparseL19gtsv_LBM_rhs_kernelILj256ELj16ELj1E21rocsparse_complex_numIdEEEviiiPKT2_S5_S5_PS3_S5_PKi.has_indirect_call, 0
	.section	.AMDGPU.csdata,"",@progbits
; Kernel info:
; codeLenInByte = 2460
; TotalNumSgprs: 32
; NumVgprs: 58
; ScratchSize: 0
; MemoryBound: 1
; FloatMode: 240
; IeeeMode: 1
; LDSByteSize: 0 bytes/workgroup (compile time only)
; SGPRBlocks: 3
; VGPRBlocks: 14
; NumSGPRsForWavesPerEU: 32
; NumVGPRsForWavesPerEU: 58
; Occupancy: 4
; WaveLimiterHint : 0
; COMPUTE_PGM_RSRC2:SCRATCH_EN: 0
; COMPUTE_PGM_RSRC2:USER_SGPR: 6
; COMPUTE_PGM_RSRC2:TRAP_HANDLER: 0
; COMPUTE_PGM_RSRC2:TGID_X_EN: 1
; COMPUTE_PGM_RSRC2:TGID_Y_EN: 1
; COMPUTE_PGM_RSRC2:TGID_Z_EN: 0
; COMPUTE_PGM_RSRC2:TIDIG_COMP_CNT: 0
	.section	.text._ZN9rocsparseL29gtsv_spike_block_level_kernelILj256ELj16E21rocsparse_complex_numIdEEEviiiPT1_PKS3_S6_S4_S4_S4_S4_S4_,"axG",@progbits,_ZN9rocsparseL29gtsv_spike_block_level_kernelILj256ELj16E21rocsparse_complex_numIdEEEviiiPT1_PKS3_S6_S4_S4_S4_S4_S4_,comdat
	.globl	_ZN9rocsparseL29gtsv_spike_block_level_kernelILj256ELj16E21rocsparse_complex_numIdEEEviiiPT1_PKS3_S6_S4_S4_S4_S4_S4_ ; -- Begin function _ZN9rocsparseL29gtsv_spike_block_level_kernelILj256ELj16E21rocsparse_complex_numIdEEEviiiPT1_PKS3_S6_S4_S4_S4_S4_S4_
	.p2align	8
	.type	_ZN9rocsparseL29gtsv_spike_block_level_kernelILj256ELj16E21rocsparse_complex_numIdEEEviiiPT1_PKS3_S6_S4_S4_S4_S4_S4_,@function
_ZN9rocsparseL29gtsv_spike_block_level_kernelILj256ELj16E21rocsparse_complex_numIdEEEviiiPT1_PKS3_S6_S4_S4_S4_S4_S4_: ; @_ZN9rocsparseL29gtsv_spike_block_level_kernelILj256ELj16E21rocsparse_complex_numIdEEEviiiPT1_PKS3_S6_S4_S4_S4_S4_S4_
; %bb.0:
	s_load_dword s12, s[4:5], 0x0
	s_load_dwordx2 s[8:9], s[4:5], 0x18
	v_lshl_or_b32 v13, s6, 8, v0
	v_mov_b32_e32 v1, 0
	v_mov_b32_e32 v5, 0
	s_waitcnt lgkmcnt(0)
	s_lshr_b32 s20, s12, 4
	v_mov_b32_e32 v7, 0
	v_mov_b32_e32 v2, 0
	;; [unrolled: 1-line block ×4, first 2 shown]
	v_cmp_gt_i32_e64 s[0:1], s20, v13
	s_and_saveexec_b64 s[2:3], s[0:1]
	s_cbranch_execz .LBB312_2
; %bb.1:
	v_ashrrev_i32_e32 v14, 31, v13
	v_lshlrev_b64 v[3:4], 4, v[13:14]
	v_mov_b32_e32 v5, s9
	v_add_co_u32_e32 v3, vcc, s8, v3
	v_addc_co_u32_e32 v4, vcc, v5, v4, vcc
	global_load_dwordx4 v[5:8], v[3:4], off
.LBB312_2:
	s_or_b64 exec, exec, s[2:3]
	s_load_dwordx2 s[2:3], s[4:5], 0x20
	v_lshlrev_b32_e32 v15, 4, v0
	v_mov_b32_e32 v3, 0
	v_or_b32_e32 v16, 0x2000, v15
	v_mov_b32_e32 v4, 0
	s_waitcnt vmcnt(0)
	ds_write_b128 v15, v[5:8] offset:8192
	s_and_saveexec_b64 s[10:11], s[0:1]
	s_cbranch_execz .LBB312_4
; %bb.3:
	v_mad_u64_u32 v[1:2], s[14:15], s20, 15, v[13:14]
	v_mov_b32_e32 v2, 0
	v_mov_b32_e32 v3, s9
	v_lshlrev_b64 v[1:2], 4, v[1:2]
	v_add_co_u32_e32 v1, vcc, s8, v1
	v_addc_co_u32_e32 v2, vcc, v3, v2, vcc
	global_load_dwordx4 v[1:4], v[1:2], off
.LBB312_4:
	s_or_b64 exec, exec, s[10:11]
	v_mov_b32_e32 v5, 0
	v_mov_b32_e32 v9, 0
	;; [unrolled: 1-line block ×6, first 2 shown]
	s_waitcnt vmcnt(0)
	ds_write_b128 v16, v[1:4] offset:4096
	s_and_saveexec_b64 s[8:9], s[0:1]
	s_cbranch_execz .LBB312_6
; %bb.5:
	v_ashrrev_i32_e32 v14, 31, v13
	v_lshlrev_b64 v[1:2], 4, v[13:14]
	s_waitcnt lgkmcnt(0)
	v_mov_b32_e32 v3, s3
	v_add_co_u32_e32 v1, vcc, s2, v1
	v_addc_co_u32_e32 v2, vcc, v3, v2, vcc
	global_load_dwordx4 v[9:12], v[1:2], off
.LBB312_6:
	s_or_b64 exec, exec, s[8:9]
	s_load_dwordx2 s[16:17], s[4:5], 0x10
	v_mov_b32_e32 v7, 0
	v_mov_b32_e32 v8, 0
	s_waitcnt vmcnt(0)
	ds_write_b128 v15, v[9:12]
	s_and_saveexec_b64 s[8:9], s[0:1]
	s_cbranch_execz .LBB312_8
; %bb.7:
	v_mad_u64_u32 v[1:2], s[10:11], s20, 15, v[13:14]
	v_mov_b32_e32 v2, 0
	s_waitcnt lgkmcnt(0)
	v_mov_b32_e32 v3, s3
	v_lshlrev_b64 v[1:2], 4, v[1:2]
	v_add_co_u32_e32 v1, vcc, s2, v1
	v_addc_co_u32_e32 v2, vcc, v3, v2, vcc
	global_load_dwordx4 v[5:8], v[1:2], off
.LBB312_8:
	s_or_b64 exec, exec, s[8:9]
	s_waitcnt vmcnt(0)
	ds_write_b128 v15, v[5:8] offset:4096
	v_mov_b32_e32 v1, 0
	s_mul_i32 s22, s12, s7
	v_mov_b32_e32 v3, 0
	v_mov_b32_e32 v5, 0
	;; [unrolled: 1-line block ×5, first 2 shown]
	v_add_u32_e32 v7, s22, v13
	s_waitcnt lgkmcnt(0)
	s_and_saveexec_b64 s[2:3], s[0:1]
	s_cbranch_execz .LBB312_10
; %bb.9:
	v_ashrrev_i32_e32 v8, 31, v7
	v_lshlrev_b64 v[3:4], 4, v[7:8]
	v_mov_b32_e32 v5, s17
	v_add_co_u32_e32 v3, vcc, s16, v3
	v_addc_co_u32_e32 v4, vcc, v5, v4, vcc
	global_load_dwordx4 v[3:6], v[3:4], off
.LBB312_10:
	s_or_b64 exec, exec, s[2:3]
	s_load_dwordx2 s[2:3], s[4:5], 0x48
	s_load_dwordx8 s[8:15], s[4:5], 0x28
	s_waitcnt vmcnt(0)
	ds_write_b128 v15, v[3:6] offset:16384
	v_mov_b32_e32 v3, 0
	v_or_b32_e32 v9, 0x4000, v15
	v_mov_b32_e32 v4, 0
	s_mul_i32 s21, s20, 15
	s_and_saveexec_b64 s[18:19], s[0:1]
	s_cbranch_execz .LBB312_12
; %bb.11:
	s_mul_i32 s23, s20, 15
	s_add_i32 s23, s23, s22
	v_add_u32_e32 v1, s23, v13
	v_mov_b32_e32 v2, 0
	v_lshlrev_b64 v[1:2], 4, v[1:2]
	v_mov_b32_e32 v3, s17
	v_add_co_u32_e32 v1, vcc, s16, v1
	v_addc_co_u32_e32 v2, vcc, v3, v2, vcc
	global_load_dwordx4 v[1:4], v[1:2], off
.LBB312_12:
	s_or_b64 exec, exec, s[18:19]
	v_add_u32_e32 v8, 0x1000, v16
	v_or_b32_e32 v6, 0x1000, v15
	v_add_u32_e32 v5, 0x1000, v9
	s_mov_b32 s22, 2
	s_waitcnt vmcnt(0)
	ds_write_b128 v9, v[1:4] offset:4096
	s_waitcnt lgkmcnt(0)
	s_barrier
	s_branch .LBB312_14
.LBB312_13:                             ;   in Loop: Header=BB312_14 Depth=1
	s_or_b64 exec, exec, s[18:19]
	s_lshl_b32 s18, s22, 1
	s_cmpk_lt_u32 s22, 0x81
	s_mov_b32 s22, s18
	s_waitcnt lgkmcnt(0)
	s_barrier
	s_cbranch_scc0 .LBB312_16
.LBB312_14:                             ; =>This Inner Loop Header: Depth=1
	s_ff1_i32_b32 s18, s22
	s_lshr_b32 s18, 0x100, s18
	v_cmp_gt_u32_e32 vcc, s18, v0
	s_and_saveexec_b64 s[18:19], vcc
	s_cbranch_execz .LBB312_13
; %bb.15:                               ;   in Loop: Header=BB312_14 Depth=1
	v_mul_lo_u32 v12, s22, v0
	s_lshr_b32 s23, s22, 1
	v_add_u32_e32 v14, s23, v12
	v_lshlrev_b32_e32 v63, 4, v14
	ds_read_b128 v[1:4], v63 offset:8192
	ds_read_b128 v[17:20], v63 offset:4080
	ds_read_b128 v[21:24], v63
	ds_read_b128 v[25:28], v63 offset:12272
	v_add_lshl_u32 v14, v14, s23, 4
	v_lshlrev_b32_e32 v12, 4, v12
	s_waitcnt lgkmcnt(2)
	v_mul_f64 v[10:11], v[19:20], v[1:2]
	v_mul_f64 v[29:30], v[19:20], -v[3:4]
	s_waitcnt lgkmcnt(1)
	v_mul_f64 v[55:56], v[23:24], -v[19:20]
	v_mul_f64 v[57:58], v[17:18], v[23:24]
	s_waitcnt lgkmcnt(0)
	v_mul_f64 v[59:60], v[3:4], -v[27:28]
	v_fma_f64 v[10:11], v[3:4], v[17:18], v[10:11]
	v_fma_f64 v[29:30], v[1:2], v[17:18], v[29:30]
	v_add_f64 v[10:11], -v[10:11], 0
	v_add_f64 v[41:42], -v[29:30], 1.0
	v_mul_f64 v[29:30], v[10:11], v[10:11]
	v_fma_f64 v[61:62], v[41:42], 0, -v[10:11]
	v_fma_f64 v[10:11], v[10:11], 0, v[41:42]
	v_fma_f64 v[43:44], v[41:42], v[41:42], v[29:30]
	;; [unrolled: 1-line block ×3, first 2 shown]
	v_div_scale_f64 v[29:30], s[24:25], v[43:44], v[43:44], 1.0
	v_rcp_f64_e32 v[31:32], v[29:30]
	v_fma_f64 v[33:34], -v[29:30], v[31:32], 1.0
	v_fma_f64 v[31:32], v[31:32], v[33:34], v[31:32]
	v_div_scale_f64 v[33:34], vcc, 1.0, v[43:44], 1.0
	v_fma_f64 v[35:36], -v[29:30], v[31:32], 1.0
	v_fma_f64 v[31:32], v[31:32], v[35:36], v[31:32]
	v_mul_f64 v[35:36], v[33:34], v[31:32]
	v_fma_f64 v[29:30], -v[29:30], v[35:36], v[33:34]
	v_div_fmas_f64 v[45:46], v[29:30], v[31:32], v[35:36]
	ds_read_b128 v[29:32], v63 offset:16384
	ds_read_b128 v[33:36], v63 offset:20464
	;; [unrolled: 1-line block ×3, first 2 shown]
	s_waitcnt lgkmcnt(2)
	v_mul_f64 v[47:48], v[17:18], v[31:32]
	v_mul_f64 v[49:50], v[31:32], -v[19:20]
	s_waitcnt lgkmcnt(1)
	v_mul_f64 v[51:52], v[3:4], -v[35:36]
	v_mul_f64 v[53:54], v[3:4], v[33:34]
	v_mul_f64 v[3:4], v[3:4], v[25:26]
	v_fma_f64 v[47:48], v[19:20], v[29:30], v[47:48]
	v_fma_f64 v[19:20], v[19:20], v[21:22], v[57:58]
	;; [unrolled: 1-line block ×3, first 2 shown]
	v_div_fixup_f64 v[43:44], v[45:46], v[43:44], 1.0
	v_fma_f64 v[45:46], v[17:18], v[29:30], v[49:50]
	v_fma_f64 v[49:50], v[35:36], v[1:2], v[53:54]
	;; [unrolled: 1-line block ×3, first 2 shown]
	v_add_f64 v[17:18], v[35:36], -v[47:48]
	v_add_f64 v[47:48], v[29:30], -v[51:52]
	v_mul_f64 v[35:36], v[61:62], v[43:44]
	v_add_f64 v[33:34], v[33:34], -v[45:46]
	v_mul_f64 v[10:11], v[10:11], v[43:44]
	v_add_f64 v[45:46], v[31:32], -v[49:50]
	v_fma_f64 v[29:30], v[25:26], v[1:2], v[59:60]
	v_mul_f64 v[51:52], v[35:36], v[19:20]
	v_mul_f64 v[31:32], v[35:36], v[33:34]
	v_mul_f64 v[53:54], v[19:20], -v[10:11]
	v_mul_f64 v[19:20], v[35:36], v[3:4]
	v_mul_f64 v[55:56], v[3:4], -v[10:11]
	v_mul_f64 v[57:58], v[27:28], -v[35:36]
	v_mul_f64 v[27:28], v[10:11], v[27:28]
	v_mul_f64 v[1:2], v[35:36], -v[17:18]
	;; [unrolled: 3-line block ×3, first 2 shown]
	v_mul_f64 v[49:50], v[47:48], v[35:36]
	v_fma_f64 v[3:4], v[17:18], v[10:11], v[31:32]
	v_fma_f64 v[17:18], -v[10:11], v[29:30], v[19:20]
	v_fma_f64 v[19:20], -v[35:36], v[29:30], v[55:56]
	v_fma_f64 v[23:24], v[10:11], v[25:26], v[57:58]
	v_fma_f64 v[25:26], v[35:36], v[25:26], v[27:28]
	v_fma_f64 v[27:28], -v[10:11], v[41:42], v[51:52]
	v_fma_f64 v[29:30], -v[35:36], v[41:42], v[53:54]
	v_fma_f64 v[1:2], v[33:34], v[10:11], v[1:2]
	v_fma_f64 v[31:32], v[10:11], v[21:22], v[59:60]
	;; [unrolled: 1-line block ×5, first 2 shown]
	ds_write_b128 v63, v[17:20] offset:8192
	ds_write_b128 v63, v[23:26] offset:12272
	ds_read_b128 v[21:24], v12
	ds_read_b128 v[45:48], v12 offset:8192
	ds_write_b128 v63, v[27:30] offset:4080
	ds_write_b128 v63, v[31:34]
	ds_read_b128 v[25:28], v12
	ds_write_b128 v63, v[1:4] offset:20464
	ds_write_b128 v63, v[41:44] offset:16384
	s_waitcnt lgkmcnt(6)
	v_mul_f64 v[10:11], v[43:44], -v[23:24]
	v_mul_f64 v[29:30], v[43:44], v[21:22]
	ds_read_b128 v[1:4], v12 offset:16384
	s_waitcnt lgkmcnt(3)
	v_mul_f64 v[35:36], v[19:20], -v[27:28]
	v_mul_f64 v[19:20], v[19:20], v[25:26]
	v_mul_f64 v[43:44], v[33:34], v[27:28]
	v_mul_f64 v[33:34], v[33:34], -v[25:26]
	v_fma_f64 v[10:11], v[21:22], v[41:42], v[10:11]
	v_fma_f64 v[21:22], v[23:24], v[41:42], v[29:30]
	;; [unrolled: 1-line block ×4, first 2 shown]
	v_fma_f64 v[17:18], -v[25:26], v[31:32], v[43:44]
	v_fma_f64 v[19:20], -v[27:28], v[31:32], v[33:34]
	s_waitcnt lgkmcnt(0)
	v_add_f64 v[1:2], v[1:2], -v[10:11]
	v_add_f64 v[3:4], v[3:4], -v[21:22]
	ds_write_b128 v12, v[17:20]
	ds_write_b128 v12, v[1:4] offset:16384
	v_add_f64 v[21:22], v[45:46], -v[23:24]
	v_add_f64 v[23:24], v[47:48], -v[29:30]
	ds_read_b128 v[1:4], v63 offset:20464
	ds_read_b128 v[17:20], v63 offset:4080
	s_waitcnt lgkmcnt(1)
	v_mul_f64 v[10:11], v[3:4], -v[39:40]
	v_mul_f64 v[3:4], v[3:4], v[37:38]
	ds_write_b128 v12, v[21:24] offset:8192
	ds_read_b128 v[21:24], v14 offset:12272
	ds_read_b128 v[25:28], v14 offset:4080
	;; [unrolled: 1-line block ×4, first 2 shown]
	s_waitcnt lgkmcnt(3)
	v_mul_f64 v[41:42], v[23:24], -v[19:20]
	v_mul_f64 v[43:44], v[23:24], v[17:18]
	v_fma_f64 v[10:11], v[37:38], v[1:2], v[10:11]
	v_fma_f64 v[3:4], v[39:40], v[1:2], v[3:4]
	s_waitcnt lgkmcnt(1)
	v_mul_f64 v[45:46], v[23:24], v[31:32]
	v_mul_f64 v[31:32], v[31:32], -v[21:22]
	v_fma_f64 v[37:38], v[17:18], v[21:22], v[41:42]
	v_fma_f64 v[39:40], v[19:20], v[21:22], v[43:44]
	s_waitcnt lgkmcnt(0)
	v_add_f64 v[17:18], v[33:34], -v[10:11]
	v_add_f64 v[19:20], v[35:36], -v[3:4]
	v_fma_f64 v[1:2], -v[21:22], v[29:30], v[45:46]
	v_fma_f64 v[3:4], -v[23:24], v[29:30], v[31:32]
	v_add_f64 v[25:26], v[25:26], -v[37:38]
	v_add_f64 v[27:28], v[27:28], -v[39:40]
	ds_write_b128 v14, v[17:20] offset:20464
	ds_write_b128 v14, v[25:28] offset:4080
	;; [unrolled: 1-line block ×3, first 2 shown]
	s_branch .LBB312_13
.LBB312_16:
	s_and_saveexec_b64 s[18:19], s[0:1]
	s_cbranch_execnz .LBB312_19
; %bb.17:
	s_or_b64 exec, exec, s[18:19]
	v_cmp_eq_u32_e32 vcc, 0, v0
	s_and_saveexec_b64 s[0:1], vcc
	s_cbranch_execnz .LBB312_23
.LBB312_18:
	s_endpgm
.LBB312_19:
	s_cmp_eq_u32 s7, 0
	s_cbranch_scc1 .LBB312_27
; %bb.20:
	s_mul_i32 s20, s20, 15
	s_cbranch_execnz .LBB312_22
.LBB312_21:
	v_ashrrev_i32_e32 v14, 31, v13
	ds_read2_b64 v[1:4], v16 offset1:1
	v_lshlrev_b64 v[10:11], 4, v[13:14]
	v_mov_b32_e32 v12, s9
	v_add_co_u32_e32 v20, vcc, s8, v10
	v_addc_co_u32_e32 v21, vcc, v12, v11, vcc
	ds_read2_b64 v[16:19], v8 offset1:1
	s_waitcnt lgkmcnt(1)
	global_store_dwordx4 v[20:21], v[1:4], off
	v_mov_b32_e32 v8, s11
	v_add_u32_e32 v1, s21, v13
	v_mov_b32_e32 v2, 0
	v_lshlrev_b64 v[20:21], 4, v[1:2]
	v_mov_b32_e32 v2, s9
	v_add_co_u32_e32 v1, vcc, s8, v20
	v_addc_co_u32_e32 v2, vcc, v2, v21, vcc
	s_waitcnt lgkmcnt(0)
	global_store_dwordx4 v[1:2], v[16:19], off
	ds_read2_b64 v[1:4], v15 offset1:1
	v_add_co_u32_e32 v14, vcc, s10, v10
	v_addc_co_u32_e32 v15, vcc, v8, v11, vcc
	ds_read2_b64 v[10:13], v6 offset1:1
	s_waitcnt lgkmcnt(1)
	global_store_dwordx4 v[14:15], v[1:4], off
	s_mov_b32 s20, s21
	v_mov_b32_e32 v2, s11
	v_add_co_u32_e32 v1, vcc, s10, v20
	v_addc_co_u32_e32 v2, vcc, v2, v21, vcc
	s_waitcnt lgkmcnt(0)
	global_store_dwordx4 v[1:2], v[10:13], off
.LBB312_22:
	v_ashrrev_i32_e32 v8, 31, v7
	ds_read2_b64 v[1:4], v9 offset1:1
	v_lshlrev_b64 v[10:11], 4, v[7:8]
	v_mov_b32_e32 v6, s17
	v_add_co_u32_e32 v12, vcc, s16, v10
	v_addc_co_u32_e32 v13, vcc, v6, v11, vcc
	ds_read2_b64 v[8:11], v5 offset1:1
	s_waitcnt lgkmcnt(1)
	global_store_dwordx4 v[12:13], v[1:4], off
	s_nop 0
	v_add_u32_e32 v1, s20, v7
	v_mov_b32_e32 v2, 0
	v_lshlrev_b64 v[1:2], 4, v[1:2]
	v_mov_b32_e32 v3, s17
	v_add_co_u32_e32 v1, vcc, s16, v1
	v_addc_co_u32_e32 v2, vcc, v3, v2, vcc
	s_waitcnt lgkmcnt(0)
	global_store_dwordx4 v[1:2], v[8:11], off
	s_or_b64 exec, exec, s[18:19]
	v_cmp_eq_u32_e32 vcc, 0, v0
	s_and_saveexec_b64 s[0:1], vcc
	s_cbranch_execz .LBB312_18
.LBB312_23:
	s_cmp_eq_u32 s7, 0
	s_cbranch_scc1 .LBB312_28
; %bb.24:
	s_load_dword s8, s[4:5], 0x50
	s_cbranch_execnz .LBB312_26
.LBB312_25:
	v_mov_b32_e32 v8, 0
	ds_read_b128 v[0:3], v8 offset:8192
	ds_read_b128 v[4:7], v8 offset:16368
	s_waitcnt lgkmcnt(0)
	s_load_dword s8, s[4:5], 0x50
	s_mov_b32 s0, s7
	s_ashr_i32 s7, s6, 31
	s_lshl_b64 s[10:11], s[6:7], 4
	s_mov_b32 s7, s0
	s_add_u32 s0, s14, s10
	s_addc_u32 s1, s15, s11
	global_store_dwordx4 v8, v[0:3], s[0:1]
	s_waitcnt lgkmcnt(0)
	s_add_i32 s0, s8, s6
	s_mov_b32 s1, 0
	s_lshl_b64 s[0:1], s[0:1], 4
	s_add_u32 s4, s14, s0
	s_addc_u32 s5, s15, s1
	ds_read_b128 v[0:3], v8
	global_store_dwordx4 v8, v[4:7], s[4:5]
	ds_read_b128 v[4:7], v8 offset:8176
	s_add_u32 s4, s2, s10
	s_addc_u32 s5, s3, s11
	s_add_u32 s0, s2, s0
	s_addc_u32 s1, s3, s1
	s_waitcnt lgkmcnt(1)
	global_store_dwordx4 v8, v[0:3], s[4:5]
	s_waitcnt lgkmcnt(0)
	global_store_dwordx4 v8, v[4:7], s[0:1]
.LBB312_26:
	s_waitcnt lgkmcnt(0)
	s_mul_i32 s0, s8, s7
	s_lshl_b32 s0, s0, 1
	s_add_i32 s0, s0, s6
	s_mov_b32 s1, 0
	v_mov_b32_e32 v8, 0
	s_lshl_b64 s[2:3], s[0:1], 4
	ds_read_b128 v[0:3], v8 offset:16384
	ds_read_b128 v[4:7], v8 offset:24560
	s_add_u32 s2, s12, s2
	s_addc_u32 s3, s13, s3
	s_add_i32 s0, s0, s8
	s_lshl_b64 s[0:1], s[0:1], 4
	s_add_u32 s0, s12, s0
	s_addc_u32 s1, s13, s1
	s_waitcnt lgkmcnt(1)
	global_store_dwordx4 v8, v[0:3], s[2:3]
	s_waitcnt lgkmcnt(0)
	global_store_dwordx4 v8, v[4:7], s[0:1]
	s_endpgm
.LBB312_27:
                                        ; implicit-def: $sgpr20
	s_branch .LBB312_21
.LBB312_28:
                                        ; implicit-def: $sgpr8
	s_branch .LBB312_25
	.section	.rodata,"a",@progbits
	.p2align	6, 0x0
	.amdhsa_kernel _ZN9rocsparseL29gtsv_spike_block_level_kernelILj256ELj16E21rocsparse_complex_numIdEEEviiiPT1_PKS3_S6_S4_S4_S4_S4_S4_
		.amdhsa_group_segment_fixed_size 24576
		.amdhsa_private_segment_fixed_size 0
		.amdhsa_kernarg_size 336
		.amdhsa_user_sgpr_count 6
		.amdhsa_user_sgpr_private_segment_buffer 1
		.amdhsa_user_sgpr_dispatch_ptr 0
		.amdhsa_user_sgpr_queue_ptr 0
		.amdhsa_user_sgpr_kernarg_segment_ptr 1
		.amdhsa_user_sgpr_dispatch_id 0
		.amdhsa_user_sgpr_flat_scratch_init 0
		.amdhsa_user_sgpr_private_segment_size 0
		.amdhsa_uses_dynamic_stack 0
		.amdhsa_system_sgpr_private_segment_wavefront_offset 0
		.amdhsa_system_sgpr_workgroup_id_x 1
		.amdhsa_system_sgpr_workgroup_id_y 1
		.amdhsa_system_sgpr_workgroup_id_z 0
		.amdhsa_system_sgpr_workgroup_info 0
		.amdhsa_system_vgpr_workitem_id 0
		.amdhsa_next_free_vgpr 85
		.amdhsa_next_free_sgpr 98
		.amdhsa_reserve_vcc 1
		.amdhsa_reserve_flat_scratch 0
		.amdhsa_float_round_mode_32 0
		.amdhsa_float_round_mode_16_64 0
		.amdhsa_float_denorm_mode_32 3
		.amdhsa_float_denorm_mode_16_64 3
		.amdhsa_dx10_clamp 1
		.amdhsa_ieee_mode 1
		.amdhsa_fp16_overflow 0
		.amdhsa_exception_fp_ieee_invalid_op 0
		.amdhsa_exception_fp_denorm_src 0
		.amdhsa_exception_fp_ieee_div_zero 0
		.amdhsa_exception_fp_ieee_overflow 0
		.amdhsa_exception_fp_ieee_underflow 0
		.amdhsa_exception_fp_ieee_inexact 0
		.amdhsa_exception_int_div_zero 0
	.end_amdhsa_kernel
	.section	.text._ZN9rocsparseL29gtsv_spike_block_level_kernelILj256ELj16E21rocsparse_complex_numIdEEEviiiPT1_PKS3_S6_S4_S4_S4_S4_S4_,"axG",@progbits,_ZN9rocsparseL29gtsv_spike_block_level_kernelILj256ELj16E21rocsparse_complex_numIdEEEviiiPT1_PKS3_S6_S4_S4_S4_S4_S4_,comdat
.Lfunc_end312:
	.size	_ZN9rocsparseL29gtsv_spike_block_level_kernelILj256ELj16E21rocsparse_complex_numIdEEEviiiPT1_PKS3_S6_S4_S4_S4_S4_S4_, .Lfunc_end312-_ZN9rocsparseL29gtsv_spike_block_level_kernelILj256ELj16E21rocsparse_complex_numIdEEEviiiPT1_PKS3_S6_S4_S4_S4_S4_S4_
                                        ; -- End function
	.set _ZN9rocsparseL29gtsv_spike_block_level_kernelILj256ELj16E21rocsparse_complex_numIdEEEviiiPT1_PKS3_S6_S4_S4_S4_S4_S4_.num_vgpr, 64
	.set _ZN9rocsparseL29gtsv_spike_block_level_kernelILj256ELj16E21rocsparse_complex_numIdEEEviiiPT1_PKS3_S6_S4_S4_S4_S4_S4_.num_agpr, 0
	.set _ZN9rocsparseL29gtsv_spike_block_level_kernelILj256ELj16E21rocsparse_complex_numIdEEEviiiPT1_PKS3_S6_S4_S4_S4_S4_S4_.numbered_sgpr, 26
	.set _ZN9rocsparseL29gtsv_spike_block_level_kernelILj256ELj16E21rocsparse_complex_numIdEEEviiiPT1_PKS3_S6_S4_S4_S4_S4_S4_.num_named_barrier, 0
	.set _ZN9rocsparseL29gtsv_spike_block_level_kernelILj256ELj16E21rocsparse_complex_numIdEEEviiiPT1_PKS3_S6_S4_S4_S4_S4_S4_.private_seg_size, 0
	.set _ZN9rocsparseL29gtsv_spike_block_level_kernelILj256ELj16E21rocsparse_complex_numIdEEEviiiPT1_PKS3_S6_S4_S4_S4_S4_S4_.uses_vcc, 1
	.set _ZN9rocsparseL29gtsv_spike_block_level_kernelILj256ELj16E21rocsparse_complex_numIdEEEviiiPT1_PKS3_S6_S4_S4_S4_S4_S4_.uses_flat_scratch, 0
	.set _ZN9rocsparseL29gtsv_spike_block_level_kernelILj256ELj16E21rocsparse_complex_numIdEEEviiiPT1_PKS3_S6_S4_S4_S4_S4_S4_.has_dyn_sized_stack, 0
	.set _ZN9rocsparseL29gtsv_spike_block_level_kernelILj256ELj16E21rocsparse_complex_numIdEEEviiiPT1_PKS3_S6_S4_S4_S4_S4_S4_.has_recursion, 0
	.set _ZN9rocsparseL29gtsv_spike_block_level_kernelILj256ELj16E21rocsparse_complex_numIdEEEviiiPT1_PKS3_S6_S4_S4_S4_S4_S4_.has_indirect_call, 0
	.section	.AMDGPU.csdata,"",@progbits
; Kernel info:
; codeLenInByte = 2364
; TotalNumSgprs: 30
; NumVgprs: 64
; ScratchSize: 0
; MemoryBound: 1
; FloatMode: 240
; IeeeMode: 1
; LDSByteSize: 24576 bytes/workgroup (compile time only)
; SGPRBlocks: 12
; VGPRBlocks: 21
; NumSGPRsForWavesPerEU: 102
; NumVGPRsForWavesPerEU: 85
; Occupancy: 2
; WaveLimiterHint : 0
; COMPUTE_PGM_RSRC2:SCRATCH_EN: 0
; COMPUTE_PGM_RSRC2:USER_SGPR: 6
; COMPUTE_PGM_RSRC2:TRAP_HANDLER: 0
; COMPUTE_PGM_RSRC2:TGID_X_EN: 1
; COMPUTE_PGM_RSRC2:TGID_Y_EN: 1
; COMPUTE_PGM_RSRC2:TGID_Z_EN: 0
; COMPUTE_PGM_RSRC2:TIDIG_COMP_CNT: 0
	.section	.text._ZN9rocsparseL33gtsv_solve_spike_propagate_kernelILj256ELj16E21rocsparse_complex_numIdEEEviiiPT1_PKS3_S6_S6_,"axG",@progbits,_ZN9rocsparseL33gtsv_solve_spike_propagate_kernelILj256ELj16E21rocsparse_complex_numIdEEEviiiPT1_PKS3_S6_S6_,comdat
	.globl	_ZN9rocsparseL33gtsv_solve_spike_propagate_kernelILj256ELj16E21rocsparse_complex_numIdEEEviiiPT1_PKS3_S6_S6_ ; -- Begin function _ZN9rocsparseL33gtsv_solve_spike_propagate_kernelILj256ELj16E21rocsparse_complex_numIdEEEviiiPT1_PKS3_S6_S6_
	.p2align	8
	.type	_ZN9rocsparseL33gtsv_solve_spike_propagate_kernelILj256ELj16E21rocsparse_complex_numIdEEEviiiPT1_PKS3_S6_S6_,@function
_ZN9rocsparseL33gtsv_solve_spike_propagate_kernelILj256ELj16E21rocsparse_complex_numIdEEEviiiPT1_PKS3_S6_S6_: ; @_ZN9rocsparseL33gtsv_solve_spike_propagate_kernelILj256ELj16E21rocsparse_complex_numIdEEEviiiPT1_PKS3_S6_S6_
; %bb.0:
	s_load_dword s10, s[4:5], 0x0
	v_lshl_or_b32 v9, s6, 8, v0
	v_lshlrev_b32_e32 v11, 4, v0
	s_waitcnt lgkmcnt(0)
	s_lshr_b32 s20, s10, 4
	v_cmp_gt_i32_e32 vcc, s20, v9
	v_cmp_le_i32_e64 s[0:1], s20, v9
	s_and_saveexec_b64 s[2:3], s[0:1]
	s_xor_b64 s[2:3], exec, s[2:3]
; %bb.1:
	v_mov_b32_e32 v1, 0
	v_mov_b32_e32 v2, v1
	;; [unrolled: 1-line block ×4, first 2 shown]
	ds_write_b128 v11, v[1:4] offset:16416
; %bb.2:
	s_or_saveexec_b64 s[8:9], s[2:3]
	v_mov_b32_e32 v1, 0
	v_mov_b32_e32 v3, 0
	;; [unrolled: 1-line block ×4, first 2 shown]
	v_ashrrev_i32_e32 v10, 31, v9
	s_xor_b64 exec, exec, s[8:9]
	s_cbranch_execz .LBB313_4
; %bb.3:
	s_load_dwordx2 s[12:13], s[4:5], 0x18
	v_lshlrev_b64 v[1:2], 4, v[9:10]
	v_mad_u64_u32 v[3:4], s[2:3], s20, 15, v[9:10]
	s_waitcnt lgkmcnt(0)
	v_mov_b32_e32 v4, s13
	v_add_co_u32_e64 v12, s[2:3], s12, v1
	v_addc_co_u32_e64 v13, s[2:3], v4, v2, s[2:3]
	v_mov_b32_e32 v4, 0
	v_lshlrev_b64 v[1:2], 4, v[3:4]
	v_mov_b32_e32 v3, s13
	v_add_co_u32_e64 v14, s[2:3], s12, v1
	v_addc_co_u32_e64 v15, s[2:3], v3, v2, s[2:3]
	global_load_dwordx4 v[5:8], v[12:13], off
	global_load_dwordx4 v[1:4], v[14:15], off
	s_waitcnt vmcnt(1)
	ds_write_b128 v11, v[5:8] offset:16416
.LBB313_4:
	s_or_b64 exec, exec, s[8:9]
	s_waitcnt vmcnt(0)
	ds_write_b128 v11, v[1:4] offset:20512
	s_and_saveexec_b64 s[2:3], s[0:1]
	s_xor_b64 s[0:1], exec, s[2:3]
; %bb.5:
	v_mov_b32_e32 v1, 0
	v_mov_b32_e32 v2, v1
	v_mov_b32_e32 v3, v1
	v_mov_b32_e32 v4, v1
	ds_write_b128 v11, v[1:4] offset:8224
; %bb.6:
	s_or_saveexec_b64 s[8:9], s[0:1]
	s_load_dwordx2 s[2:3], s[4:5], 0x10
	v_mov_b32_e32 v3, 0
	v_mov_b32_e32 v5, 0
	;; [unrolled: 1-line block ×6, first 2 shown]
	s_xor_b64 exec, exec, s[8:9]
	s_cbranch_execz .LBB313_8
; %bb.7:
	s_load_dwordx2 s[12:13], s[4:5], 0x20
	v_lshlrev_b64 v[1:2], 4, v[9:10]
	v_mad_u64_u32 v[5:6], s[0:1], s20, 15, v[9:10]
	s_waitcnt lgkmcnt(0)
	v_mov_b32_e32 v6, s13
	v_add_co_u32_e64 v1, s[0:1], s12, v1
	v_addc_co_u32_e64 v2, s[0:1], v6, v2, s[0:1]
	v_mov_b32_e32 v6, 0
	v_lshlrev_b64 v[5:6], 4, v[5:6]
	v_mov_b32_e32 v7, s13
	v_add_co_u32_e64 v16, s[0:1], s12, v5
	v_addc_co_u32_e64 v17, s[0:1], v7, v6, s[0:1]
	global_load_dwordx4 v[12:15], v[1:2], off
	global_load_dwordx4 v[5:8], v[16:17], off
	s_waitcnt vmcnt(1)
	ds_write_b128 v11, v[12:15] offset:8224
.LBB313_8:
	s_or_b64 exec, exec, s[8:9]
	v_mov_b32_e32 v1, 0
	v_mov_b32_e32 v2, 0
	s_mul_i32 s10, s10, s7
	s_waitcnt vmcnt(0)
	ds_write_b128 v11, v[5:8] offset:12320
	s_and_saveexec_b64 s[8:9], vcc
	s_cbranch_execz .LBB313_10
; %bb.9:
	s_mul_i32 s0, s20, 15
	s_add_i32 s0, s0, s10
	v_add_u32_e32 v1, s0, v9
	v_mov_b32_e32 v2, 0
	v_lshlrev_b64 v[1:2], 4, v[1:2]
	s_waitcnt lgkmcnt(0)
	v_mov_b32_e32 v3, s3
	v_add_co_u32_e64 v1, s[0:1], s2, v1
	v_addc_co_u32_e64 v2, s[0:1], v3, v2, s[0:1]
	global_load_dwordx4 v[1:4], v[1:2], off
.LBB313_10:
	s_or_b64 exec, exec, s[8:9]
	s_waitcnt vmcnt(0)
	ds_write_b128 v11, v[1:4] offset:16
	v_mov_b32_e32 v3, 0
	v_mov_b32_e32 v1, 0
	;; [unrolled: 1-line block ×4, first 2 shown]
	v_add_u32_e32 v5, s10, v9
	s_and_saveexec_b64 s[8:9], vcc
	s_cbranch_execz .LBB313_12
; %bb.11:
	v_ashrrev_i32_e32 v6, 31, v5
	v_lshlrev_b64 v[1:2], 4, v[5:6]
	s_waitcnt lgkmcnt(0)
	v_mov_b32_e32 v3, s3
	v_add_co_u32_e64 v1, s[0:1], s2, v1
	v_addc_co_u32_e64 v2, s[0:1], v3, v2, s[0:1]
	global_load_dwordx4 v[1:4], v[1:2], off
.LBB313_12:
	s_or_b64 exec, exec, s[8:9]
	v_cmp_eq_u32_e64 s[0:1], 0, v0
	s_waitcnt vmcnt(0)
	ds_write_b128 v11, v[1:4] offset:4112
	s_waitcnt lgkmcnt(0)
	s_barrier
	s_and_saveexec_b64 s[16:17], s[0:1]
	s_cbranch_execz .LBB313_18
; %bb.13:
	s_load_dword s21, s[4:5], 0x30
	s_load_dwordx2 s[18:19], s[4:5], 0x28
	s_cmp_lt_i32 s6, 1
	s_mov_b64 s[10:11], 0
	s_mov_b64 s[14:15], 0
	s_waitcnt lgkmcnt(0)
	s_mul_i32 s7, s7, s21
	s_mov_b64 s[12:13], 0
	s_cbranch_scc1 .LBB313_15
; %bb.14:
	s_lshl_b32 s4, s7, 1
	s_add_i32 s5, s6, s21
	s_add_i32 s4, s5, s4
	s_add_i32 s4, s4, -1
	s_mov_b32 s5, 0
	s_lshl_b64 s[4:5], s[4:5], 4
	s_add_u32 s4, s18, s4
	s_addc_u32 s5, s19, s5
	s_load_dwordx4 s[12:15], s[4:5], 0x0
.LBB313_15:
	s_add_i32 s4, s21, -1
	s_waitcnt lgkmcnt(0)
	v_mov_b32_e32 v6, s12
	v_mov_b32_e32 v7, s13
	;; [unrolled: 1-line block ×5, first 2 shown]
	s_cmp_ge_u32 s6, s4
	s_mov_b64 s[8:9], 0
	ds_write_b128 v1, v[6:9]
	s_cbranch_scc1 .LBB313_17
; %bb.16:
	s_lshl_b32 s4, s7, 1
	s_add_i32 s4, s6, s4
	s_add_i32 s4, s4, 1
	s_mov_b32 s5, 0
	s_lshl_b64 s[4:5], s[4:5], 4
	s_add_u32 s4, s18, s4
	s_addc_u32 s5, s19, s5
	s_load_dwordx4 s[8:11], s[4:5], 0x0
.LBB313_17:
	s_lshl_b32 s4, s7, 1
	s_add_i32 s4, s4, s6
	s_mov_b32 s5, 0
	s_lshl_b64 s[6:7], s[4:5], 4
	s_add_u32 s6, s18, s6
	s_addc_u32 s7, s19, s7
	s_add_i32 s4, s4, s21
	s_lshl_b64 s[4:5], s[4:5], 4
	s_add_u32 s4, s18, s4
	s_addc_u32 s5, s19, s5
	global_load_dwordx4 v[6:9], v1, s[6:7]
	global_load_dwordx4 v[12:15], v1, s[4:5]
	s_waitcnt lgkmcnt(0)
	v_mov_b32_e32 v16, s8
	v_mov_b32_e32 v17, s9
	;; [unrolled: 1-line block ×4, first 2 shown]
	ds_write_b128 v1, v[16:19] offset:8208
	s_waitcnt vmcnt(1)
	ds_write_b128 v1, v[6:9] offset:4112
	s_waitcnt vmcnt(0)
	ds_write_b128 v1, v[12:15] offset:4096
.LBB313_18:
	s_or_b64 exec, exec, s[16:17]
	v_add_u32_e32 v1, 16, v11
	v_add_u32_e32 v2, 0x1010, v11
	s_waitcnt lgkmcnt(0)
	s_barrier
	s_and_saveexec_b64 s[4:5], s[0:1]
	s_cbranch_execz .LBB313_20
; %bb.19:
	v_mov_b32_e32 v42, 0
	ds_read_b128 v[6:9], v42 offset:8208
	ds_read_b128 v[10:13], v42 offset:14352
	;; [unrolled: 1-line block ×5, first 2 shown]
	ds_read_b128 v[26:29], v42
	ds_read_b128 v[30:33], v42 offset:22544
	ds_read_b128 v[34:37], v42 offset:18464
	s_waitcnt lgkmcnt(6)
	v_mul_f64 v[3:4], v[8:9], -v[12:13]
	v_mul_f64 v[38:39], v[8:9], v[10:11]
	s_waitcnt lgkmcnt(5)
	v_mul_f64 v[40:41], v[8:9], -v[16:17]
	v_mul_f64 v[8:9], v[8:9], v[14:15]
	v_fma_f64 v[3:4], v[10:11], v[6:7], v[3:4]
	v_fma_f64 v[10:11], v[12:13], v[6:7], v[38:39]
	s_waitcnt lgkmcnt(1)
	v_mul_f64 v[12:13], v[28:29], -v[32:33]
	v_mul_f64 v[38:39], v[28:29], v[30:31]
	v_fma_f64 v[14:15], v[14:15], v[6:7], v[40:41]
	s_waitcnt lgkmcnt(0)
	v_mul_f64 v[40:41], v[28:29], -v[36:37]
	v_mul_f64 v[28:29], v[28:29], v[34:35]
	v_fma_f64 v[6:7], v[16:17], v[6:7], v[8:9]
	v_add_f64 v[3:4], v[22:23], -v[3:4]
	v_add_f64 v[8:9], v[24:25], -v[10:11]
	v_fma_f64 v[10:11], v[30:31], v[26:27], v[12:13]
	v_fma_f64 v[12:13], v[32:33], v[26:27], v[38:39]
	v_add_f64 v[14:15], v[18:19], -v[14:15]
	v_fma_f64 v[16:17], v[34:35], v[26:27], v[40:41]
	v_fma_f64 v[18:19], v[36:37], v[26:27], v[28:29]
	v_add_f64 v[20:21], v[20:21], -v[6:7]
	v_add_f64 v[6:7], v[3:4], -v[10:11]
	;; [unrolled: 1-line block ×5, first 2 shown]
	ds_write_b128 v42, v[6:9] offset:2048
	ds_write_b128 v42, v[10:13] offset:6160
.LBB313_20:
	s_or_b64 exec, exec, s[4:5]
	v_cmp_gt_u32_e64 s[0:1], 2, v0
	s_waitcnt lgkmcnt(0)
	s_barrier
	s_and_saveexec_b64 s[4:5], s[0:1]
	s_cbranch_execz .LBB313_22
; %bb.21:
	v_lshlrev_b32_e32 v42, 11, v0
	ds_read_b128 v[6:9], v42 offset:6160
	ds_read_b128 v[10:13], v42 offset:13328
	ds_read_b128 v[14:17], v42 offset:9248
	ds_read_b128 v[18:21], v42 offset:5136
	ds_read_b128 v[22:25], v42 offset:1024
	ds_read_b128 v[26:29], v42
	ds_read_b128 v[30:33], v42 offset:21520
	ds_read_b128 v[34:37], v42 offset:17440
	s_waitcnt lgkmcnt(6)
	v_mul_f64 v[3:4], v[8:9], -v[12:13]
	v_mul_f64 v[38:39], v[8:9], v[10:11]
	s_waitcnt lgkmcnt(5)
	v_mul_f64 v[40:41], v[8:9], -v[16:17]
	v_mul_f64 v[8:9], v[8:9], v[14:15]
	v_fma_f64 v[3:4], v[10:11], v[6:7], v[3:4]
	v_fma_f64 v[10:11], v[12:13], v[6:7], v[38:39]
	s_waitcnt lgkmcnt(1)
	v_mul_f64 v[12:13], v[28:29], -v[32:33]
	v_mul_f64 v[38:39], v[28:29], v[30:31]
	v_fma_f64 v[14:15], v[14:15], v[6:7], v[40:41]
	s_waitcnt lgkmcnt(0)
	v_mul_f64 v[40:41], v[28:29], -v[36:37]
	v_mul_f64 v[28:29], v[28:29], v[34:35]
	v_fma_f64 v[6:7], v[16:17], v[6:7], v[8:9]
	v_add_f64 v[3:4], v[22:23], -v[3:4]
	v_add_f64 v[8:9], v[24:25], -v[10:11]
	v_fma_f64 v[10:11], v[30:31], v[26:27], v[12:13]
	v_fma_f64 v[12:13], v[32:33], v[26:27], v[38:39]
	v_add_f64 v[14:15], v[18:19], -v[14:15]
	v_fma_f64 v[16:17], v[34:35], v[26:27], v[40:41]
	v_fma_f64 v[18:19], v[36:37], v[26:27], v[28:29]
	v_add_f64 v[20:21], v[20:21], -v[6:7]
	v_add_f64 v[6:7], v[3:4], -v[10:11]
	v_add_f64 v[8:9], v[8:9], -v[12:13]
	v_add_f64 v[10:11], v[14:15], -v[16:17]
	v_add_f64 v[12:13], v[20:21], -v[18:19]
	ds_write_b128 v42, v[6:9] offset:1024
	ds_write_b128 v42, v[10:13] offset:5136
.LBB313_22:
	s_or_b64 exec, exec, s[4:5]
	v_cmp_gt_u32_e64 s[0:1], 4, v0
	s_waitcnt lgkmcnt(0)
	s_barrier
	s_and_saveexec_b64 s[4:5], s[0:1]
	s_cbranch_execz .LBB313_24
; %bb.23:
	v_lshlrev_b32_e32 v42, 10, v0
	ds_read_b128 v[6:9], v42 offset:5136
	ds_read_b128 v[10:13], v42 offset:12816
	ds_read_b128 v[14:17], v42 offset:8736
	ds_read_b128 v[18:21], v42 offset:4624
	ds_read_b128 v[22:25], v42 offset:512
	ds_read_b128 v[26:29], v42
	ds_read_b128 v[30:33], v42 offset:21008
	ds_read_b128 v[34:37], v42 offset:16928
	s_waitcnt lgkmcnt(6)
	v_mul_f64 v[3:4], v[8:9], -v[12:13]
	v_mul_f64 v[38:39], v[8:9], v[10:11]
	s_waitcnt lgkmcnt(5)
	v_mul_f64 v[40:41], v[8:9], -v[16:17]
	v_mul_f64 v[8:9], v[8:9], v[14:15]
	v_fma_f64 v[3:4], v[10:11], v[6:7], v[3:4]
	v_fma_f64 v[10:11], v[12:13], v[6:7], v[38:39]
	s_waitcnt lgkmcnt(1)
	v_mul_f64 v[12:13], v[28:29], -v[32:33]
	v_mul_f64 v[38:39], v[28:29], v[30:31]
	v_fma_f64 v[14:15], v[14:15], v[6:7], v[40:41]
	s_waitcnt lgkmcnt(0)
	v_mul_f64 v[40:41], v[28:29], -v[36:37]
	v_mul_f64 v[28:29], v[28:29], v[34:35]
	v_fma_f64 v[6:7], v[16:17], v[6:7], v[8:9]
	v_add_f64 v[3:4], v[22:23], -v[3:4]
	v_add_f64 v[8:9], v[24:25], -v[10:11]
	v_fma_f64 v[10:11], v[30:31], v[26:27], v[12:13]
	v_fma_f64 v[12:13], v[32:33], v[26:27], v[38:39]
	v_add_f64 v[14:15], v[18:19], -v[14:15]
	v_fma_f64 v[16:17], v[34:35], v[26:27], v[40:41]
	v_fma_f64 v[18:19], v[36:37], v[26:27], v[28:29]
	v_add_f64 v[20:21], v[20:21], -v[6:7]
	v_add_f64 v[6:7], v[3:4], -v[10:11]
	v_add_f64 v[8:9], v[8:9], -v[12:13]
	v_add_f64 v[10:11], v[14:15], -v[16:17]
	v_add_f64 v[12:13], v[20:21], -v[18:19]
	ds_write_b128 v42, v[6:9] offset:512
	ds_write_b128 v42, v[10:13] offset:4624
.LBB313_24:
	;; [unrolled: 47-line block ×5, first 2 shown]
	s_or_b64 exec, exec, s[4:5]
	v_cmp_gt_u32_e64 s[0:1], 64, v0
	s_waitcnt lgkmcnt(0)
	s_barrier
	s_and_saveexec_b64 s[4:5], s[0:1]
	s_cbranch_execz .LBB313_32
; %bb.31:
	v_lshlrev_b32_e32 v42, 6, v0
	ds_read_b128 v[6:9], v42 offset:4176
	ds_read_b128 v[10:13], v42 offset:12336
	;; [unrolled: 1-line block ×4, first 2 shown]
	ds_read_b128 v[22:25], v42
	ds_read_b128 v[26:29], v42 offset:32
	ds_read_b128 v[30:33], v42 offset:20528
	;; [unrolled: 1-line block ×3, first 2 shown]
	s_waitcnt lgkmcnt(6)
	v_mul_f64 v[3:4], v[8:9], -v[12:13]
	v_mul_f64 v[38:39], v[8:9], v[10:11]
	s_waitcnt lgkmcnt(5)
	v_mul_f64 v[40:41], v[8:9], -v[16:17]
	v_mul_f64 v[8:9], v[8:9], v[14:15]
	v_fma_f64 v[3:4], v[10:11], v[6:7], v[3:4]
	v_fma_f64 v[10:11], v[12:13], v[6:7], v[38:39]
	s_waitcnt lgkmcnt(1)
	v_mul_f64 v[12:13], v[24:25], -v[32:33]
	v_mul_f64 v[38:39], v[24:25], v[30:31]
	v_fma_f64 v[14:15], v[14:15], v[6:7], v[40:41]
	s_waitcnt lgkmcnt(0)
	v_mul_f64 v[40:41], v[24:25], -v[36:37]
	v_mul_f64 v[24:25], v[24:25], v[34:35]
	v_fma_f64 v[6:7], v[16:17], v[6:7], v[8:9]
	v_add_f64 v[3:4], v[26:27], -v[3:4]
	v_add_f64 v[8:9], v[28:29], -v[10:11]
	v_fma_f64 v[10:11], v[30:31], v[22:23], v[12:13]
	v_fma_f64 v[12:13], v[32:33], v[22:23], v[38:39]
	v_add_f64 v[14:15], v[18:19], -v[14:15]
	v_fma_f64 v[16:17], v[34:35], v[22:23], v[40:41]
	v_fma_f64 v[18:19], v[36:37], v[22:23], v[24:25]
	v_add_f64 v[20:21], v[20:21], -v[6:7]
	v_add_f64 v[6:7], v[3:4], -v[10:11]
	;; [unrolled: 1-line block ×5, first 2 shown]
	ds_write_b128 v42, v[6:9] offset:32
	ds_write_b128 v42, v[10:13] offset:4144
.LBB313_32:
	s_or_b64 exec, exec, s[4:5]
	s_movk_i32 s0, 0x80
	v_cmp_gt_u32_e64 s[0:1], s0, v0
	s_waitcnt lgkmcnt(0)
	s_barrier
	s_and_saveexec_b64 s[4:5], s[0:1]
	s_cbranch_execz .LBB313_34
; %bb.33:
	v_lshlrev_b32_e32 v0, 5, v0
	ds_read_b128 v[6:9], v0 offset:4144
	ds_read_b128 v[10:13], v0 offset:12320
	;; [unrolled: 1-line block ×4, first 2 shown]
	ds_read_b128 v[22:25], v0
	ds_read_b128 v[26:29], v0 offset:16
	ds_read_b128 v[30:33], v0 offset:20512
	;; [unrolled: 1-line block ×3, first 2 shown]
	s_waitcnt lgkmcnt(6)
	v_mul_f64 v[3:4], v[8:9], -v[12:13]
	v_mul_f64 v[38:39], v[8:9], v[10:11]
	s_waitcnt lgkmcnt(5)
	v_mul_f64 v[40:41], v[8:9], -v[16:17]
	v_mul_f64 v[8:9], v[8:9], v[14:15]
	v_fma_f64 v[3:4], v[10:11], v[6:7], v[3:4]
	v_fma_f64 v[10:11], v[12:13], v[6:7], v[38:39]
	s_waitcnt lgkmcnt(1)
	v_mul_f64 v[12:13], v[24:25], -v[32:33]
	v_mul_f64 v[38:39], v[24:25], v[30:31]
	v_fma_f64 v[14:15], v[14:15], v[6:7], v[40:41]
	s_waitcnt lgkmcnt(0)
	v_mul_f64 v[40:41], v[24:25], -v[36:37]
	v_mul_f64 v[24:25], v[24:25], v[34:35]
	v_fma_f64 v[6:7], v[16:17], v[6:7], v[8:9]
	v_add_f64 v[3:4], v[26:27], -v[3:4]
	v_add_f64 v[8:9], v[28:29], -v[10:11]
	v_fma_f64 v[10:11], v[30:31], v[22:23], v[12:13]
	v_fma_f64 v[12:13], v[32:33], v[22:23], v[38:39]
	v_add_f64 v[14:15], v[18:19], -v[14:15]
	v_fma_f64 v[16:17], v[34:35], v[22:23], v[40:41]
	v_fma_f64 v[18:19], v[36:37], v[22:23], v[24:25]
	v_add_f64 v[20:21], v[20:21], -v[6:7]
	v_add_f64 v[6:7], v[3:4], -v[10:11]
	;; [unrolled: 1-line block ×5, first 2 shown]
	ds_write_b128 v0, v[6:9] offset:16
	ds_write_b128 v0, v[10:13] offset:4128
.LBB313_34:
	s_or_b64 exec, exec, s[4:5]
	s_waitcnt lgkmcnt(0)
	s_barrier
	s_and_saveexec_b64 s[0:1], vcc
	s_cbranch_execz .LBB313_36
; %bb.35:
	v_ashrrev_i32_e32 v6, 31, v5
	v_lshlrev_b64 v[3:4], 4, v[5:6]
	ds_read2_b64 v[6:9], v2 offset1:1
	v_mov_b32_e32 v0, s3
	v_add_co_u32_e32 v10, vcc, s2, v3
	v_addc_co_u32_e32 v11, vcc, v0, v4, vcc
	s_waitcnt lgkmcnt(0)
	v_mad_u64_u32 v[4:5], s[0:1], s20, 15, v[5:6]
	ds_read2_b64 v[0:3], v1 offset1:1
	v_mov_b32_e32 v5, 0
	v_lshlrev_b64 v[4:5], 4, v[4:5]
	global_store_dwordx4 v[10:11], v[6:9], off
	v_add_co_u32_e32 v4, vcc, s2, v4
	v_mov_b32_e32 v6, s3
	v_addc_co_u32_e32 v5, vcc, v6, v5, vcc
	s_waitcnt lgkmcnt(0)
	global_store_dwordx4 v[4:5], v[0:3], off
.LBB313_36:
	s_endpgm
	.section	.rodata,"a",@progbits
	.p2align	6, 0x0
	.amdhsa_kernel _ZN9rocsparseL33gtsv_solve_spike_propagate_kernelILj256ELj16E21rocsparse_complex_numIdEEEviiiPT1_PKS3_S6_S6_
		.amdhsa_group_segment_fixed_size 24608
		.amdhsa_private_segment_fixed_size 0
		.amdhsa_kernarg_size 304
		.amdhsa_user_sgpr_count 6
		.amdhsa_user_sgpr_private_segment_buffer 1
		.amdhsa_user_sgpr_dispatch_ptr 0
		.amdhsa_user_sgpr_queue_ptr 0
		.amdhsa_user_sgpr_kernarg_segment_ptr 1
		.amdhsa_user_sgpr_dispatch_id 0
		.amdhsa_user_sgpr_flat_scratch_init 0
		.amdhsa_user_sgpr_private_segment_size 0
		.amdhsa_uses_dynamic_stack 0
		.amdhsa_system_sgpr_private_segment_wavefront_offset 0
		.amdhsa_system_sgpr_workgroup_id_x 1
		.amdhsa_system_sgpr_workgroup_id_y 1
		.amdhsa_system_sgpr_workgroup_id_z 0
		.amdhsa_system_sgpr_workgroup_info 0
		.amdhsa_system_vgpr_workitem_id 0
		.amdhsa_next_free_vgpr 85
		.amdhsa_next_free_sgpr 98
		.amdhsa_reserve_vcc 1
		.amdhsa_reserve_flat_scratch 0
		.amdhsa_float_round_mode_32 0
		.amdhsa_float_round_mode_16_64 0
		.amdhsa_float_denorm_mode_32 3
		.amdhsa_float_denorm_mode_16_64 3
		.amdhsa_dx10_clamp 1
		.amdhsa_ieee_mode 1
		.amdhsa_fp16_overflow 0
		.amdhsa_exception_fp_ieee_invalid_op 0
		.amdhsa_exception_fp_denorm_src 0
		.amdhsa_exception_fp_ieee_div_zero 0
		.amdhsa_exception_fp_ieee_overflow 0
		.amdhsa_exception_fp_ieee_underflow 0
		.amdhsa_exception_fp_ieee_inexact 0
		.amdhsa_exception_int_div_zero 0
	.end_amdhsa_kernel
	.section	.text._ZN9rocsparseL33gtsv_solve_spike_propagate_kernelILj256ELj16E21rocsparse_complex_numIdEEEviiiPT1_PKS3_S6_S6_,"axG",@progbits,_ZN9rocsparseL33gtsv_solve_spike_propagate_kernelILj256ELj16E21rocsparse_complex_numIdEEEviiiPT1_PKS3_S6_S6_,comdat
.Lfunc_end313:
	.size	_ZN9rocsparseL33gtsv_solve_spike_propagate_kernelILj256ELj16E21rocsparse_complex_numIdEEEviiiPT1_PKS3_S6_S6_, .Lfunc_end313-_ZN9rocsparseL33gtsv_solve_spike_propagate_kernelILj256ELj16E21rocsparse_complex_numIdEEEviiiPT1_PKS3_S6_S6_
                                        ; -- End function
	.set _ZN9rocsparseL33gtsv_solve_spike_propagate_kernelILj256ELj16E21rocsparse_complex_numIdEEEviiiPT1_PKS3_S6_S6_.num_vgpr, 43
	.set _ZN9rocsparseL33gtsv_solve_spike_propagate_kernelILj256ELj16E21rocsparse_complex_numIdEEEviiiPT1_PKS3_S6_S6_.num_agpr, 0
	.set _ZN9rocsparseL33gtsv_solve_spike_propagate_kernelILj256ELj16E21rocsparse_complex_numIdEEEviiiPT1_PKS3_S6_S6_.numbered_sgpr, 22
	.set _ZN9rocsparseL33gtsv_solve_spike_propagate_kernelILj256ELj16E21rocsparse_complex_numIdEEEviiiPT1_PKS3_S6_S6_.num_named_barrier, 0
	.set _ZN9rocsparseL33gtsv_solve_spike_propagate_kernelILj256ELj16E21rocsparse_complex_numIdEEEviiiPT1_PKS3_S6_S6_.private_seg_size, 0
	.set _ZN9rocsparseL33gtsv_solve_spike_propagate_kernelILj256ELj16E21rocsparse_complex_numIdEEEviiiPT1_PKS3_S6_S6_.uses_vcc, 1
	.set _ZN9rocsparseL33gtsv_solve_spike_propagate_kernelILj256ELj16E21rocsparse_complex_numIdEEEviiiPT1_PKS3_S6_S6_.uses_flat_scratch, 0
	.set _ZN9rocsparseL33gtsv_solve_spike_propagate_kernelILj256ELj16E21rocsparse_complex_numIdEEEviiiPT1_PKS3_S6_S6_.has_dyn_sized_stack, 0
	.set _ZN9rocsparseL33gtsv_solve_spike_propagate_kernelILj256ELj16E21rocsparse_complex_numIdEEEviiiPT1_PKS3_S6_S6_.has_recursion, 0
	.set _ZN9rocsparseL33gtsv_solve_spike_propagate_kernelILj256ELj16E21rocsparse_complex_numIdEEEviiiPT1_PKS3_S6_S6_.has_indirect_call, 0
	.section	.AMDGPU.csdata,"",@progbits
; Kernel info:
; codeLenInByte = 3596
; TotalNumSgprs: 26
; NumVgprs: 43
; ScratchSize: 0
; MemoryBound: 0
; FloatMode: 240
; IeeeMode: 1
; LDSByteSize: 24608 bytes/workgroup (compile time only)
; SGPRBlocks: 12
; VGPRBlocks: 21
; NumSGPRsForWavesPerEU: 102
; NumVGPRsForWavesPerEU: 85
; Occupancy: 2
; WaveLimiterHint : 0
; COMPUTE_PGM_RSRC2:SCRATCH_EN: 0
; COMPUTE_PGM_RSRC2:USER_SGPR: 6
; COMPUTE_PGM_RSRC2:TRAP_HANDLER: 0
; COMPUTE_PGM_RSRC2:TGID_X_EN: 1
; COMPUTE_PGM_RSRC2:TGID_Y_EN: 1
; COMPUTE_PGM_RSRC2:TGID_Z_EN: 0
; COMPUTE_PGM_RSRC2:TIDIG_COMP_CNT: 0
	.section	.text._ZN9rocsparseL39gtsv_spike_backward_substitution_kernelILj256ELj16E21rocsparse_complex_numIdEEEviiiPT1_PKS3_S6_,"axG",@progbits,_ZN9rocsparseL39gtsv_spike_backward_substitution_kernelILj256ELj16E21rocsparse_complex_numIdEEEviiiPT1_PKS3_S6_,comdat
	.globl	_ZN9rocsparseL39gtsv_spike_backward_substitution_kernelILj256ELj16E21rocsparse_complex_numIdEEEviiiPT1_PKS3_S6_ ; -- Begin function _ZN9rocsparseL39gtsv_spike_backward_substitution_kernelILj256ELj16E21rocsparse_complex_numIdEEEviiiPT1_PKS3_S6_
	.p2align	8
	.type	_ZN9rocsparseL39gtsv_spike_backward_substitution_kernelILj256ELj16E21rocsparse_complex_numIdEEEviiiPT1_PKS3_S6_,@function
_ZN9rocsparseL39gtsv_spike_backward_substitution_kernelILj256ELj16E21rocsparse_complex_numIdEEEviiiPT1_PKS3_S6_: ; @_ZN9rocsparseL39gtsv_spike_backward_substitution_kernelILj256ELj16E21rocsparse_complex_numIdEEEviiiPT1_PKS3_S6_
; %bb.0:
	s_load_dword s12, s[4:5], 0x0
	s_lshl_b32 s6, s6, 8
	v_or_b32_e32 v9, s6, v0
	s_waitcnt lgkmcnt(0)
	s_lshr_b32 s10, s12, 4
	v_cmp_gt_i32_e32 vcc, s10, v9
	s_and_saveexec_b64 s[0:1], vcc
	s_cbranch_execz .LBB314_7
; %bb.1:
	s_load_dwordx2 s[8:9], s[4:5], 0x10
	v_mov_b32_e32 v1, 0
	v_mov_b32_e32 v3, 0
	v_cmp_lt_i32_e32 vcc, 0, v9
	v_mov_b32_e32 v2, 0
	v_mov_b32_e32 v4, 0
	s_mul_i32 s11, s12, s7
	s_and_saveexec_b64 s[0:1], vcc
	s_cbranch_execz .LBB314_3
; %bb.2:
	s_mul_i32 s2, s10, 15
	s_mul_i32 s3, s12, s7
	s_add_i32 s2, s2, s3
	v_add3_u32 v1, v9, s2, -1
	v_mov_b32_e32 v2, 0
	v_lshlrev_b64 v[1:2], 4, v[1:2]
	s_waitcnt lgkmcnt(0)
	v_mov_b32_e32 v3, s9
	v_add_co_u32_e32 v1, vcc, s8, v1
	v_addc_co_u32_e32 v2, vcc, v3, v2, vcc
	global_load_dwordx4 v[1:4], v[1:2], off
.LBB314_3:
	s_or_b64 exec, exec, s[0:1]
	s_load_dwordx4 s[0:3], s[4:5], 0x18
	v_add_u32_e32 v5, 16, v9
	v_cmp_le_u32_e32 vcc, s12, v5
	s_and_saveexec_b64 s[4:5], vcc
	s_xor_b64 s[4:5], exec, s[4:5]
	s_or_saveexec_b64 s[4:5], s[4:5]
	v_mov_b32_e32 v5, 0
	v_mov_b32_e32 v7, 0
	;; [unrolled: 1-line block ×5, first 2 shown]
	s_xor_b64 exec, exec, s[4:5]
	s_cbranch_execz .LBB314_5
; %bb.4:
	s_ashr_i32 s7, s11, 31
	v_ashrrev_i32_e32 v6, 31, v9
	v_mov_b32_e32 v7, s7
	v_add_co_u32_e32 v5, vcc, s11, v9
	v_addc_co_u32_e32 v6, vcc, v6, v7, vcc
	v_lshlrev_b64 v[5:6], 4, v[5:6]
	s_waitcnt lgkmcnt(0)
	v_mov_b32_e32 v7, s9
	v_add_co_u32_e32 v5, vcc, s8, v5
	v_addc_co_u32_e32 v6, vcc, v7, v6, vcc
	global_load_dwordx4 v[5:8], v[5:6], off offset:16
	v_mov_b32_e32 v13, s11
.LBB314_5:
	s_or_b64 exec, exec, s[4:5]
	s_lshl_b32 s4, s10, 1
	s_add_i32 s6, s6, s10
	v_add_u32_e32 v9, s4, v9
	v_add_u32_e32 v11, s6, v0
	s_mov_b32 s5, 14
	s_waitcnt lgkmcnt(0)
	v_mov_b32_e32 v0, s9
	v_mov_b32_e32 v14, s1
	;; [unrolled: 1-line block ×3, first 2 shown]
.LBB314_6:                              ; =>This Inner Loop Header: Depth=1
	v_add_u32_e32 v16, v13, v11
	v_ashrrev_i32_e32 v17, 31, v16
	v_lshlrev_b64 v[16:17], 4, v[16:17]
	v_ashrrev_i32_e32 v12, 31, v11
	v_add_co_u32_e32 v20, vcc, s8, v16
	v_lshlrev_b64 v[22:23], 4, v[11:12]
	v_addc_co_u32_e32 v21, vcc, v0, v17, vcc
	v_add_co_u32_e32 v16, vcc, s0, v22
	v_addc_co_u32_e32 v17, vcc, v14, v23, vcc
	global_load_dwordx4 v[16:19], v[16:17], off
	v_ashrrev_i32_e32 v10, 31, v9
	s_add_i32 s5, s5, -2
	v_add_u32_e32 v11, s4, v11
	s_cmp_lg_u32 s5, 0
	s_waitcnt vmcnt(0)
	v_mul_f64 v[24:25], v[3:4], -v[18:19]
	v_fma_f64 v[24:25], v[16:17], v[1:2], v[24:25]
	v_mul_f64 v[16:17], v[3:4], v[16:17]
	v_fma_f64 v[26:27], v[18:19], v[1:2], v[16:17]
	global_load_dwordx4 v[16:19], v[20:21], off
	s_waitcnt vmcnt(0)
	v_add_f64 v[24:25], v[16:17], -v[24:25]
	v_add_co_u32_e32 v16, vcc, s2, v22
	v_addc_co_u32_e32 v17, vcc, v15, v23, vcc
	v_add_f64 v[26:27], v[18:19], -v[26:27]
	global_load_dwordx4 v[16:19], v[16:17], off
	s_waitcnt vmcnt(0)
	v_mul_f64 v[22:23], v[7:8], -v[18:19]
	v_fma_f64 v[22:23], v[16:17], v[5:6], v[22:23]
	v_mul_f64 v[16:17], v[7:8], v[16:17]
	v_fma_f64 v[18:19], v[18:19], v[5:6], v[16:17]
	v_add_f64 v[16:17], v[24:25], -v[22:23]
	v_lshlrev_b64 v[22:23], 4, v[9:10]
	v_add_f64 v[18:19], v[26:27], -v[18:19]
	global_store_dwordx4 v[20:21], v[16:19], off
	s_nop 0
	v_add_u32_e32 v16, v13, v9
	v_ashrrev_i32_e32 v17, 31, v16
	v_lshlrev_b64 v[16:17], 4, v[16:17]
	v_add_u32_e32 v9, s4, v9
	v_add_co_u32_e32 v20, vcc, s8, v16
	v_addc_co_u32_e32 v21, vcc, v0, v17, vcc
	v_add_co_u32_e32 v16, vcc, s0, v22
	v_addc_co_u32_e32 v17, vcc, v14, v23, vcc
	global_load_dwordx4 v[16:19], v[16:17], off
	s_waitcnt vmcnt(0)
	v_mul_f64 v[24:25], v[3:4], -v[18:19]
	v_fma_f64 v[24:25], v[16:17], v[1:2], v[24:25]
	v_mul_f64 v[16:17], v[3:4], v[16:17]
	v_fma_f64 v[26:27], v[18:19], v[1:2], v[16:17]
	global_load_dwordx4 v[16:19], v[20:21], off
	s_waitcnt vmcnt(0)
	v_add_f64 v[24:25], v[16:17], -v[24:25]
	v_add_co_u32_e32 v16, vcc, s2, v22
	v_addc_co_u32_e32 v17, vcc, v15, v23, vcc
	v_add_f64 v[26:27], v[18:19], -v[26:27]
	global_load_dwordx4 v[16:19], v[16:17], off
	s_waitcnt vmcnt(0)
	v_mul_f64 v[22:23], v[7:8], -v[18:19]
	v_fma_f64 v[22:23], v[16:17], v[5:6], v[22:23]
	v_mul_f64 v[16:17], v[7:8], v[16:17]
	v_fma_f64 v[18:19], v[18:19], v[5:6], v[16:17]
	v_add_f64 v[16:17], v[24:25], -v[22:23]
	v_add_f64 v[18:19], v[26:27], -v[18:19]
	global_store_dwordx4 v[20:21], v[16:19], off
	s_cbranch_scc1 .LBB314_6
.LBB314_7:
	s_endpgm
	.section	.rodata,"a",@progbits
	.p2align	6, 0x0
	.amdhsa_kernel _ZN9rocsparseL39gtsv_spike_backward_substitution_kernelILj256ELj16E21rocsparse_complex_numIdEEEviiiPT1_PKS3_S6_
		.amdhsa_group_segment_fixed_size 0
		.amdhsa_private_segment_fixed_size 0
		.amdhsa_kernarg_size 40
		.amdhsa_user_sgpr_count 6
		.amdhsa_user_sgpr_private_segment_buffer 1
		.amdhsa_user_sgpr_dispatch_ptr 0
		.amdhsa_user_sgpr_queue_ptr 0
		.amdhsa_user_sgpr_kernarg_segment_ptr 1
		.amdhsa_user_sgpr_dispatch_id 0
		.amdhsa_user_sgpr_flat_scratch_init 0
		.amdhsa_user_sgpr_private_segment_size 0
		.amdhsa_uses_dynamic_stack 0
		.amdhsa_system_sgpr_private_segment_wavefront_offset 0
		.amdhsa_system_sgpr_workgroup_id_x 1
		.amdhsa_system_sgpr_workgroup_id_y 1
		.amdhsa_system_sgpr_workgroup_id_z 0
		.amdhsa_system_sgpr_workgroup_info 0
		.amdhsa_system_vgpr_workitem_id 0
		.amdhsa_next_free_vgpr 28
		.amdhsa_next_free_sgpr 13
		.amdhsa_reserve_vcc 1
		.amdhsa_reserve_flat_scratch 0
		.amdhsa_float_round_mode_32 0
		.amdhsa_float_round_mode_16_64 0
		.amdhsa_float_denorm_mode_32 3
		.amdhsa_float_denorm_mode_16_64 3
		.amdhsa_dx10_clamp 1
		.amdhsa_ieee_mode 1
		.amdhsa_fp16_overflow 0
		.amdhsa_exception_fp_ieee_invalid_op 0
		.amdhsa_exception_fp_denorm_src 0
		.amdhsa_exception_fp_ieee_div_zero 0
		.amdhsa_exception_fp_ieee_overflow 0
		.amdhsa_exception_fp_ieee_underflow 0
		.amdhsa_exception_fp_ieee_inexact 0
		.amdhsa_exception_int_div_zero 0
	.end_amdhsa_kernel
	.section	.text._ZN9rocsparseL39gtsv_spike_backward_substitution_kernelILj256ELj16E21rocsparse_complex_numIdEEEviiiPT1_PKS3_S6_,"axG",@progbits,_ZN9rocsparseL39gtsv_spike_backward_substitution_kernelILj256ELj16E21rocsparse_complex_numIdEEEviiiPT1_PKS3_S6_,comdat
.Lfunc_end314:
	.size	_ZN9rocsparseL39gtsv_spike_backward_substitution_kernelILj256ELj16E21rocsparse_complex_numIdEEEviiiPT1_PKS3_S6_, .Lfunc_end314-_ZN9rocsparseL39gtsv_spike_backward_substitution_kernelILj256ELj16E21rocsparse_complex_numIdEEEviiiPT1_PKS3_S6_
                                        ; -- End function
	.set _ZN9rocsparseL39gtsv_spike_backward_substitution_kernelILj256ELj16E21rocsparse_complex_numIdEEEviiiPT1_PKS3_S6_.num_vgpr, 28
	.set _ZN9rocsparseL39gtsv_spike_backward_substitution_kernelILj256ELj16E21rocsparse_complex_numIdEEEviiiPT1_PKS3_S6_.num_agpr, 0
	.set _ZN9rocsparseL39gtsv_spike_backward_substitution_kernelILj256ELj16E21rocsparse_complex_numIdEEEviiiPT1_PKS3_S6_.numbered_sgpr, 13
	.set _ZN9rocsparseL39gtsv_spike_backward_substitution_kernelILj256ELj16E21rocsparse_complex_numIdEEEviiiPT1_PKS3_S6_.num_named_barrier, 0
	.set _ZN9rocsparseL39gtsv_spike_backward_substitution_kernelILj256ELj16E21rocsparse_complex_numIdEEEviiiPT1_PKS3_S6_.private_seg_size, 0
	.set _ZN9rocsparseL39gtsv_spike_backward_substitution_kernelILj256ELj16E21rocsparse_complex_numIdEEEviiiPT1_PKS3_S6_.uses_vcc, 1
	.set _ZN9rocsparseL39gtsv_spike_backward_substitution_kernelILj256ELj16E21rocsparse_complex_numIdEEEviiiPT1_PKS3_S6_.uses_flat_scratch, 0
	.set _ZN9rocsparseL39gtsv_spike_backward_substitution_kernelILj256ELj16E21rocsparse_complex_numIdEEEviiiPT1_PKS3_S6_.has_dyn_sized_stack, 0
	.set _ZN9rocsparseL39gtsv_spike_backward_substitution_kernelILj256ELj16E21rocsparse_complex_numIdEEEviiiPT1_PKS3_S6_.has_recursion, 0
	.set _ZN9rocsparseL39gtsv_spike_backward_substitution_kernelILj256ELj16E21rocsparse_complex_numIdEEEviiiPT1_PKS3_S6_.has_indirect_call, 0
	.section	.AMDGPU.csdata,"",@progbits
; Kernel info:
; codeLenInByte = 700
; TotalNumSgprs: 17
; NumVgprs: 28
; ScratchSize: 0
; MemoryBound: 0
; FloatMode: 240
; IeeeMode: 1
; LDSByteSize: 0 bytes/workgroup (compile time only)
; SGPRBlocks: 2
; VGPRBlocks: 6
; NumSGPRsForWavesPerEU: 17
; NumVGPRsForWavesPerEU: 28
; Occupancy: 9
; WaveLimiterHint : 0
; COMPUTE_PGM_RSRC2:SCRATCH_EN: 0
; COMPUTE_PGM_RSRC2:USER_SGPR: 6
; COMPUTE_PGM_RSRC2:TRAP_HANDLER: 0
; COMPUTE_PGM_RSRC2:TGID_X_EN: 1
; COMPUTE_PGM_RSRC2:TGID_Y_EN: 1
; COMPUTE_PGM_RSRC2:TGID_Z_EN: 0
; COMPUTE_PGM_RSRC2:TIDIG_COMP_CNT: 0
	.section	.text._ZN9rocsparseL32gtsv_transpose_back_array_kernelILj256ELj16E21rocsparse_complex_numIdEEEviiiPKT1_PS3_,"axG",@progbits,_ZN9rocsparseL32gtsv_transpose_back_array_kernelILj256ELj16E21rocsparse_complex_numIdEEEviiiPKT1_PS3_,comdat
	.globl	_ZN9rocsparseL32gtsv_transpose_back_array_kernelILj256ELj16E21rocsparse_complex_numIdEEEviiiPKT1_PS3_ ; -- Begin function _ZN9rocsparseL32gtsv_transpose_back_array_kernelILj256ELj16E21rocsparse_complex_numIdEEEviiiPKT1_PS3_
	.p2align	8
	.type	_ZN9rocsparseL32gtsv_transpose_back_array_kernelILj256ELj16E21rocsparse_complex_numIdEEEviiiPKT1_PS3_,@function
_ZN9rocsparseL32gtsv_transpose_back_array_kernelILj256ELj16E21rocsparse_complex_numIdEEEviiiPKT1_PS3_: ; @_ZN9rocsparseL32gtsv_transpose_back_array_kernelILj256ELj16E21rocsparse_complex_numIdEEEviiiPKT1_PS3_
; %bb.0:
	s_load_dwordx4 s[0:3], s[4:5], 0x0
	s_waitcnt lgkmcnt(0)
	v_cvt_f32_u32_e32 v1, s1
	s_sub_i32 s3, 0, s1
	v_rcp_iflag_f32_e32 v1, v1
	v_mul_f32_e32 v1, 0x4f7ffffe, v1
	v_cvt_u32_f32_e32 v2, v1
	v_mul_lo_u32 v1, s3, v2
	v_mul_hi_u32 v3, v2, v1
	v_lshl_or_b32 v1, s6, 8, v0
	v_lshlrev_b32_e32 v0, 4, v1
	v_add_u32_e32 v2, v2, v3
	v_mul_hi_u32 v2, v0, v2
	v_mul_lo_u32 v3, v2, s1
	v_add_u32_e32 v4, 1, v2
	v_sub_u32_e32 v3, v0, v3
	v_cmp_le_u32_e32 vcc, s1, v3
	v_cndmask_b32_e32 v2, v2, v4, vcc
	v_subrev_u32_e32 v4, s1, v3
	v_cndmask_b32_e32 v3, v3, v4, vcc
	v_add_u32_e32 v4, 1, v2
	v_cmp_le_u32_e32 vcc, s1, v3
	v_cndmask_b32_e32 v2, v2, v4, vcc
	v_mul_lo_u32 v3, v2, s1
	v_sub_u32_e32 v0, v0, v3
	v_add_u32_e32 v0, v2, v0
	v_cmp_gt_i32_e32 vcc, s0, v0
	s_and_saveexec_b64 s[8:9], vcc
	s_cbranch_execz .LBB315_2
; %bb.1:
	s_load_dwordx4 s[8:11], s[4:5], 0x10
	s_mul_i32 s0, s1, s7
	v_add_u32_e32 v1, s0, v1
	v_ashrrev_i32_e32 v2, 31, v1
	v_lshlrev_b64 v[1:2], 4, v[1:2]
	s_waitcnt lgkmcnt(0)
	v_mov_b32_e32 v3, s9
	v_add_co_u32_e32 v1, vcc, s8, v1
	v_addc_co_u32_e32 v2, vcc, v3, v2, vcc
	global_load_dwordx4 v[1:4], v[1:2], off
	s_mul_i32 s0, s2, s7
	v_add_u32_e32 v5, s0, v0
	v_ashrrev_i32_e32 v6, 31, v5
	v_lshlrev_b64 v[5:6], 4, v[5:6]
	v_mov_b32_e32 v0, s11
	v_add_co_u32_e32 v5, vcc, s10, v5
	v_addc_co_u32_e32 v6, vcc, v0, v6, vcc
	s_waitcnt vmcnt(0)
	global_store_dwordx4 v[5:6], v[1:4], off
.LBB315_2:
	s_endpgm
	.section	.rodata,"a",@progbits
	.p2align	6, 0x0
	.amdhsa_kernel _ZN9rocsparseL32gtsv_transpose_back_array_kernelILj256ELj16E21rocsparse_complex_numIdEEEviiiPKT1_PS3_
		.amdhsa_group_segment_fixed_size 0
		.amdhsa_private_segment_fixed_size 0
		.amdhsa_kernarg_size 32
		.amdhsa_user_sgpr_count 6
		.amdhsa_user_sgpr_private_segment_buffer 1
		.amdhsa_user_sgpr_dispatch_ptr 0
		.amdhsa_user_sgpr_queue_ptr 0
		.amdhsa_user_sgpr_kernarg_segment_ptr 1
		.amdhsa_user_sgpr_dispatch_id 0
		.amdhsa_user_sgpr_flat_scratch_init 0
		.amdhsa_user_sgpr_private_segment_size 0
		.amdhsa_uses_dynamic_stack 0
		.amdhsa_system_sgpr_private_segment_wavefront_offset 0
		.amdhsa_system_sgpr_workgroup_id_x 1
		.amdhsa_system_sgpr_workgroup_id_y 1
		.amdhsa_system_sgpr_workgroup_id_z 0
		.amdhsa_system_sgpr_workgroup_info 0
		.amdhsa_system_vgpr_workitem_id 0
		.amdhsa_next_free_vgpr 7
		.amdhsa_next_free_sgpr 12
		.amdhsa_reserve_vcc 1
		.amdhsa_reserve_flat_scratch 0
		.amdhsa_float_round_mode_32 0
		.amdhsa_float_round_mode_16_64 0
		.amdhsa_float_denorm_mode_32 3
		.amdhsa_float_denorm_mode_16_64 3
		.amdhsa_dx10_clamp 1
		.amdhsa_ieee_mode 1
		.amdhsa_fp16_overflow 0
		.amdhsa_exception_fp_ieee_invalid_op 0
		.amdhsa_exception_fp_denorm_src 0
		.amdhsa_exception_fp_ieee_div_zero 0
		.amdhsa_exception_fp_ieee_overflow 0
		.amdhsa_exception_fp_ieee_underflow 0
		.amdhsa_exception_fp_ieee_inexact 0
		.amdhsa_exception_int_div_zero 0
	.end_amdhsa_kernel
	.section	.text._ZN9rocsparseL32gtsv_transpose_back_array_kernelILj256ELj16E21rocsparse_complex_numIdEEEviiiPKT1_PS3_,"axG",@progbits,_ZN9rocsparseL32gtsv_transpose_back_array_kernelILj256ELj16E21rocsparse_complex_numIdEEEviiiPKT1_PS3_,comdat
.Lfunc_end315:
	.size	_ZN9rocsparseL32gtsv_transpose_back_array_kernelILj256ELj16E21rocsparse_complex_numIdEEEviiiPKT1_PS3_, .Lfunc_end315-_ZN9rocsparseL32gtsv_transpose_back_array_kernelILj256ELj16E21rocsparse_complex_numIdEEEviiiPKT1_PS3_
                                        ; -- End function
	.set _ZN9rocsparseL32gtsv_transpose_back_array_kernelILj256ELj16E21rocsparse_complex_numIdEEEviiiPKT1_PS3_.num_vgpr, 7
	.set _ZN9rocsparseL32gtsv_transpose_back_array_kernelILj256ELj16E21rocsparse_complex_numIdEEEviiiPKT1_PS3_.num_agpr, 0
	.set _ZN9rocsparseL32gtsv_transpose_back_array_kernelILj256ELj16E21rocsparse_complex_numIdEEEviiiPKT1_PS3_.numbered_sgpr, 12
	.set _ZN9rocsparseL32gtsv_transpose_back_array_kernelILj256ELj16E21rocsparse_complex_numIdEEEviiiPKT1_PS3_.num_named_barrier, 0
	.set _ZN9rocsparseL32gtsv_transpose_back_array_kernelILj256ELj16E21rocsparse_complex_numIdEEEviiiPKT1_PS3_.private_seg_size, 0
	.set _ZN9rocsparseL32gtsv_transpose_back_array_kernelILj256ELj16E21rocsparse_complex_numIdEEEviiiPKT1_PS3_.uses_vcc, 1
	.set _ZN9rocsparseL32gtsv_transpose_back_array_kernelILj256ELj16E21rocsparse_complex_numIdEEEviiiPKT1_PS3_.uses_flat_scratch, 0
	.set _ZN9rocsparseL32gtsv_transpose_back_array_kernelILj256ELj16E21rocsparse_complex_numIdEEEviiiPKT1_PS3_.has_dyn_sized_stack, 0
	.set _ZN9rocsparseL32gtsv_transpose_back_array_kernelILj256ELj16E21rocsparse_complex_numIdEEEviiiPKT1_PS3_.has_recursion, 0
	.set _ZN9rocsparseL32gtsv_transpose_back_array_kernelILj256ELj16E21rocsparse_complex_numIdEEEviiiPKT1_PS3_.has_indirect_call, 0
	.section	.AMDGPU.csdata,"",@progbits
; Kernel info:
; codeLenInByte = 248
; TotalNumSgprs: 16
; NumVgprs: 7
; ScratchSize: 0
; MemoryBound: 0
; FloatMode: 240
; IeeeMode: 1
; LDSByteSize: 0 bytes/workgroup (compile time only)
; SGPRBlocks: 1
; VGPRBlocks: 1
; NumSGPRsForWavesPerEU: 16
; NumVGPRsForWavesPerEU: 7
; Occupancy: 10
; WaveLimiterHint : 0
; COMPUTE_PGM_RSRC2:SCRATCH_EN: 0
; COMPUTE_PGM_RSRC2:USER_SGPR: 6
; COMPUTE_PGM_RSRC2:TRAP_HANDLER: 0
; COMPUTE_PGM_RSRC2:TGID_X_EN: 1
; COMPUTE_PGM_RSRC2:TGID_Y_EN: 1
; COMPUTE_PGM_RSRC2:TGID_Z_EN: 0
; COMPUTE_PGM_RSRC2:TIDIG_COMP_CNT: 0
	.section	.text._ZN9rocsparseL42gtsv_transpose_and_pad_array_shared_kernelILj256ELj32E21rocsparse_complex_numIdEEEviiiPKT1_PS3_S3_,"axG",@progbits,_ZN9rocsparseL42gtsv_transpose_and_pad_array_shared_kernelILj256ELj32E21rocsparse_complex_numIdEEEviiiPKT1_PS3_S3_,comdat
	.globl	_ZN9rocsparseL42gtsv_transpose_and_pad_array_shared_kernelILj256ELj32E21rocsparse_complex_numIdEEEviiiPKT1_PS3_S3_ ; -- Begin function _ZN9rocsparseL42gtsv_transpose_and_pad_array_shared_kernelILj256ELj32E21rocsparse_complex_numIdEEEviiiPKT1_PS3_S3_
	.p2align	8
	.type	_ZN9rocsparseL42gtsv_transpose_and_pad_array_shared_kernelILj256ELj32E21rocsparse_complex_numIdEEEviiiPKT1_PS3_S3_,@function
_ZN9rocsparseL42gtsv_transpose_and_pad_array_shared_kernelILj256ELj32E21rocsparse_complex_numIdEEEviiiPKT1_PS3_S3_: ; @_ZN9rocsparseL42gtsv_transpose_and_pad_array_shared_kernelILj256ELj32E21rocsparse_complex_numIdEEEviiiPKT1_PS3_S3_
; %bb.0:
	s_load_dwordx4 s[0:3], s[4:5], 0x0
	v_lshl_or_b32 v2, s6, 8, v0
	v_lshlrev_b32_e32 v1, 4, v0
	s_waitcnt lgkmcnt(0)
	v_cmp_le_i32_e32 vcc, s0, v2
	s_and_saveexec_b64 s[8:9], vcc
	s_xor_b64 s[8:9], exec, s[8:9]
	s_cbranch_execz .LBB316_2
; %bb.1:
	s_load_dwordx4 s[12:15], s[4:5], 0x20
	s_waitcnt lgkmcnt(0)
	v_mov_b32_e32 v2, s12
	v_mov_b32_e32 v3, s13
	;; [unrolled: 1-line block ×4, first 2 shown]
	ds_write_b128 v1, v[2:5]
                                        ; implicit-def: $vgpr2
                                        ; implicit-def: $vgpr1
.LBB316_2:
	s_andn2_saveexec_b64 s[8:9], s[8:9]
	s_cbranch_execz .LBB316_4
; %bb.3:
	s_load_dwordx2 s[10:11], s[4:5], 0x10
	s_mul_i32 s0, s2, s7
	v_add_u32_e32 v2, s0, v2
	v_ashrrev_i32_e32 v3, 31, v2
	v_lshlrev_b64 v[2:3], 4, v[2:3]
	s_waitcnt lgkmcnt(0)
	v_mov_b32_e32 v4, s11
	v_add_co_u32_e32 v2, vcc, s10, v2
	v_addc_co_u32_e32 v3, vcc, v4, v3, vcc
	global_load_dwordx4 v[2:5], v[2:3], off
	s_waitcnt vmcnt(0)
	ds_write2_b64 v1, v[2:3], v[4:5] offset1:1
.LBB316_4:
	s_or_b64 exec, exec, s[8:9]
	v_and_b32_e32 v3, 7, v0
	v_lshrrev_b32_e32 v2, 3, v0
	s_lshr_b32 s0, s1, 5
	v_lshl_or_b32 v0, s6, 3, v3
	v_mad_u64_u32 v[0:1], s[2:3], s0, v2, v[0:1]
	s_waitcnt lgkmcnt(0)
	s_barrier
	v_cmp_gt_i32_e32 vcc, s1, v0
	s_and_saveexec_b64 s[2:3], vcc
	s_cbranch_execz .LBB316_6
; %bb.5:
	s_mul_i32 s0, s1, s7
	s_load_dwordx2 s[2:3], s[4:5], 0x18
	v_lshlrev_b32_e32 v1, 4, v2
	v_add_u32_e32 v0, s0, v0
	v_lshl_or_b32 v2, v3, 9, v1
	v_ashrrev_i32_e32 v1, 31, v0
	v_lshlrev_b64 v[4:5], 4, v[0:1]
	ds_read2_b64 v[0:3], v2 offset1:1
	s_waitcnt lgkmcnt(0)
	v_mov_b32_e32 v6, s3
	v_add_co_u32_e32 v4, vcc, s2, v4
	v_addc_co_u32_e32 v5, vcc, v6, v5, vcc
	global_store_dwordx4 v[4:5], v[0:3], off
.LBB316_6:
	s_endpgm
	.section	.rodata,"a",@progbits
	.p2align	6, 0x0
	.amdhsa_kernel _ZN9rocsparseL42gtsv_transpose_and_pad_array_shared_kernelILj256ELj32E21rocsparse_complex_numIdEEEviiiPKT1_PS3_S3_
		.amdhsa_group_segment_fixed_size 4096
		.amdhsa_private_segment_fixed_size 0
		.amdhsa_kernarg_size 48
		.amdhsa_user_sgpr_count 6
		.amdhsa_user_sgpr_private_segment_buffer 1
		.amdhsa_user_sgpr_dispatch_ptr 0
		.amdhsa_user_sgpr_queue_ptr 0
		.amdhsa_user_sgpr_kernarg_segment_ptr 1
		.amdhsa_user_sgpr_dispatch_id 0
		.amdhsa_user_sgpr_flat_scratch_init 0
		.amdhsa_user_sgpr_private_segment_size 0
		.amdhsa_uses_dynamic_stack 0
		.amdhsa_system_sgpr_private_segment_wavefront_offset 0
		.amdhsa_system_sgpr_workgroup_id_x 1
		.amdhsa_system_sgpr_workgroup_id_y 1
		.amdhsa_system_sgpr_workgroup_id_z 0
		.amdhsa_system_sgpr_workgroup_info 0
		.amdhsa_system_vgpr_workitem_id 0
		.amdhsa_next_free_vgpr 7
		.amdhsa_next_free_sgpr 16
		.amdhsa_reserve_vcc 1
		.amdhsa_reserve_flat_scratch 0
		.amdhsa_float_round_mode_32 0
		.amdhsa_float_round_mode_16_64 0
		.amdhsa_float_denorm_mode_32 3
		.amdhsa_float_denorm_mode_16_64 3
		.amdhsa_dx10_clamp 1
		.amdhsa_ieee_mode 1
		.amdhsa_fp16_overflow 0
		.amdhsa_exception_fp_ieee_invalid_op 0
		.amdhsa_exception_fp_denorm_src 0
		.amdhsa_exception_fp_ieee_div_zero 0
		.amdhsa_exception_fp_ieee_overflow 0
		.amdhsa_exception_fp_ieee_underflow 0
		.amdhsa_exception_fp_ieee_inexact 0
		.amdhsa_exception_int_div_zero 0
	.end_amdhsa_kernel
	.section	.text._ZN9rocsparseL42gtsv_transpose_and_pad_array_shared_kernelILj256ELj32E21rocsparse_complex_numIdEEEviiiPKT1_PS3_S3_,"axG",@progbits,_ZN9rocsparseL42gtsv_transpose_and_pad_array_shared_kernelILj256ELj32E21rocsparse_complex_numIdEEEviiiPKT1_PS3_S3_,comdat
.Lfunc_end316:
	.size	_ZN9rocsparseL42gtsv_transpose_and_pad_array_shared_kernelILj256ELj32E21rocsparse_complex_numIdEEEviiiPKT1_PS3_S3_, .Lfunc_end316-_ZN9rocsparseL42gtsv_transpose_and_pad_array_shared_kernelILj256ELj32E21rocsparse_complex_numIdEEEviiiPKT1_PS3_S3_
                                        ; -- End function
	.set _ZN9rocsparseL42gtsv_transpose_and_pad_array_shared_kernelILj256ELj32E21rocsparse_complex_numIdEEEviiiPKT1_PS3_S3_.num_vgpr, 7
	.set _ZN9rocsparseL42gtsv_transpose_and_pad_array_shared_kernelILj256ELj32E21rocsparse_complex_numIdEEEviiiPKT1_PS3_S3_.num_agpr, 0
	.set _ZN9rocsparseL42gtsv_transpose_and_pad_array_shared_kernelILj256ELj32E21rocsparse_complex_numIdEEEviiiPKT1_PS3_S3_.numbered_sgpr, 16
	.set _ZN9rocsparseL42gtsv_transpose_and_pad_array_shared_kernelILj256ELj32E21rocsparse_complex_numIdEEEviiiPKT1_PS3_S3_.num_named_barrier, 0
	.set _ZN9rocsparseL42gtsv_transpose_and_pad_array_shared_kernelILj256ELj32E21rocsparse_complex_numIdEEEviiiPKT1_PS3_S3_.private_seg_size, 0
	.set _ZN9rocsparseL42gtsv_transpose_and_pad_array_shared_kernelILj256ELj32E21rocsparse_complex_numIdEEEviiiPKT1_PS3_S3_.uses_vcc, 1
	.set _ZN9rocsparseL42gtsv_transpose_and_pad_array_shared_kernelILj256ELj32E21rocsparse_complex_numIdEEEviiiPKT1_PS3_S3_.uses_flat_scratch, 0
	.set _ZN9rocsparseL42gtsv_transpose_and_pad_array_shared_kernelILj256ELj32E21rocsparse_complex_numIdEEEviiiPKT1_PS3_S3_.has_dyn_sized_stack, 0
	.set _ZN9rocsparseL42gtsv_transpose_and_pad_array_shared_kernelILj256ELj32E21rocsparse_complex_numIdEEEviiiPKT1_PS3_S3_.has_recursion, 0
	.set _ZN9rocsparseL42gtsv_transpose_and_pad_array_shared_kernelILj256ELj32E21rocsparse_complex_numIdEEEviiiPKT1_PS3_S3_.has_indirect_call, 0
	.section	.AMDGPU.csdata,"",@progbits
; Kernel info:
; codeLenInByte = 276
; TotalNumSgprs: 20
; NumVgprs: 7
; ScratchSize: 0
; MemoryBound: 0
; FloatMode: 240
; IeeeMode: 1
; LDSByteSize: 4096 bytes/workgroup (compile time only)
; SGPRBlocks: 2
; VGPRBlocks: 1
; NumSGPRsForWavesPerEU: 20
; NumVGPRsForWavesPerEU: 7
; Occupancy: 10
; WaveLimiterHint : 0
; COMPUTE_PGM_RSRC2:SCRATCH_EN: 0
; COMPUTE_PGM_RSRC2:USER_SGPR: 6
; COMPUTE_PGM_RSRC2:TRAP_HANDLER: 0
; COMPUTE_PGM_RSRC2:TGID_X_EN: 1
; COMPUTE_PGM_RSRC2:TGID_Y_EN: 1
; COMPUTE_PGM_RSRC2:TGID_Z_EN: 0
; COMPUTE_PGM_RSRC2:TIDIG_COMP_CNT: 0
	.section	.text._ZN9rocsparseL18gtsv_LBM_wv_kernelILj256ELj32E21rocsparse_complex_numIdEEEviiiPKT1_S5_S5_PS3_S6_S6_Pi,"axG",@progbits,_ZN9rocsparseL18gtsv_LBM_wv_kernelILj256ELj32E21rocsparse_complex_numIdEEEviiiPKT1_S5_S5_PS3_S6_S6_Pi,comdat
	.globl	_ZN9rocsparseL18gtsv_LBM_wv_kernelILj256ELj32E21rocsparse_complex_numIdEEEviiiPKT1_S5_S5_PS3_S6_S6_Pi ; -- Begin function _ZN9rocsparseL18gtsv_LBM_wv_kernelILj256ELj32E21rocsparse_complex_numIdEEEviiiPKT1_S5_S5_PS3_S6_S6_Pi
	.p2align	8
	.type	_ZN9rocsparseL18gtsv_LBM_wv_kernelILj256ELj32E21rocsparse_complex_numIdEEEviiiPKT1_S5_S5_PS3_S6_S6_Pi,@function
_ZN9rocsparseL18gtsv_LBM_wv_kernelILj256ELj32E21rocsparse_complex_numIdEEEviiiPKT1_S5_S5_PS3_S6_S6_Pi: ; @_ZN9rocsparseL18gtsv_LBM_wv_kernelILj256ELj32E21rocsparse_complex_numIdEEEviiiPKT1_S5_S5_PS3_S6_S6_Pi
; %bb.0:
	s_load_dword s29, s[4:5], 0x0
	v_lshl_or_b32 v40, s6, 8, v0
	s_waitcnt lgkmcnt(0)
	s_lshr_b32 s28, s29, 5
	v_cmp_gt_i32_e32 vcc, s28, v40
	s_and_saveexec_b64 s[0:1], vcc
	s_cbranch_execz .LBB317_72
; %bb.1:
	s_load_dwordx2 s[16:17], s[4:5], 0x10
	s_load_dwordx8 s[8:15], s[4:5], 0x20
	v_ashrrev_i32_e32 v41, 31, v40
	v_lshlrev_b64 v[0:1], 4, v[40:41]
	s_mul_i32 s30, s28, 31
	v_add_u32_e32 v9, s30, v40
	v_mov_b32_e32 v10, 0
	s_waitcnt lgkmcnt(0)
	v_mov_b32_e32 v3, s17
	v_add_co_u32_e32 v2, vcc, s16, v0
	v_lshlrev_b64 v[11:12], 4, v[9:10]
	v_addc_co_u32_e32 v3, vcc, v3, v1, vcc
	v_mov_b32_e32 v7, s9
	v_add_co_u32_e32 v6, vcc, s8, v11
	global_load_dwordx4 v[2:5], v[2:3], off
	v_addc_co_u32_e32 v7, vcc, v7, v12, vcc
	global_load_dwordx4 v[6:9], v[6:7], off
	s_load_dwordx2 s[6:7], s[4:5], 0x40
	v_mov_b32_e32 v13, s13
	v_add_co_u32_e32 v11, vcc, s12, v11
	v_addc_co_u32_e32 v12, vcc, v13, v12, vcc
	v_mov_b32_e32 v14, s11
	v_add_co_u32_e32 v41, vcc, s10, v0
	s_cmp_lt_i32 s29, 1
	v_add_u32_e32 v61, s28, v40
	v_addc_co_u32_e32 v42, vcc, v14, v1, vcc
	v_mov_b32_e32 v43, v10
	s_waitcnt vmcnt(1)
	global_store_dwordx4 v[41:42], v[2:5], off
	s_waitcnt vmcnt(1)
	global_store_dwordx4 v[11:12], v[6:9], off
	s_cbranch_scc1 .LBB317_65
; %bb.2:
	s_load_dwordx2 s[18:19], s[4:5], 0x18
	s_mov_b32 s22, 0
	s_mov_b32 s24, 0x372fe950
	s_mul_i32 s31, s28, 30
	s_lshl_b32 s33, s28, 1
	s_waitcnt lgkmcnt(0)
	v_mov_b32_e32 v2, s19
	v_add_co_u32_e32 v0, vcc, s18, v0
	v_addc_co_u32_e32 v1, vcc, v2, v1, vcc
	global_load_dwordx4 v[0:3], v[0:1], off
	v_add_u32_e32 v62, s28, v61
	v_mov_b32_e32 v43, 0
	s_mov_b64 s[20:21], 0
	s_brev_b32 s23, 8
	v_mov_b32_e32 v63, 0x260
	s_mov_b32 s25, 0x3fe3c6ef
	v_mov_b32_e32 v64, 2
	v_mov_b32_e32 v65, 1
	;; [unrolled: 1-line block ×4, first 2 shown]
	s_branch .LBB317_5
.LBB317_3:                              ;   in Loop: Header=BB317_5 Depth=1
	s_or_b64 exec, exec, s[4:5]
	v_mul_f64 v[4:5], v[0:1], -v[32:33]
	v_mul_f64 v[0:1], v[0:1], v[34:35]
	v_mov_b32_e32 v8, s28
	v_fma_f64 v[4:5], v[34:35], v[2:3], v[4:5]
	v_fma_f64 v[2:3], v[32:33], v[2:3], v[0:1]
	v_add_f64 v[0:1], v[20:21], -v[4:5]
	v_add_f64 v[2:3], v[22:23], -v[2:3]
.LBB317_4:                              ;   in Loop: Header=BB317_5 Depth=1
	s_or_b64 exec, exec, s[2:3]
	v_add_u32_e32 v43, v8, v43
	v_cmp_le_i32_e32 vcc, s29, v43
	s_or_b64 s[20:21], vcc, s[20:21]
	s_andn2_b64 exec, exec, s[20:21]
	s_cbranch_execz .LBB317_64
.LBB317_5:                              ; =>This Inner Loop Header: Depth=1
	v_add_u32_e32 v45, v43, v40
	v_ashrrev_i32_e32 v46, 31, v45
	v_lshlrev_b64 v[47:48], 4, v[45:46]
	v_mov_b32_e32 v5, s9
	v_add_co_u32_e32 v4, vcc, s8, v47
	v_addc_co_u32_e32 v5, vcc, v5, v48, vcc
	global_load_dwordx4 v[16:19], v[4:5], off
	v_mov_b32_e32 v20, 0
	v_mov_b32_e32 v4, 0
	v_mov_b32_e32 v6, 0
	v_mov_b32_e32 v21, 0
	v_mov_b32_e32 v5, 0
	v_mov_b32_e32 v7, 0
	v_cmp_gt_u32_e64 s[0:1], s30, v43
	s_and_saveexec_b64 s[2:3], s[0:1]
	s_cbranch_execz .LBB317_7
; %bb.6:                                ;   in Loop: Header=BB317_5 Depth=1
	v_add_u32_e32 v4, v61, v43
	v_ashrrev_i32_e32 v5, 31, v4
	v_lshlrev_b64 v[4:5], 4, v[4:5]
	v_mov_b32_e32 v6, s17
	v_add_co_u32_e32 v4, vcc, s16, v4
	v_addc_co_u32_e32 v5, vcc, v6, v5, vcc
	global_load_dwordx4 v[4:7], v[4:5], off
.LBB317_7:                              ;   in Loop: Header=BB317_5 Depth=1
	s_or_b64 exec, exec, s[2:3]
	v_mov_b32_e32 v22, 0
	v_mov_b32_e32 v23, 0
	s_and_saveexec_b64 s[2:3], s[0:1]
	s_cbranch_execz .LBB317_9
; %bb.8:                                ;   in Loop: Header=BB317_5 Depth=1
	v_add_u32_e32 v8, v61, v43
	v_ashrrev_i32_e32 v9, 31, v8
	v_lshlrev_b64 v[8:9], 4, v[8:9]
	v_mov_b32_e32 v10, s19
	v_add_co_u32_e32 v8, vcc, s18, v8
	v_addc_co_u32_e32 v9, vcc, v10, v9, vcc
	global_load_dwordx4 v[20:23], v[8:9], off
.LBB317_9:                              ;   in Loop: Header=BB317_5 Depth=1
	s_or_b64 exec, exec, s[2:3]
	v_mov_b32_e32 v12, 0
	v_mov_b32_e32 v8, 0
	;; [unrolled: 1-line block ×6, first 2 shown]
	s_and_saveexec_b64 s[2:3], s[0:1]
	s_cbranch_execz .LBB317_11
; %bb.10:                               ;   in Loop: Header=BB317_5 Depth=1
	v_add_u32_e32 v8, v61, v43
	v_ashrrev_i32_e32 v9, 31, v8
	v_lshlrev_b64 v[8:9], 4, v[8:9]
	v_mov_b32_e32 v10, s9
	v_add_co_u32_e32 v8, vcc, s8, v8
	v_addc_co_u32_e32 v9, vcc, v10, v9, vcc
	global_load_dwordx4 v[8:11], v[8:9], off
.LBB317_11:                             ;   in Loop: Header=BB317_5 Depth=1
	s_or_b64 exec, exec, s[2:3]
	v_mov_b32_e32 v14, 0
	v_mov_b32_e32 v15, 0
	v_cmp_gt_u32_e64 s[2:3], s31, v43
	s_and_saveexec_b64 s[4:5], s[2:3]
	s_cbranch_execz .LBB317_13
; %bb.12:                               ;   in Loop: Header=BB317_5 Depth=1
	v_add_u32_e32 v12, v62, v43
	v_ashrrev_i32_e32 v13, 31, v12
	v_lshlrev_b64 v[12:13], 4, v[12:13]
	v_mov_b32_e32 v14, s17
	v_add_co_u32_e32 v12, vcc, s16, v12
	v_addc_co_u32_e32 v13, vcc, v14, v13, vcc
	global_load_dwordx4 v[12:15], v[12:13], off
.LBB317_13:                             ;   in Loop: Header=BB317_5 Depth=1
	s_or_b64 exec, exec, s[4:5]
	s_waitcnt vmcnt(0)
	v_cmp_gt_f64_e32 vcc, 0, v[4:5]
	v_xor_b32_e32 v24, 0x80000000, v5
	v_mov_b32_e32 v26, v4
	v_mov_b32_e32 v28, v6
	v_cndmask_b32_e32 v27, v5, v24, vcc
	v_cmp_gt_f64_e32 vcc, 0, v[6:7]
	v_xor_b32_e32 v24, 0x80000000, v7
	v_cndmask_b32_e32 v29, v7, v24, vcc
	v_cmp_ngt_f64_e32 vcc, v[26:27], v[28:29]
                                        ; implicit-def: $vgpr24_vgpr25
	s_and_saveexec_b64 s[4:5], vcc
	s_xor_b64 s[4:5], exec, s[4:5]
	s_cbranch_execz .LBB317_17
; %bb.14:                               ;   in Loop: Header=BB317_5 Depth=1
	v_cmp_neq_f64_e32 vcc, 0, v[6:7]
	v_mov_b32_e32 v24, 0
	v_mov_b32_e32 v25, 0
	s_and_saveexec_b64 s[26:27], vcc
	s_cbranch_execz .LBB317_16
; %bb.15:                               ;   in Loop: Header=BB317_5 Depth=1
	v_div_scale_f64 v[24:25], s[34:35], v[28:29], v[28:29], v[26:27]
	v_rcp_f64_e32 v[30:31], v[24:25]
	v_fma_f64 v[32:33], -v[24:25], v[30:31], 1.0
	v_fma_f64 v[30:31], v[30:31], v[32:33], v[30:31]
	v_div_scale_f64 v[32:33], vcc, v[26:27], v[28:29], v[26:27]
	v_fma_f64 v[34:35], -v[24:25], v[30:31], 1.0
	v_fma_f64 v[30:31], v[30:31], v[34:35], v[30:31]
	v_mul_f64 v[34:35], v[32:33], v[30:31]
	v_fma_f64 v[24:25], -v[24:25], v[34:35], v[32:33]
	v_div_fmas_f64 v[24:25], v[24:25], v[30:31], v[34:35]
	v_div_fixup_f64 v[24:25], v[24:25], v[28:29], v[26:27]
	v_fma_f64 v[24:25], v[24:25], v[24:25], 1.0
	v_cmp_gt_f64_e32 vcc, s[22:23], v[24:25]
	v_cndmask_b32_e32 v26, 0, v66, vcc
	v_ldexp_f64 v[24:25], v[24:25], v26
	v_rsq_f64_e32 v[26:27], v[24:25]
	v_mul_f64 v[30:31], v[24:25], v[26:27]
	v_mul_f64 v[26:27], v[26:27], 0.5
	v_fma_f64 v[32:33], -v[26:27], v[30:31], 0.5
	v_fma_f64 v[30:31], v[30:31], v[32:33], v[30:31]
	v_fma_f64 v[26:27], v[26:27], v[32:33], v[26:27]
	v_fma_f64 v[32:33], -v[30:31], v[30:31], v[24:25]
	v_fma_f64 v[30:31], v[32:33], v[26:27], v[30:31]
	v_fma_f64 v[32:33], -v[30:31], v[30:31], v[24:25]
	v_fma_f64 v[26:27], v[32:33], v[26:27], v[30:31]
	v_cndmask_b32_e32 v30, 0, v67, vcc
	v_cmp_class_f64_e32 vcc, v[24:25], v63
	v_ldexp_f64 v[26:27], v[26:27], v30
	v_cndmask_b32_e32 v25, v27, v25, vcc
	v_cndmask_b32_e32 v24, v26, v24, vcc
	v_mul_f64 v[24:25], v[28:29], v[24:25]
.LBB317_16:                             ;   in Loop: Header=BB317_5 Depth=1
	s_or_b64 exec, exec, s[26:27]
                                        ; implicit-def: $vgpr26_vgpr27
                                        ; implicit-def: $vgpr28_vgpr29
.LBB317_17:                             ;   in Loop: Header=BB317_5 Depth=1
	s_andn2_saveexec_b64 s[4:5], s[4:5]
	s_cbranch_execz .LBB317_19
; %bb.18:                               ;   in Loop: Header=BB317_5 Depth=1
	v_div_scale_f64 v[24:25], s[26:27], v[26:27], v[26:27], v[28:29]
	v_rcp_f64_e32 v[30:31], v[24:25]
	v_fma_f64 v[32:33], -v[24:25], v[30:31], 1.0
	v_fma_f64 v[30:31], v[30:31], v[32:33], v[30:31]
	v_div_scale_f64 v[32:33], vcc, v[28:29], v[26:27], v[28:29]
	v_fma_f64 v[34:35], -v[24:25], v[30:31], 1.0
	v_fma_f64 v[30:31], v[30:31], v[34:35], v[30:31]
	v_mul_f64 v[34:35], v[32:33], v[30:31]
	v_fma_f64 v[24:25], -v[24:25], v[34:35], v[32:33]
	v_div_fmas_f64 v[24:25], v[24:25], v[30:31], v[34:35]
	v_div_fixup_f64 v[24:25], v[24:25], v[26:27], v[28:29]
	v_fma_f64 v[24:25], v[24:25], v[24:25], 1.0
	v_cmp_gt_f64_e32 vcc, s[22:23], v[24:25]
	v_cndmask_b32_e32 v28, 0, v66, vcc
	v_ldexp_f64 v[24:25], v[24:25], v28
	v_rsq_f64_e32 v[28:29], v[24:25]
	v_mul_f64 v[30:31], v[24:25], v[28:29]
	v_mul_f64 v[28:29], v[28:29], 0.5
	v_fma_f64 v[32:33], -v[28:29], v[30:31], 0.5
	v_fma_f64 v[30:31], v[30:31], v[32:33], v[30:31]
	v_fma_f64 v[28:29], v[28:29], v[32:33], v[28:29]
	v_fma_f64 v[32:33], -v[30:31], v[30:31], v[24:25]
	v_fma_f64 v[30:31], v[32:33], v[28:29], v[30:31]
	v_fma_f64 v[32:33], -v[30:31], v[30:31], v[24:25]
	v_fma_f64 v[28:29], v[32:33], v[28:29], v[30:31]
	v_cndmask_b32_e32 v30, 0, v67, vcc
	v_cmp_class_f64_e32 vcc, v[24:25], v63
	v_ldexp_f64 v[28:29], v[28:29], v30
	v_cndmask_b32_e32 v25, v29, v25, vcc
	v_cndmask_b32_e32 v24, v28, v24, vcc
	v_mul_f64 v[24:25], v[26:27], v[24:25]
.LBB317_19:                             ;   in Loop: Header=BB317_5 Depth=1
	s_or_b64 exec, exec, s[4:5]
	v_cmp_gt_f64_e32 vcc, 0, v[12:13]
	v_xor_b32_e32 v26, 0x80000000, v13
	v_mov_b32_e32 v28, v12
	v_mov_b32_e32 v30, v14
	v_cndmask_b32_e32 v29, v13, v26, vcc
	v_cmp_gt_f64_e32 vcc, 0, v[14:15]
	v_xor_b32_e32 v26, 0x80000000, v15
	v_cndmask_b32_e32 v31, v15, v26, vcc
	v_cmp_ngt_f64_e32 vcc, v[28:29], v[30:31]
                                        ; implicit-def: $vgpr26_vgpr27
	s_and_saveexec_b64 s[4:5], vcc
	s_xor_b64 s[4:5], exec, s[4:5]
	s_cbranch_execz .LBB317_23
; %bb.20:                               ;   in Loop: Header=BB317_5 Depth=1
	v_cmp_neq_f64_e32 vcc, 0, v[14:15]
	v_mov_b32_e32 v26, 0
	v_mov_b32_e32 v27, 0
	s_and_saveexec_b64 s[26:27], vcc
	s_cbranch_execz .LBB317_22
; %bb.21:                               ;   in Loop: Header=BB317_5 Depth=1
	v_div_scale_f64 v[26:27], s[34:35], v[30:31], v[30:31], v[28:29]
	v_rcp_f64_e32 v[32:33], v[26:27]
	v_fma_f64 v[34:35], -v[26:27], v[32:33], 1.0
	v_fma_f64 v[32:33], v[32:33], v[34:35], v[32:33]
	v_div_scale_f64 v[34:35], vcc, v[28:29], v[30:31], v[28:29]
	v_fma_f64 v[36:37], -v[26:27], v[32:33], 1.0
	v_fma_f64 v[32:33], v[32:33], v[36:37], v[32:33]
	v_mul_f64 v[36:37], v[34:35], v[32:33]
	v_fma_f64 v[26:27], -v[26:27], v[36:37], v[34:35]
	v_div_fmas_f64 v[26:27], v[26:27], v[32:33], v[36:37]
	v_div_fixup_f64 v[26:27], v[26:27], v[30:31], v[28:29]
	v_fma_f64 v[26:27], v[26:27], v[26:27], 1.0
	v_cmp_gt_f64_e32 vcc, s[22:23], v[26:27]
	v_cndmask_b32_e32 v28, 0, v66, vcc
	v_ldexp_f64 v[26:27], v[26:27], v28
	v_rsq_f64_e32 v[28:29], v[26:27]
	v_mul_f64 v[32:33], v[26:27], v[28:29]
	v_mul_f64 v[28:29], v[28:29], 0.5
	v_fma_f64 v[34:35], -v[28:29], v[32:33], 0.5
	v_fma_f64 v[32:33], v[32:33], v[34:35], v[32:33]
	v_fma_f64 v[28:29], v[28:29], v[34:35], v[28:29]
	v_fma_f64 v[34:35], -v[32:33], v[32:33], v[26:27]
	v_fma_f64 v[32:33], v[34:35], v[28:29], v[32:33]
	v_fma_f64 v[34:35], -v[32:33], v[32:33], v[26:27]
	v_fma_f64 v[28:29], v[34:35], v[28:29], v[32:33]
	v_cndmask_b32_e32 v32, 0, v67, vcc
	v_cmp_class_f64_e32 vcc, v[26:27], v63
	v_ldexp_f64 v[28:29], v[28:29], v32
	v_cndmask_b32_e32 v27, v29, v27, vcc
	v_cndmask_b32_e32 v26, v28, v26, vcc
	v_mul_f64 v[26:27], v[30:31], v[26:27]
.LBB317_22:                             ;   in Loop: Header=BB317_5 Depth=1
	s_or_b64 exec, exec, s[26:27]
                                        ; implicit-def: $vgpr28_vgpr29
                                        ; implicit-def: $vgpr30_vgpr31
.LBB317_23:                             ;   in Loop: Header=BB317_5 Depth=1
	s_andn2_saveexec_b64 s[4:5], s[4:5]
	s_cbranch_execz .LBB317_25
; %bb.24:                               ;   in Loop: Header=BB317_5 Depth=1
	v_div_scale_f64 v[26:27], s[26:27], v[28:29], v[28:29], v[30:31]
	v_rcp_f64_e32 v[32:33], v[26:27]
	v_fma_f64 v[34:35], -v[26:27], v[32:33], 1.0
	v_fma_f64 v[32:33], v[32:33], v[34:35], v[32:33]
	v_div_scale_f64 v[34:35], vcc, v[30:31], v[28:29], v[30:31]
	v_fma_f64 v[36:37], -v[26:27], v[32:33], 1.0
	v_fma_f64 v[32:33], v[32:33], v[36:37], v[32:33]
	v_mul_f64 v[36:37], v[34:35], v[32:33]
	v_fma_f64 v[26:27], -v[26:27], v[36:37], v[34:35]
	v_div_fmas_f64 v[26:27], v[26:27], v[32:33], v[36:37]
	v_div_fixup_f64 v[26:27], v[26:27], v[28:29], v[30:31]
	v_fma_f64 v[26:27], v[26:27], v[26:27], 1.0
	v_cmp_gt_f64_e32 vcc, s[22:23], v[26:27]
	v_cndmask_b32_e32 v30, 0, v66, vcc
	v_ldexp_f64 v[26:27], v[26:27], v30
	v_rsq_f64_e32 v[30:31], v[26:27]
	v_mul_f64 v[32:33], v[26:27], v[30:31]
	v_mul_f64 v[30:31], v[30:31], 0.5
	v_fma_f64 v[34:35], -v[30:31], v[32:33], 0.5
	v_fma_f64 v[32:33], v[32:33], v[34:35], v[32:33]
	v_fma_f64 v[30:31], v[30:31], v[34:35], v[30:31]
	v_fma_f64 v[34:35], -v[32:33], v[32:33], v[26:27]
	v_fma_f64 v[32:33], v[34:35], v[30:31], v[32:33]
	v_fma_f64 v[34:35], -v[32:33], v[32:33], v[26:27]
	v_fma_f64 v[30:31], v[34:35], v[30:31], v[32:33]
	v_cndmask_b32_e32 v32, 0, v67, vcc
	v_cmp_class_f64_e32 vcc, v[26:27], v63
	v_ldexp_f64 v[30:31], v[30:31], v32
	v_cndmask_b32_e32 v27, v31, v27, vcc
	v_cndmask_b32_e32 v26, v30, v26, vcc
	v_mul_f64 v[26:27], v[28:29], v[26:27]
.LBB317_25:                             ;   in Loop: Header=BB317_5 Depth=1
	s_or_b64 exec, exec, s[4:5]
	v_cmp_gt_f64_e32 vcc, 0, v[20:21]
	v_xor_b32_e32 v28, 0x80000000, v21
	v_mov_b32_e32 v30, v20
	v_mov_b32_e32 v32, v22
	v_cndmask_b32_e32 v31, v21, v28, vcc
	v_cmp_gt_f64_e32 vcc, 0, v[22:23]
	v_xor_b32_e32 v28, 0x80000000, v23
	v_cndmask_b32_e32 v33, v23, v28, vcc
	v_cmp_ngt_f64_e32 vcc, v[30:31], v[32:33]
                                        ; implicit-def: $vgpr28_vgpr29
	s_and_saveexec_b64 s[4:5], vcc
	s_xor_b64 s[4:5], exec, s[4:5]
	s_cbranch_execz .LBB317_29
; %bb.26:                               ;   in Loop: Header=BB317_5 Depth=1
	v_cmp_neq_f64_e32 vcc, 0, v[22:23]
	v_mov_b32_e32 v28, 0
	v_mov_b32_e32 v29, 0
	s_and_saveexec_b64 s[26:27], vcc
	s_cbranch_execz .LBB317_28
; %bb.27:                               ;   in Loop: Header=BB317_5 Depth=1
	v_div_scale_f64 v[28:29], s[34:35], v[32:33], v[32:33], v[30:31]
	v_rcp_f64_e32 v[34:35], v[28:29]
	v_fma_f64 v[36:37], -v[28:29], v[34:35], 1.0
	v_fma_f64 v[34:35], v[34:35], v[36:37], v[34:35]
	v_div_scale_f64 v[36:37], vcc, v[30:31], v[32:33], v[30:31]
	v_fma_f64 v[38:39], -v[28:29], v[34:35], 1.0
	v_fma_f64 v[34:35], v[34:35], v[38:39], v[34:35]
	v_mul_f64 v[38:39], v[36:37], v[34:35]
	v_fma_f64 v[28:29], -v[28:29], v[38:39], v[36:37]
	v_div_fmas_f64 v[28:29], v[28:29], v[34:35], v[38:39]
	v_div_fixup_f64 v[28:29], v[28:29], v[32:33], v[30:31]
	v_fma_f64 v[28:29], v[28:29], v[28:29], 1.0
	v_cmp_gt_f64_e32 vcc, s[22:23], v[28:29]
	v_cndmask_b32_e32 v30, 0, v66, vcc
	v_ldexp_f64 v[28:29], v[28:29], v30
	v_rsq_f64_e32 v[30:31], v[28:29]
	v_mul_f64 v[34:35], v[28:29], v[30:31]
	v_mul_f64 v[30:31], v[30:31], 0.5
	v_fma_f64 v[36:37], -v[30:31], v[34:35], 0.5
	v_fma_f64 v[34:35], v[34:35], v[36:37], v[34:35]
	v_fma_f64 v[30:31], v[30:31], v[36:37], v[30:31]
	v_fma_f64 v[36:37], -v[34:35], v[34:35], v[28:29]
	v_fma_f64 v[34:35], v[36:37], v[30:31], v[34:35]
	v_fma_f64 v[36:37], -v[34:35], v[34:35], v[28:29]
	v_fma_f64 v[30:31], v[36:37], v[30:31], v[34:35]
	v_cndmask_b32_e32 v34, 0, v67, vcc
	v_cmp_class_f64_e32 vcc, v[28:29], v63
	v_ldexp_f64 v[30:31], v[30:31], v34
	v_cndmask_b32_e32 v29, v31, v29, vcc
	v_cndmask_b32_e32 v28, v30, v28, vcc
	v_mul_f64 v[28:29], v[32:33], v[28:29]
.LBB317_28:                             ;   in Loop: Header=BB317_5 Depth=1
	s_or_b64 exec, exec, s[26:27]
                                        ; implicit-def: $vgpr30_vgpr31
                                        ; implicit-def: $vgpr32_vgpr33
.LBB317_29:                             ;   in Loop: Header=BB317_5 Depth=1
	s_andn2_saveexec_b64 s[4:5], s[4:5]
	s_cbranch_execz .LBB317_31
; %bb.30:                               ;   in Loop: Header=BB317_5 Depth=1
	v_div_scale_f64 v[28:29], s[26:27], v[30:31], v[30:31], v[32:33]
	v_rcp_f64_e32 v[34:35], v[28:29]
	v_fma_f64 v[36:37], -v[28:29], v[34:35], 1.0
	v_fma_f64 v[34:35], v[34:35], v[36:37], v[34:35]
	v_div_scale_f64 v[36:37], vcc, v[32:33], v[30:31], v[32:33]
	v_fma_f64 v[38:39], -v[28:29], v[34:35], 1.0
	v_fma_f64 v[34:35], v[34:35], v[38:39], v[34:35]
	v_mul_f64 v[38:39], v[36:37], v[34:35]
	v_fma_f64 v[28:29], -v[28:29], v[38:39], v[36:37]
	v_div_fmas_f64 v[28:29], v[28:29], v[34:35], v[38:39]
	v_div_fixup_f64 v[28:29], v[28:29], v[30:31], v[32:33]
	v_fma_f64 v[28:29], v[28:29], v[28:29], 1.0
	v_cmp_gt_f64_e32 vcc, s[22:23], v[28:29]
	v_cndmask_b32_e32 v32, 0, v66, vcc
	v_ldexp_f64 v[28:29], v[28:29], v32
	v_rsq_f64_e32 v[32:33], v[28:29]
	v_mul_f64 v[34:35], v[28:29], v[32:33]
	v_mul_f64 v[32:33], v[32:33], 0.5
	v_fma_f64 v[36:37], -v[32:33], v[34:35], 0.5
	v_fma_f64 v[34:35], v[34:35], v[36:37], v[34:35]
	v_fma_f64 v[32:33], v[32:33], v[36:37], v[32:33]
	v_fma_f64 v[36:37], -v[34:35], v[34:35], v[28:29]
	v_fma_f64 v[34:35], v[36:37], v[32:33], v[34:35]
	v_fma_f64 v[36:37], -v[34:35], v[34:35], v[28:29]
	v_fma_f64 v[32:33], v[36:37], v[32:33], v[34:35]
	v_cndmask_b32_e32 v34, 0, v67, vcc
	v_cmp_class_f64_e32 vcc, v[28:29], v63
	v_ldexp_f64 v[32:33], v[32:33], v34
	v_cndmask_b32_e32 v29, v33, v29, vcc
	v_cndmask_b32_e32 v28, v32, v28, vcc
	v_mul_f64 v[28:29], v[30:31], v[28:29]
.LBB317_31:                             ;   in Loop: Header=BB317_5 Depth=1
	s_or_b64 exec, exec, s[4:5]
	v_cmp_gt_f64_e32 vcc, 0, v[16:17]
	v_xor_b32_e32 v30, 0x80000000, v17
	v_mov_b32_e32 v32, v16
	v_mov_b32_e32 v34, v18
	v_cndmask_b32_e32 v33, v17, v30, vcc
	v_cmp_gt_f64_e32 vcc, 0, v[18:19]
	v_xor_b32_e32 v30, 0x80000000, v19
	v_cndmask_b32_e32 v35, v19, v30, vcc
	v_cmp_ngt_f64_e32 vcc, v[32:33], v[34:35]
                                        ; implicit-def: $vgpr30_vgpr31
	s_and_saveexec_b64 s[4:5], vcc
	s_xor_b64 s[4:5], exec, s[4:5]
	s_cbranch_execz .LBB317_35
; %bb.32:                               ;   in Loop: Header=BB317_5 Depth=1
	v_cmp_neq_f64_e32 vcc, 0, v[18:19]
	v_mov_b32_e32 v30, 0
	v_mov_b32_e32 v31, 0
	s_and_saveexec_b64 s[26:27], vcc
	s_cbranch_execz .LBB317_34
; %bb.33:                               ;   in Loop: Header=BB317_5 Depth=1
	v_div_scale_f64 v[30:31], s[34:35], v[34:35], v[34:35], v[32:33]
	v_rcp_f64_e32 v[36:37], v[30:31]
	v_fma_f64 v[38:39], -v[30:31], v[36:37], 1.0
	v_fma_f64 v[36:37], v[36:37], v[38:39], v[36:37]
	v_div_scale_f64 v[38:39], vcc, v[32:33], v[34:35], v[32:33]
	v_fma_f64 v[49:50], -v[30:31], v[36:37], 1.0
	v_fma_f64 v[36:37], v[36:37], v[49:50], v[36:37]
	v_mul_f64 v[49:50], v[38:39], v[36:37]
	v_fma_f64 v[30:31], -v[30:31], v[49:50], v[38:39]
	v_div_fmas_f64 v[30:31], v[30:31], v[36:37], v[49:50]
	v_div_fixup_f64 v[30:31], v[30:31], v[34:35], v[32:33]
	v_fma_f64 v[30:31], v[30:31], v[30:31], 1.0
	v_cmp_gt_f64_e32 vcc, s[22:23], v[30:31]
	v_cndmask_b32_e32 v32, 0, v66, vcc
	v_ldexp_f64 v[30:31], v[30:31], v32
	v_rsq_f64_e32 v[32:33], v[30:31]
	v_mul_f64 v[36:37], v[30:31], v[32:33]
	v_mul_f64 v[32:33], v[32:33], 0.5
	v_fma_f64 v[38:39], -v[32:33], v[36:37], 0.5
	v_fma_f64 v[36:37], v[36:37], v[38:39], v[36:37]
	v_fma_f64 v[32:33], v[32:33], v[38:39], v[32:33]
	v_fma_f64 v[38:39], -v[36:37], v[36:37], v[30:31]
	v_fma_f64 v[36:37], v[38:39], v[32:33], v[36:37]
	v_fma_f64 v[38:39], -v[36:37], v[36:37], v[30:31]
	v_fma_f64 v[32:33], v[38:39], v[32:33], v[36:37]
	v_cndmask_b32_e32 v36, 0, v67, vcc
	v_cmp_class_f64_e32 vcc, v[30:31], v63
	v_ldexp_f64 v[32:33], v[32:33], v36
	v_cndmask_b32_e32 v31, v33, v31, vcc
	v_cndmask_b32_e32 v30, v32, v30, vcc
	v_mul_f64 v[30:31], v[34:35], v[30:31]
.LBB317_34:                             ;   in Loop: Header=BB317_5 Depth=1
	s_or_b64 exec, exec, s[26:27]
                                        ; implicit-def: $vgpr32_vgpr33
                                        ; implicit-def: $vgpr34_vgpr35
.LBB317_35:                             ;   in Loop: Header=BB317_5 Depth=1
	s_andn2_saveexec_b64 s[4:5], s[4:5]
	s_cbranch_execz .LBB317_37
; %bb.36:                               ;   in Loop: Header=BB317_5 Depth=1
	v_div_scale_f64 v[30:31], s[26:27], v[32:33], v[32:33], v[34:35]
	v_rcp_f64_e32 v[36:37], v[30:31]
	v_fma_f64 v[38:39], -v[30:31], v[36:37], 1.0
	v_fma_f64 v[36:37], v[36:37], v[38:39], v[36:37]
	v_div_scale_f64 v[38:39], vcc, v[34:35], v[32:33], v[34:35]
	v_fma_f64 v[49:50], -v[30:31], v[36:37], 1.0
	v_fma_f64 v[36:37], v[36:37], v[49:50], v[36:37]
	v_mul_f64 v[49:50], v[38:39], v[36:37]
	v_fma_f64 v[30:31], -v[30:31], v[49:50], v[38:39]
	v_div_fmas_f64 v[30:31], v[30:31], v[36:37], v[49:50]
	v_div_fixup_f64 v[30:31], v[30:31], v[32:33], v[34:35]
	v_fma_f64 v[30:31], v[30:31], v[30:31], 1.0
	v_cmp_gt_f64_e32 vcc, s[22:23], v[30:31]
	v_cndmask_b32_e32 v34, 0, v66, vcc
	v_ldexp_f64 v[30:31], v[30:31], v34
	v_rsq_f64_e32 v[34:35], v[30:31]
	v_mul_f64 v[36:37], v[30:31], v[34:35]
	v_mul_f64 v[34:35], v[34:35], 0.5
	v_fma_f64 v[38:39], -v[34:35], v[36:37], 0.5
	v_fma_f64 v[36:37], v[36:37], v[38:39], v[36:37]
	v_fma_f64 v[34:35], v[34:35], v[38:39], v[34:35]
	v_fma_f64 v[38:39], -v[36:37], v[36:37], v[30:31]
	v_fma_f64 v[36:37], v[38:39], v[34:35], v[36:37]
	v_fma_f64 v[38:39], -v[36:37], v[36:37], v[30:31]
	v_fma_f64 v[34:35], v[38:39], v[34:35], v[36:37]
	v_cndmask_b32_e32 v36, 0, v67, vcc
	v_cmp_class_f64_e32 vcc, v[30:31], v63
	v_ldexp_f64 v[34:35], v[34:35], v36
	v_cndmask_b32_e32 v31, v35, v31, vcc
	v_cndmask_b32_e32 v30, v34, v30, vcc
	v_mul_f64 v[30:31], v[32:33], v[30:31]
.LBB317_37:                             ;   in Loop: Header=BB317_5 Depth=1
	s_or_b64 exec, exec, s[4:5]
	v_cmp_gt_f64_e32 vcc, 0, v[8:9]
	v_xor_b32_e32 v32, 0x80000000, v9
	v_xor_b32_e32 v34, 0x80000000, v11
                                        ; implicit-def: $vgpr36_vgpr37
	v_cndmask_b32_e32 v33, v9, v32, vcc
	v_cmp_gt_f64_e32 vcc, 0, v[10:11]
	v_mov_b32_e32 v32, v8
	v_cndmask_b32_e32 v35, v11, v34, vcc
	v_mov_b32_e32 v34, v10
	v_cmp_ngt_f64_e32 vcc, v[32:33], v[34:35]
	s_and_saveexec_b64 s[4:5], vcc
	s_xor_b64 s[4:5], exec, s[4:5]
	s_cbranch_execz .LBB317_41
; %bb.38:                               ;   in Loop: Header=BB317_5 Depth=1
	v_cmp_neq_f64_e32 vcc, 0, v[10:11]
	v_mov_b32_e32 v36, 0
	v_mov_b32_e32 v37, 0
	s_and_saveexec_b64 s[26:27], vcc
	s_cbranch_execz .LBB317_40
; %bb.39:                               ;   in Loop: Header=BB317_5 Depth=1
	v_div_scale_f64 v[36:37], s[34:35], v[34:35], v[34:35], v[32:33]
	v_rcp_f64_e32 v[38:39], v[36:37]
	v_fma_f64 v[49:50], -v[36:37], v[38:39], 1.0
	v_fma_f64 v[38:39], v[38:39], v[49:50], v[38:39]
	v_div_scale_f64 v[49:50], vcc, v[32:33], v[34:35], v[32:33]
	v_fma_f64 v[51:52], -v[36:37], v[38:39], 1.0
	v_fma_f64 v[38:39], v[38:39], v[51:52], v[38:39]
	v_mul_f64 v[51:52], v[49:50], v[38:39]
	v_fma_f64 v[36:37], -v[36:37], v[51:52], v[49:50]
	v_div_fmas_f64 v[36:37], v[36:37], v[38:39], v[51:52]
	v_div_fixup_f64 v[32:33], v[36:37], v[34:35], v[32:33]
	v_fma_f64 v[32:33], v[32:33], v[32:33], 1.0
	v_cmp_gt_f64_e32 vcc, s[22:23], v[32:33]
	v_cndmask_b32_e32 v36, 0, v66, vcc
	v_ldexp_f64 v[32:33], v[32:33], v36
	v_rsq_f64_e32 v[36:37], v[32:33]
	v_mul_f64 v[38:39], v[32:33], v[36:37]
	v_mul_f64 v[36:37], v[36:37], 0.5
	v_fma_f64 v[49:50], -v[36:37], v[38:39], 0.5
	v_fma_f64 v[38:39], v[38:39], v[49:50], v[38:39]
	v_fma_f64 v[36:37], v[36:37], v[49:50], v[36:37]
	v_fma_f64 v[49:50], -v[38:39], v[38:39], v[32:33]
	v_fma_f64 v[38:39], v[49:50], v[36:37], v[38:39]
	v_fma_f64 v[49:50], -v[38:39], v[38:39], v[32:33]
	v_fma_f64 v[36:37], v[49:50], v[36:37], v[38:39]
	v_cndmask_b32_e32 v38, 0, v67, vcc
	v_cmp_class_f64_e32 vcc, v[32:33], v63
	v_ldexp_f64 v[36:37], v[36:37], v38
	v_cndmask_b32_e32 v33, v37, v33, vcc
	v_cndmask_b32_e32 v32, v36, v32, vcc
	v_mul_f64 v[36:37], v[34:35], v[32:33]
.LBB317_40:                             ;   in Loop: Header=BB317_5 Depth=1
	s_or_b64 exec, exec, s[26:27]
                                        ; implicit-def: $vgpr32_vgpr33
                                        ; implicit-def: $vgpr34_vgpr35
.LBB317_41:                             ;   in Loop: Header=BB317_5 Depth=1
	s_andn2_saveexec_b64 s[4:5], s[4:5]
	s_cbranch_execz .LBB317_43
; %bb.42:                               ;   in Loop: Header=BB317_5 Depth=1
	v_div_scale_f64 v[36:37], s[26:27], v[32:33], v[32:33], v[34:35]
	v_rcp_f64_e32 v[38:39], v[36:37]
	v_fma_f64 v[49:50], -v[36:37], v[38:39], 1.0
	v_fma_f64 v[38:39], v[38:39], v[49:50], v[38:39]
	v_div_scale_f64 v[49:50], vcc, v[34:35], v[32:33], v[34:35]
	v_fma_f64 v[51:52], -v[36:37], v[38:39], 1.0
	v_fma_f64 v[38:39], v[38:39], v[51:52], v[38:39]
	v_mul_f64 v[51:52], v[49:50], v[38:39]
	v_fma_f64 v[36:37], -v[36:37], v[51:52], v[49:50]
	v_div_fmas_f64 v[36:37], v[36:37], v[38:39], v[51:52]
	v_div_fixup_f64 v[34:35], v[36:37], v[32:33], v[34:35]
	v_fma_f64 v[34:35], v[34:35], v[34:35], 1.0
	v_cmp_gt_f64_e32 vcc, s[22:23], v[34:35]
	v_cndmask_b32_e32 v36, 0, v66, vcc
	v_ldexp_f64 v[34:35], v[34:35], v36
	v_rsq_f64_e32 v[36:37], v[34:35]
	v_mul_f64 v[38:39], v[34:35], v[36:37]
	v_mul_f64 v[36:37], v[36:37], 0.5
	v_fma_f64 v[49:50], -v[36:37], v[38:39], 0.5
	v_fma_f64 v[38:39], v[38:39], v[49:50], v[38:39]
	v_fma_f64 v[36:37], v[36:37], v[49:50], v[36:37]
	v_fma_f64 v[49:50], -v[38:39], v[38:39], v[34:35]
	v_fma_f64 v[38:39], v[49:50], v[36:37], v[38:39]
	v_fma_f64 v[49:50], -v[38:39], v[38:39], v[34:35]
	v_fma_f64 v[36:37], v[49:50], v[36:37], v[38:39]
	v_cndmask_b32_e32 v38, 0, v67, vcc
	v_cmp_class_f64_e32 vcc, v[34:35], v63
	v_ldexp_f64 v[36:37], v[36:37], v38
	v_cndmask_b32_e32 v35, v37, v35, vcc
	v_cndmask_b32_e32 v34, v36, v34, vcc
	v_mul_f64 v[36:37], v[32:33], v[34:35]
.LBB317_43:                             ;   in Loop: Header=BB317_5 Depth=1
	s_or_b64 exec, exec, s[4:5]
	v_cmp_gt_f64_e32 vcc, 0, v[0:1]
	v_xor_b32_e32 v32, 0x80000000, v1
	v_xor_b32_e32 v34, 0x80000000, v3
                                        ; implicit-def: $vgpr38_vgpr39
	v_cndmask_b32_e32 v33, v1, v32, vcc
	v_cmp_gt_f64_e32 vcc, 0, v[2:3]
	v_mov_b32_e32 v32, v0
	v_cndmask_b32_e32 v35, v3, v34, vcc
	v_mov_b32_e32 v34, v2
	v_cmp_ngt_f64_e32 vcc, v[32:33], v[34:35]
	s_and_saveexec_b64 s[4:5], vcc
	s_xor_b64 s[4:5], exec, s[4:5]
	s_cbranch_execz .LBB317_47
; %bb.44:                               ;   in Loop: Header=BB317_5 Depth=1
	v_cmp_neq_f64_e32 vcc, 0, v[2:3]
	v_mov_b32_e32 v38, 0
	v_mov_b32_e32 v39, 0
	s_and_saveexec_b64 s[26:27], vcc
	s_cbranch_execz .LBB317_46
; %bb.45:                               ;   in Loop: Header=BB317_5 Depth=1
	v_div_scale_f64 v[38:39], s[34:35], v[34:35], v[34:35], v[32:33]
	v_rcp_f64_e32 v[49:50], v[38:39]
	v_fma_f64 v[51:52], -v[38:39], v[49:50], 1.0
	v_fma_f64 v[49:50], v[49:50], v[51:52], v[49:50]
	v_div_scale_f64 v[51:52], vcc, v[32:33], v[34:35], v[32:33]
	v_fma_f64 v[53:54], -v[38:39], v[49:50], 1.0
	v_fma_f64 v[49:50], v[49:50], v[53:54], v[49:50]
	v_mul_f64 v[53:54], v[51:52], v[49:50]
	v_fma_f64 v[38:39], -v[38:39], v[53:54], v[51:52]
	v_div_fmas_f64 v[38:39], v[38:39], v[49:50], v[53:54]
	v_div_fixup_f64 v[32:33], v[38:39], v[34:35], v[32:33]
	v_fma_f64 v[32:33], v[32:33], v[32:33], 1.0
	v_cmp_gt_f64_e32 vcc, s[22:23], v[32:33]
	v_cndmask_b32_e32 v38, 0, v66, vcc
	v_ldexp_f64 v[32:33], v[32:33], v38
	v_cndmask_b32_e32 v44, 0, v67, vcc
	v_rsq_f64_e32 v[38:39], v[32:33]
	v_cmp_class_f64_e32 vcc, v[32:33], v63
	v_mul_f64 v[49:50], v[32:33], v[38:39]
	v_mul_f64 v[38:39], v[38:39], 0.5
	v_fma_f64 v[51:52], -v[38:39], v[49:50], 0.5
	v_fma_f64 v[49:50], v[49:50], v[51:52], v[49:50]
	v_fma_f64 v[38:39], v[38:39], v[51:52], v[38:39]
	v_fma_f64 v[51:52], -v[49:50], v[49:50], v[32:33]
	v_fma_f64 v[49:50], v[51:52], v[38:39], v[49:50]
	v_fma_f64 v[51:52], -v[49:50], v[49:50], v[32:33]
	v_fma_f64 v[38:39], v[51:52], v[38:39], v[49:50]
	v_ldexp_f64 v[38:39], v[38:39], v44
	v_cndmask_b32_e32 v33, v39, v33, vcc
	v_cndmask_b32_e32 v32, v38, v32, vcc
	v_mul_f64 v[38:39], v[34:35], v[32:33]
.LBB317_46:                             ;   in Loop: Header=BB317_5 Depth=1
	s_or_b64 exec, exec, s[26:27]
                                        ; implicit-def: $vgpr32_vgpr33
                                        ; implicit-def: $vgpr34_vgpr35
.LBB317_47:                             ;   in Loop: Header=BB317_5 Depth=1
	s_andn2_saveexec_b64 s[4:5], s[4:5]
	s_cbranch_execz .LBB317_49
; %bb.48:                               ;   in Loop: Header=BB317_5 Depth=1
	v_div_scale_f64 v[38:39], s[26:27], v[32:33], v[32:33], v[34:35]
	v_rcp_f64_e32 v[49:50], v[38:39]
	v_fma_f64 v[51:52], -v[38:39], v[49:50], 1.0
	v_fma_f64 v[49:50], v[49:50], v[51:52], v[49:50]
	v_div_scale_f64 v[51:52], vcc, v[34:35], v[32:33], v[34:35]
	v_fma_f64 v[53:54], -v[38:39], v[49:50], 1.0
	v_fma_f64 v[49:50], v[49:50], v[53:54], v[49:50]
	v_mul_f64 v[53:54], v[51:52], v[49:50]
	v_fma_f64 v[38:39], -v[38:39], v[53:54], v[51:52]
	v_div_fmas_f64 v[38:39], v[38:39], v[49:50], v[53:54]
	v_div_fixup_f64 v[34:35], v[38:39], v[32:33], v[34:35]
	v_fma_f64 v[34:35], v[34:35], v[34:35], 1.0
	v_cmp_gt_f64_e32 vcc, s[22:23], v[34:35]
	v_cndmask_b32_e32 v38, 0, v66, vcc
	v_ldexp_f64 v[34:35], v[34:35], v38
	v_cndmask_b32_e32 v44, 0, v67, vcc
	v_rsq_f64_e32 v[38:39], v[34:35]
	v_cmp_class_f64_e32 vcc, v[34:35], v63
	v_mul_f64 v[49:50], v[34:35], v[38:39]
	v_mul_f64 v[38:39], v[38:39], 0.5
	v_fma_f64 v[51:52], -v[38:39], v[49:50], 0.5
	v_fma_f64 v[49:50], v[49:50], v[51:52], v[49:50]
	v_fma_f64 v[38:39], v[38:39], v[51:52], v[38:39]
	v_fma_f64 v[51:52], -v[49:50], v[49:50], v[34:35]
	v_fma_f64 v[49:50], v[51:52], v[38:39], v[49:50]
	v_fma_f64 v[51:52], -v[49:50], v[49:50], v[34:35]
	v_fma_f64 v[38:39], v[51:52], v[38:39], v[49:50]
	v_ldexp_f64 v[38:39], v[38:39], v44
	v_cndmask_b32_e32 v35, v39, v35, vcc
	v_cndmask_b32_e32 v34, v38, v34, vcc
	v_mul_f64 v[38:39], v[32:33], v[34:35]
.LBB317_49:                             ;   in Loop: Header=BB317_5 Depth=1
	s_or_b64 exec, exec, s[4:5]
	v_mul_f64 v[32:33], v[18:19], -v[6:7]
	v_mul_f64 v[49:50], v[18:19], v[4:5]
                                        ; implicit-def: $vgpr53_vgpr54
	v_fma_f64 v[34:35], v[4:5], v[16:17], v[32:33]
	v_fma_f64 v[32:33], v[6:7], v[16:17], v[49:50]
	v_cmp_gt_f64_e32 vcc, 0, v[34:35]
	v_xor_b32_e32 v44, 0x80000000, v35
	v_xor_b32_e32 v51, 0x80000000, v33
	v_mov_b32_e32 v49, v34
	v_cndmask_b32_e32 v50, v35, v44, vcc
	v_cmp_gt_f64_e32 vcc, 0, v[32:33]
	v_cndmask_b32_e32 v52, v33, v51, vcc
	v_mov_b32_e32 v51, v32
	v_cmp_ngt_f64_e32 vcc, v[49:50], v[51:52]
	s_and_saveexec_b64 s[4:5], vcc
	s_xor_b64 s[4:5], exec, s[4:5]
	s_cbranch_execz .LBB317_53
; %bb.50:                               ;   in Loop: Header=BB317_5 Depth=1
	v_cmp_neq_f64_e32 vcc, 0, v[32:33]
	v_mov_b32_e32 v53, 0
	v_mov_b32_e32 v54, 0
	s_and_saveexec_b64 s[26:27], vcc
	s_cbranch_execz .LBB317_52
; %bb.51:                               ;   in Loop: Header=BB317_5 Depth=1
	v_div_scale_f64 v[53:54], s[34:35], v[51:52], v[51:52], v[49:50]
	v_rcp_f64_e32 v[55:56], v[53:54]
	v_fma_f64 v[57:58], -v[53:54], v[55:56], 1.0
	v_fma_f64 v[55:56], v[55:56], v[57:58], v[55:56]
	v_div_scale_f64 v[57:58], vcc, v[49:50], v[51:52], v[49:50]
	v_fma_f64 v[59:60], -v[53:54], v[55:56], 1.0
	v_fma_f64 v[55:56], v[55:56], v[59:60], v[55:56]
	v_mul_f64 v[59:60], v[57:58], v[55:56]
	v_fma_f64 v[53:54], -v[53:54], v[59:60], v[57:58]
	v_div_fmas_f64 v[53:54], v[53:54], v[55:56], v[59:60]
	v_div_fixup_f64 v[49:50], v[53:54], v[51:52], v[49:50]
	v_fma_f64 v[49:50], v[49:50], v[49:50], 1.0
	v_cmp_gt_f64_e32 vcc, s[22:23], v[49:50]
	v_cndmask_b32_e32 v44, 0, v66, vcc
	v_ldexp_f64 v[49:50], v[49:50], v44
	v_cndmask_b32_e32 v44, 0, v67, vcc
	v_rsq_f64_e32 v[53:54], v[49:50]
	v_cmp_class_f64_e32 vcc, v[49:50], v63
	v_mul_f64 v[55:56], v[49:50], v[53:54]
	v_mul_f64 v[53:54], v[53:54], 0.5
	v_fma_f64 v[57:58], -v[53:54], v[55:56], 0.5
	v_fma_f64 v[55:56], v[55:56], v[57:58], v[55:56]
	v_fma_f64 v[53:54], v[53:54], v[57:58], v[53:54]
	v_fma_f64 v[57:58], -v[55:56], v[55:56], v[49:50]
	v_fma_f64 v[55:56], v[57:58], v[53:54], v[55:56]
	v_fma_f64 v[57:58], -v[55:56], v[55:56], v[49:50]
	v_fma_f64 v[53:54], v[57:58], v[53:54], v[55:56]
	v_ldexp_f64 v[53:54], v[53:54], v44
	v_cndmask_b32_e32 v50, v54, v50, vcc
	v_cndmask_b32_e32 v49, v53, v49, vcc
	v_mul_f64 v[53:54], v[51:52], v[49:50]
.LBB317_52:                             ;   in Loop: Header=BB317_5 Depth=1
	s_or_b64 exec, exec, s[26:27]
                                        ; implicit-def: $vgpr49_vgpr50
                                        ; implicit-def: $vgpr51_vgpr52
.LBB317_53:                             ;   in Loop: Header=BB317_5 Depth=1
	s_andn2_saveexec_b64 s[4:5], s[4:5]
	s_cbranch_execz .LBB317_55
; %bb.54:                               ;   in Loop: Header=BB317_5 Depth=1
	v_div_scale_f64 v[53:54], s[26:27], v[49:50], v[49:50], v[51:52]
	v_rcp_f64_e32 v[55:56], v[53:54]
	v_fma_f64 v[57:58], -v[53:54], v[55:56], 1.0
	v_fma_f64 v[55:56], v[55:56], v[57:58], v[55:56]
	v_div_scale_f64 v[57:58], vcc, v[51:52], v[49:50], v[51:52]
	v_fma_f64 v[59:60], -v[53:54], v[55:56], 1.0
	v_fma_f64 v[55:56], v[55:56], v[59:60], v[55:56]
	v_mul_f64 v[59:60], v[57:58], v[55:56]
	v_fma_f64 v[53:54], -v[53:54], v[59:60], v[57:58]
	v_div_fmas_f64 v[53:54], v[53:54], v[55:56], v[59:60]
	v_div_fixup_f64 v[51:52], v[53:54], v[49:50], v[51:52]
	v_fma_f64 v[51:52], v[51:52], v[51:52], 1.0
	v_cmp_gt_f64_e32 vcc, s[22:23], v[51:52]
	v_cndmask_b32_e32 v44, 0, v66, vcc
	v_ldexp_f64 v[51:52], v[51:52], v44
	v_cndmask_b32_e32 v44, 0, v67, vcc
	v_rsq_f64_e32 v[53:54], v[51:52]
	v_cmp_class_f64_e32 vcc, v[51:52], v63
	v_mul_f64 v[55:56], v[51:52], v[53:54]
	v_mul_f64 v[53:54], v[53:54], 0.5
	v_fma_f64 v[57:58], -v[53:54], v[55:56], 0.5
	v_fma_f64 v[55:56], v[55:56], v[57:58], v[55:56]
	v_fma_f64 v[53:54], v[53:54], v[57:58], v[53:54]
	v_fma_f64 v[57:58], -v[55:56], v[55:56], v[51:52]
	v_fma_f64 v[55:56], v[57:58], v[53:54], v[55:56]
	v_fma_f64 v[57:58], -v[55:56], v[55:56], v[51:52]
	v_fma_f64 v[53:54], v[57:58], v[53:54], v[55:56]
	v_ldexp_f64 v[53:54], v[53:54], v44
	v_cndmask_b32_e32 v52, v54, v52, vcc
	v_cndmask_b32_e32 v51, v53, v51, vcc
	v_mul_f64 v[53:54], v[49:50], v[51:52]
.LBB317_55:                             ;   in Loop: Header=BB317_5 Depth=1
	s_or_b64 exec, exec, s[4:5]
	v_cmp_lt_f64_e32 vcc, v[24:25], v[26:27]
	v_cmp_ne_u32_e64 s[4:5], s30, v43
	v_cndmask_b32_e32 v25, v25, v27, vcc
	v_cndmask_b32_e32 v24, v24, v26, vcc
	v_cmp_lt_f64_e32 vcc, v[28:29], v[24:25]
	v_mul_f64 v[26:27], v[53:54], s[24:25]
	v_cndmask_b32_e32 v25, v29, v25, vcc
	v_cndmask_b32_e32 v24, v28, v24, vcc
	v_cmp_lt_f64_e32 vcc, v[30:31], v[24:25]
	v_cndmask_b32_e32 v25, v31, v25, vcc
	v_cndmask_b32_e32 v24, v30, v24, vcc
	v_cmp_lt_f64_e32 vcc, v[36:37], v[24:25]
	v_cndmask_b32_e32 v25, v37, v25, vcc
	v_cndmask_b32_e32 v24, v36, v24, vcc
	v_mul_f64 v[24:25], v[24:25], v[38:39]
	v_cmp_nge_f64_e32 vcc, v[24:25], v[26:27]
	s_and_b64 s[4:5], s[4:5], vcc
	s_and_saveexec_b64 s[26:27], s[4:5]
	s_xor_b64 s[4:5], exec, s[26:27]
	s_cbranch_execz .LBB317_61
; %bb.56:                               ;   in Loop: Header=BB317_5 Depth=1
	v_mul_f64 v[26:27], v[0:1], v[22:23]
	v_mul_f64 v[24:25], v[22:23], -v[2:3]
	v_ashrrev_i32_e32 v44, 31, v43
	v_add_u32_e32 v53, v61, v43
	v_ashrrev_i32_e32 v54, 31, v53
	v_lshlrev_b64 v[55:56], 4, v[53:54]
	v_fma_f64 v[26:27], v[2:3], v[20:21], v[26:27]
	v_fma_f64 v[24:25], v[0:1], v[20:21], v[24:25]
	v_add_f64 v[26:27], v[26:27], -v[32:33]
	v_add_f64 v[24:25], v[24:25], -v[34:35]
	v_mul_f64 v[28:29], v[26:27], v[26:27]
	v_fma_f64 v[28:29], v[24:25], v[24:25], v[28:29]
	v_div_scale_f64 v[30:31], s[26:27], v[28:29], v[28:29], 1.0
	v_rcp_f64_e32 v[32:33], v[30:31]
	v_fma_f64 v[34:35], -v[30:31], v[32:33], 1.0
	v_fma_f64 v[32:33], v[32:33], v[34:35], v[32:33]
	v_fma_f64 v[34:35], -v[30:31], v[32:33], 1.0
	v_fma_f64 v[32:33], v[32:33], v[34:35], v[32:33]
	v_div_scale_f64 v[34:35], vcc, 1.0, v[28:29], 1.0
	v_mul_f64 v[36:37], v[34:35], v[32:33]
	v_fma_f64 v[30:31], -v[30:31], v[36:37], v[34:35]
	s_nop 1
	v_div_fmas_f64 v[30:31], v[30:31], v[32:33], v[36:37]
	v_mov_b32_e32 v32, s13
	v_mov_b32_e32 v36, s13
	v_div_fixup_f64 v[28:29], v[30:31], v[28:29], 1.0
	v_fma_f64 v[30:31], v[26:27], 0, v[24:25]
	v_fma_f64 v[24:25], v[24:25], 0, -v[26:27]
	v_mul_f64 v[49:50], v[30:31], v[28:29]
	v_mul_f64 v[51:52], v[24:25], v[28:29]
	v_lshlrev_b64 v[24:25], 4, v[43:44]
	v_mov_b32_e32 v28, s11
	v_add_co_u32_e32 v72, vcc, v41, v24
	v_addc_co_u32_e32 v73, vcc, v42, v25, vcc
	v_add_co_u32_e32 v57, vcc, s10, v55
	v_addc_co_u32_e32 v58, vcc, v28, v56, vcc
	global_load_dwordx4 v[24:27], v[72:73], off
	global_load_dwordx4 v[28:31], v[57:58], off
	v_add_co_u32_e32 v74, vcc, s12, v47
	v_addc_co_u32_e32 v75, vcc, v32, v48, vcc
	global_load_dwordx4 v[32:35], v[74:75], off
	v_add_co_u32_e32 v59, vcc, s12, v55
	v_addc_co_u32_e32 v60, vcc, v36, v56, vcc
	global_load_dwordx4 v[36:39], v[59:60], off
	s_waitcnt vmcnt(3)
	v_mul_f64 v[70:71], v[20:21], v[26:27]
	s_waitcnt vmcnt(2)
	v_mul_f64 v[78:79], v[16:17], v[30:31]
	v_mul_f64 v[68:69], v[26:27], -v[22:23]
	v_mul_f64 v[76:77], v[30:31], -v[18:19]
	v_fma_f64 v[70:71], v[22:23], v[24:25], v[70:71]
	v_fma_f64 v[78:79], v[18:19], v[28:29], v[78:79]
	;; [unrolled: 1-line block ×4, first 2 shown]
	v_add_f64 v[70:71], v[70:71], -v[78:79]
	v_add_f64 v[76:77], v[68:69], -v[76:77]
	v_mul_f64 v[68:69], v[51:52], -v[70:71]
	v_fma_f64 v[68:69], v[76:77], v[49:50], v[68:69]
	v_mul_f64 v[76:77], v[51:52], v[76:77]
	v_fma_f64 v[70:71], v[70:71], v[49:50], v[76:77]
	global_store_dwordx4 v[72:73], v[68:71], off
	s_waitcnt vmcnt(2)
	v_mul_f64 v[68:69], v[34:35], -v[22:23]
	s_waitcnt vmcnt(1)
	v_mul_f64 v[70:71], v[16:17], v[38:39]
	v_fma_f64 v[68:69], v[20:21], v[32:33], v[68:69]
	v_mul_f64 v[20:21], v[20:21], v[34:35]
	v_fma_f64 v[70:71], v[18:19], v[36:37], v[70:71]
	v_fma_f64 v[20:21], v[22:23], v[32:33], v[20:21]
	v_mul_f64 v[22:23], v[38:39], -v[18:19]
	v_fma_f64 v[22:23], v[16:17], v[36:37], v[22:23]
	v_add_f64 v[22:23], v[68:69], -v[22:23]
	v_add_f64 v[68:69], v[20:21], -v[70:71]
	v_mul_f64 v[20:21], v[51:52], -v[68:69]
	v_fma_f64 v[20:21], v[22:23], v[49:50], v[20:21]
	v_mul_f64 v[22:23], v[51:52], v[22:23]
	v_fma_f64 v[22:23], v[68:69], v[49:50], v[22:23]
	global_store_dwordx4 v[74:75], v[20:23], off
	s_nop 0
	v_mul_f64 v[20:21], v[18:19], v[10:11]
	v_fma_f64 v[20:21], -v[16:17], v[8:9], v[20:21]
	v_mul_f64 v[16:17], v[10:11], -v[16:17]
	v_fma_f64 v[18:19], -v[18:19], v[8:9], v[16:17]
	v_mul_f64 v[16:17], v[51:52], -v[18:19]
	v_fma_f64 v[16:17], v[20:21], v[49:50], v[16:17]
	v_mul_f64 v[20:21], v[51:52], v[20:21]
	v_fma_f64 v[18:19], v[18:19], v[49:50], v[20:21]
	v_add_co_u32_e32 v20, vcc, s14, v47
	v_mov_b32_e32 v21, s15
	v_addc_co_u32_e32 v21, vcc, v21, v48, vcc
	global_store_dwordx4 v[20:21], v[16:19], off
	s_nop 0
	v_lshlrev_b64 v[16:17], 2, v[45:46]
	v_mov_b32_e32 v18, s7
	v_add_co_u32_e32 v16, vcc, s6, v16
	v_addc_co_u32_e32 v17, vcc, v18, v17, vcc
	global_store_dword v[16:17], v64, off
	s_and_saveexec_b64 s[26:27], s[0:1]
	s_cbranch_execz .LBB317_58
; %bb.57:                               ;   in Loop: Header=BB317_5 Depth=1
	v_mul_f64 v[16:17], v[6:7], v[26:27]
	v_mul_f64 v[18:19], v[26:27], -v[4:5]
	v_mul_f64 v[20:21], v[30:31], -v[2:3]
	v_mul_f64 v[22:23], v[0:1], v[30:31]
	v_mul_f64 v[44:45], v[6:7], v[34:35]
	v_mul_f64 v[34:35], v[34:35], -v[4:5]
	v_mul_f64 v[46:47], v[0:1], v[38:39]
	v_mul_f64 v[38:39], v[38:39], -v[2:3]
	v_fma_f64 v[16:17], -v[4:5], v[24:25], v[16:17]
	v_fma_f64 v[18:19], -v[6:7], v[24:25], v[18:19]
	v_fma_f64 v[20:21], v[0:1], v[28:29], v[20:21]
	v_fma_f64 v[22:23], v[2:3], v[28:29], v[22:23]
	v_fma_f64 v[44:45], -v[4:5], v[32:33], v[44:45]
	v_fma_f64 v[32:33], -v[6:7], v[32:33], v[34:35]
	v_fma_f64 v[34:35], v[2:3], v[36:37], v[46:47]
	v_fma_f64 v[36:37], v[0:1], v[36:37], v[38:39]
	v_mul_f64 v[38:39], v[0:1], v[10:11]
	v_mul_f64 v[46:47], v[10:11], -v[2:3]
	v_add_f64 v[16:17], v[16:17], v[20:21]
	v_add_f64 v[18:19], v[18:19], v[22:23]
	;; [unrolled: 1-line block ×4, first 2 shown]
	v_fma_f64 v[34:35], v[2:3], v[8:9], v[38:39]
	v_fma_f64 v[32:33], v[0:1], v[8:9], v[46:47]
	v_mul_f64 v[38:39], v[51:52], v[16:17]
	v_mul_f64 v[36:37], v[51:52], -v[18:19]
	v_mul_f64 v[44:45], v[51:52], -v[22:23]
	v_mul_f64 v[46:47], v[51:52], v[20:21]
	v_mul_f64 v[68:69], v[51:52], -v[34:35]
	v_mul_f64 v[70:71], v[51:52], v[32:33]
	v_fma_f64 v[18:19], v[18:19], v[49:50], v[38:39]
	v_fma_f64 v[16:17], v[16:17], v[49:50], v[36:37]
	v_mov_b32_e32 v36, s15
	v_fma_f64 v[20:21], v[20:21], v[49:50], v[44:45]
	v_fma_f64 v[22:23], v[22:23], v[49:50], v[46:47]
	;; [unrolled: 1-line block ×4, first 2 shown]
	global_store_dwordx4 v[57:58], v[16:19], off
	global_store_dwordx4 v[59:60], v[20:23], off
	v_add_co_u32_e32 v16, vcc, s14, v55
	v_addc_co_u32_e32 v17, vcc, v36, v56, vcc
	global_store_dwordx4 v[16:17], v[32:35], off
	v_lshlrev_b64 v[16:17], 2, v[53:54]
	v_mov_b32_e32 v18, s7
	v_add_co_u32_e32 v16, vcc, s6, v16
	v_addc_co_u32_e32 v17, vcc, v18, v17, vcc
	global_store_dword v[16:17], v64, off
.LBB317_58:                             ;   in Loop: Header=BB317_5 Depth=1
	s_or_b64 exec, exec, s[26:27]
	v_mov_b32_e32 v16, 0
	v_mov_b32_e32 v18, 0
	;; [unrolled: 1-line block ×4, first 2 shown]
	s_and_saveexec_b64 s[26:27], s[2:3]
	s_cbranch_execz .LBB317_60
; %bb.59:                               ;   in Loop: Header=BB317_5 Depth=1
	v_add_u32_e32 v16, v62, v43
	v_ashrrev_i32_e32 v17, 31, v16
	v_lshlrev_b64 v[20:21], 4, v[16:17]
	v_mov_b32_e32 v16, s11
	v_add_co_u32_e32 v32, vcc, s10, v20
	v_addc_co_u32_e32 v33, vcc, v16, v21, vcc
	v_mov_b32_e32 v22, s19
	v_add_co_u32_e32 v20, vcc, s18, v20
	v_addc_co_u32_e32 v21, vcc, v22, v21, vcc
	global_load_dwordx4 v[16:19], v[32:33], off
	v_mul_f64 v[34:35], v[6:7], v[14:15]
	global_load_dwordx4 v[20:23], v[20:21], off
	v_mul_f64 v[36:37], v[14:15], -v[4:5]
	v_mul_f64 v[38:39], v[14:15], -v[2:3]
	v_mul_f64 v[44:45], v[0:1], v[14:15]
	v_fma_f64 v[4:5], -v[4:5], v[12:13], v[34:35]
	v_fma_f64 v[6:7], -v[6:7], v[12:13], v[36:37]
	v_fma_f64 v[34:35], v[0:1], v[12:13], v[38:39]
	v_fma_f64 v[36:37], v[2:3], v[12:13], v[44:45]
	v_mul_f64 v[38:39], v[2:3], -v[14:15]
	v_mul_f64 v[2:3], v[2:3], v[12:13]
	v_mul_f64 v[44:45], v[51:52], v[4:5]
	v_mul_f64 v[46:47], v[51:52], -v[6:7]
	v_mul_f64 v[53:54], v[51:52], v[34:35]
	v_mul_f64 v[55:56], v[51:52], -v[36:37]
	v_fma_f64 v[12:13], v[12:13], v[0:1], v[38:39]
	v_fma_f64 v[0:1], v[14:15], v[0:1], v[2:3]
	;; [unrolled: 1-line block ×6, first 2 shown]
	v_mul_f64 v[34:35], v[10:11], v[12:13]
	v_mul_f64 v[10:11], v[10:11], -v[0:1]
	v_mul_f64 v[36:37], v[2:3], v[26:27]
	v_mul_f64 v[26:27], v[26:27], -v[4:5]
	v_mul_f64 v[38:39], v[30:31], -v[6:7]
	v_mul_f64 v[30:31], v[14:15], v[30:31]
	v_fma_f64 v[0:1], v[0:1], v[8:9], v[34:35]
	v_fma_f64 v[8:9], v[12:13], v[8:9], v[10:11]
	v_fma_f64 v[4:5], -v[4:5], v[24:25], v[36:37]
	v_fma_f64 v[2:3], -v[2:3], v[24:25], v[26:27]
	v_fma_f64 v[10:11], v[14:15], v[28:29], v[38:39]
	v_fma_f64 v[6:7], v[6:7], v[28:29], v[30:31]
	v_mul_f64 v[12:13], v[51:52], -v[0:1]
	v_mul_f64 v[14:15], v[51:52], v[8:9]
	v_add_f64 v[4:5], v[4:5], -v[10:11]
	v_add_f64 v[2:3], v[2:3], -v[6:7]
	v_fma_f64 v[6:7], v[8:9], v[49:50], v[12:13]
	v_fma_f64 v[8:9], v[0:1], v[49:50], v[14:15]
	s_waitcnt vmcnt(1)
	v_add_f64 v[0:1], v[4:5], v[16:17]
	v_add_f64 v[2:3], v[2:3], v[18:19]
	s_waitcnt vmcnt(0)
	v_add_f64 v[18:19], v[20:21], -v[6:7]
	v_add_f64 v[16:17], v[22:23], -v[8:9]
	global_store_dwordx4 v[32:33], v[0:3], off
.LBB317_60:                             ;   in Loop: Header=BB317_5 Depth=1
	s_or_b64 exec, exec, s[26:27]
	v_mov_b32_e32 v2, v16
	v_mov_b32_e32 v0, v18
	;; [unrolled: 1-line block ×4, first 2 shown]
                                        ; implicit-def: $vgpr4_vgpr5
                                        ; implicit-def: $vgpr20_vgpr21
                                        ; implicit-def: $vgpr34_vgpr35
                                        ; implicit-def: $vgpr32_vgpr33
                                        ; implicit-def: $vgpr45_vgpr46
                                        ; implicit-def: $vgpr47_vgpr48
                                        ; implicit-def: $vgpr18_vgpr19
.LBB317_61:                             ;   in Loop: Header=BB317_5 Depth=1
	s_or_saveexec_b64 s[2:3], s[4:5]
	v_mov_b32_e32 v8, s33
	s_xor_b64 exec, exec, s[2:3]
	s_cbranch_execz .LBB317_4
; %bb.62:                               ;   in Loop: Header=BB317_5 Depth=1
	v_mul_f64 v[8:9], v[2:3], v[2:3]
	v_ashrrev_i32_e32 v44, 31, v43
	v_mov_b32_e32 v12, s13
	v_mov_b32_e32 v53, s15
	v_fma_f64 v[24:25], v[0:1], v[0:1], v[8:9]
	v_lshlrev_b64 v[8:9], 4, v[43:44]
	v_lshlrev_b64 v[44:45], 2, v[45:46]
	v_add_co_u32_e32 v30, vcc, v41, v8
	v_addc_co_u32_e32 v31, vcc, v42, v9, vcc
	v_add_co_u32_e32 v38, vcc, s12, v47
	v_div_scale_f64 v[26:27], s[4:5], v[24:25], v[24:25], 1.0
	global_load_dwordx4 v[8:11], v[30:31], off
	v_addc_co_u32_e32 v39, vcc, v12, v48, vcc
	global_load_dwordx4 v[12:15], v[38:39], off
	v_mov_b32_e32 v46, s7
	v_rcp_f64_e32 v[28:29], v[26:27]
	v_fma_f64 v[36:37], -v[26:27], v[28:29], 1.0
	v_fma_f64 v[28:29], v[28:29], v[36:37], v[28:29]
	v_div_scale_f64 v[36:37], vcc, 1.0, v[24:25], 1.0
	v_fma_f64 v[49:50], -v[26:27], v[28:29], 1.0
	v_fma_f64 v[28:29], v[28:29], v[49:50], v[28:29]
	v_mul_f64 v[49:50], v[36:37], v[28:29]
	v_fma_f64 v[26:27], -v[26:27], v[49:50], v[36:37]
	v_div_fmas_f64 v[26:27], v[26:27], v[28:29], v[49:50]
	v_fma_f64 v[28:29], v[0:1], 0, -v[2:3]
	v_fma_f64 v[2:3], v[2:3], 0, v[0:1]
	v_div_fixup_f64 v[24:25], v[26:27], v[24:25], 1.0
	v_mul_f64 v[0:1], v[28:29], v[24:25]
	v_mul_f64 v[2:3], v[2:3], v[24:25]
	v_mul_f64 v[24:25], v[0:1], -v[18:19]
	v_mul_f64 v[26:27], v[0:1], v[16:17]
	s_waitcnt vmcnt(1)
	v_mul_f64 v[28:29], v[0:1], -v[10:11]
	v_mul_f64 v[36:37], v[0:1], v[8:9]
	s_waitcnt vmcnt(0)
	v_mul_f64 v[49:50], v[0:1], -v[14:15]
	v_mul_f64 v[51:52], v[0:1], v[12:13]
	v_fma_f64 v[16:17], v[16:17], v[2:3], v[24:25]
	v_fma_f64 v[18:19], v[18:19], v[2:3], v[26:27]
	;; [unrolled: 1-line block ×6, first 2 shown]
	v_add_co_u32_e32 v28, vcc, s14, v47
	v_addc_co_u32_e32 v29, vcc, v53, v48, vcc
	v_add_co_u32_e32 v36, vcc, s6, v44
	v_addc_co_u32_e32 v37, vcc, v46, v45, vcc
	global_store_dwordx4 v[30:31], v[24:27], off
	global_store_dwordx4 v[38:39], v[12:15], off
	;; [unrolled: 1-line block ×3, first 2 shown]
	global_store_dword v[36:37], v65, off
	s_and_saveexec_b64 s[4:5], s[0:1]
	s_cbranch_execz .LBB317_3
; %bb.63:                               ;   in Loop: Header=BB317_5 Depth=1
	v_add_u32_e32 v12, v61, v43
	v_ashrrev_i32_e32 v13, 31, v12
	v_lshlrev_b64 v[12:13], 4, v[12:13]
	v_mov_b32_e32 v14, s11
	v_add_co_u32_e32 v16, vcc, s10, v12
	v_addc_co_u32_e32 v17, vcc, v14, v13, vcc
	global_load_dwordx4 v[12:15], v[16:17], off
	v_mul_f64 v[18:19], v[0:1], v[4:5]
	v_mul_f64 v[24:25], v[0:1], -v[6:7]
	v_fma_f64 v[6:7], v[6:7], v[2:3], v[18:19]
	v_fma_f64 v[4:5], v[4:5], v[2:3], v[24:25]
	v_mul_f64 v[18:19], v[6:7], v[10:11]
	v_mul_f64 v[10:11], v[10:11], -v[4:5]
	v_fma_f64 v[4:5], -v[4:5], v[8:9], v[18:19]
	v_fma_f64 v[6:7], -v[6:7], v[8:9], v[10:11]
	s_waitcnt vmcnt(0)
	v_add_f64 v[4:5], v[4:5], v[12:13]
	v_add_f64 v[6:7], v[6:7], v[14:15]
	global_store_dwordx4 v[16:17], v[4:7], off
	s_branch .LBB317_3
.LBB317_64:
	s_or_b64 exec, exec, s[20:21]
.LBB317_65:
	v_subrev_u32_e32 v2, s28, v43
	v_add_u32_e32 v0, v2, v40
	v_ashrrev_i32_e32 v1, 31, v0
	v_lshlrev_b64 v[0:1], 2, v[0:1]
	s_waitcnt lgkmcnt(0)
	v_mov_b32_e32 v3, s7
	v_add_co_u32_e32 v0, vcc, s6, v0
	v_addc_co_u32_e32 v1, vcc, v3, v1, vcc
	s_waitcnt vmcnt(0)
	buffer_wbinvl1_vol
	global_load_dword v0, v[0:1], off
	s_waitcnt vmcnt(0)
	v_mul_lo_u32 v0, v0, s28
	v_sub_u32_e32 v4, v2, v0
	v_cmp_lt_i32_e32 vcc, -1, v4
	s_and_b64 exec, exec, vcc
	s_cbranch_execz .LBB317_72
; %bb.66:
	v_subrev_u32_e32 v14, s28, v40
	s_lshl_b32 s4, s28, 1
	s_mov_b64 s[0:1], 0
	v_mov_b32_e32 v15, s7
	v_mov_b32_e32 v16, s15
	s_branch .LBB317_68
.LBB317_67:                             ;   in Loop: Header=BB317_68 Depth=1
	s_or_b64 exec, exec, s[2:3]
	s_waitcnt vmcnt(0)
	v_lshlrev_b64 v[0:1], 4, v[6:7]
	v_mov_b32_e32 v2, s13
	v_add_co_u32_e32 v6, vcc, s12, v0
	v_addc_co_u32_e32 v7, vcc, v2, v1, vcc
	global_load_dwordx4 v[0:3], v[6:7], off
	v_sub_u32_e32 v4, v4, v5
	v_cmp_gt_i32_e32 vcc, 0, v4
	s_or_b64 s[0:1], vcc, s[0:1]
	s_waitcnt vmcnt(0)
	v_add_f64 v[0:1], v[0:1], v[10:11]
	v_add_f64 v[2:3], v[12:13], v[2:3]
	global_store_dwordx4 v[6:7], v[0:3], off
	s_andn2_b64 exec, exec, s[0:1]
	s_cbranch_execz .LBB317_72
.LBB317_68:                             ; =>This Inner Loop Header: Depth=1
	v_add_u32_e32 v6, v4, v40
	v_ashrrev_i32_e32 v7, 31, v6
	v_lshlrev_b64 v[0:1], 2, v[6:7]
	v_lshlrev_b64 v[8:9], 4, v[6:7]
	v_add_co_u32_e32 v0, vcc, s6, v0
	v_addc_co_u32_e32 v1, vcc, v15, v1, vcc
	global_load_dword v5, v[0:1], off
	v_add_co_u32_e32 v0, vcc, s14, v8
	v_addc_co_u32_e32 v1, vcc, v16, v9, vcc
	global_load_dwordx4 v[0:3], v[0:1], off
                                        ; implicit-def: $vgpr12_vgpr13
                                        ; implicit-def: $vgpr10_vgpr11
	s_waitcnt vmcnt(1)
	v_cmp_ne_u32_e32 vcc, 1, v5
	s_and_saveexec_b64 s[2:3], vcc
	s_xor_b64 s[2:3], exec, s[2:3]
	s_cbranch_execz .LBB317_70
; %bb.69:                               ;   in Loop: Header=BB317_68 Depth=1
	v_add_u32_e32 v5, v61, v4
	v_ashrrev_i32_e32 v6, 31, v5
	v_lshlrev_b64 v[5:6], 4, v[5:6]
	v_mov_b32_e32 v7, s11
	v_add_co_u32_e32 v29, vcc, s10, v5
	v_addc_co_u32_e32 v30, vcc, v7, v6, vcc
	global_load_dwordx4 v[10:13], v[29:30], off
	v_mov_b32_e32 v7, s13
	v_add_co_u32_e32 v31, vcc, s12, v5
	v_ashrrev_i32_e32 v5, 31, v4
	v_addc_co_u32_e32 v32, vcc, v7, v6, vcc
	v_lshlrev_b64 v[5:6], 4, v[4:5]
	global_load_dwordx4 v[17:20], v[31:32], off
	v_add_co_u32_e32 v33, vcc, v41, v5
	v_addc_co_u32_e32 v34, vcc, v42, v6, vcc
	global_load_dwordx4 v[21:24], v[33:34], off
	v_mov_b32_e32 v5, s13
	v_add_co_u32_e32 v35, vcc, s12, v8
	v_addc_co_u32_e32 v36, vcc, v5, v9, vcc
	global_load_dwordx4 v[25:28], v[35:36], off
	s_waitcnt vmcnt(3)
	v_mul_f64 v[5:6], v[2:3], v[12:13]
	v_mul_f64 v[7:8], v[12:13], -v[0:1]
	s_waitcnt vmcnt(2)
	v_mul_f64 v[12:13], v[2:3], v[19:20]
	v_fma_f64 v[37:38], -v[0:1], v[10:11], v[5:6]
	v_fma_f64 v[10:11], -v[2:3], v[10:11], v[7:8]
	v_mul_f64 v[19:20], v[19:20], -v[0:1]
	v_add_u32_e32 v6, v14, v4
	v_ashrrev_i32_e32 v7, 31, v6
	v_lshlrev_b64 v[43:44], 4, v[6:7]
	v_mov_b32_e32 v5, s15
	v_fma_f64 v[12:13], -v[0:1], v[17:18], v[12:13]
	s_waitcnt vmcnt(1)
	v_add_f64 v[8:9], v[21:22], v[37:38]
	v_add_f64 v[10:11], v[10:11], v[23:24]
	v_add_co_u32_e32 v0, vcc, s14, v43
	v_fma_f64 v[19:20], -v[2:3], v[17:18], v[19:20]
	v_addc_co_u32_e32 v1, vcc, v5, v44, vcc
	global_load_dwordx4 v[0:3], v[0:1], off
	s_waitcnt vmcnt(1)
	v_add_f64 v[17:18], v[25:26], v[12:13]
	global_store_dwordx4 v[33:34], v[8:11], off
	global_load_dwordx4 v[8:11], v[29:30], off
	v_mov_b32_e32 v5, s11
	v_add_f64 v[19:20], v[19:20], v[27:28]
	v_add_co_u32_e32 v25, vcc, s10, v43
	v_addc_co_u32_e32 v26, vcc, v5, v44, vcc
	global_load_dwordx4 v[21:24], v[25:26], off
	s_waitcnt vmcnt(1)
	v_mul_f64 v[12:13], v[2:3], v[10:11]
	global_store_dwordx4 v[35:36], v[17:20], off
	global_load_dwordx4 v[17:20], v[31:32], off
	v_mul_f64 v[10:11], v[10:11], -v[0:1]
	v_fma_f64 v[12:13], -v[0:1], v[8:9], v[12:13]
	v_fma_f64 v[8:9], -v[2:3], v[8:9], v[10:11]
	s_waitcnt vmcnt(0)
	v_mul_f64 v[10:11], v[2:3], v[19:20]
	v_mul_f64 v[27:28], v[19:20], -v[0:1]
	v_add_f64 v[19:20], v[21:22], v[12:13]
	v_add_f64 v[21:22], v[8:9], v[23:24]
	v_fma_f64 v[10:11], -v[0:1], v[17:18], v[10:11]
	v_fma_f64 v[12:13], -v[2:3], v[17:18], v[27:28]
                                        ; implicit-def: $vgpr2_vgpr3
	global_store_dwordx4 v[25:26], v[19:22], off
.LBB317_70:                             ;   in Loop: Header=BB317_68 Depth=1
	s_or_saveexec_b64 s[2:3], s[2:3]
	v_mov_b32_e32 v5, s4
	s_xor_b64 exec, exec, s[2:3]
	s_cbranch_execz .LBB317_67
; %bb.71:                               ;   in Loop: Header=BB317_68 Depth=1
	v_add_u32_e32 v8, v61, v4
	v_ashrrev_i32_e32 v9, 31, v8
	v_lshlrev_b64 v[12:13], 4, v[8:9]
	v_mov_b32_e32 v5, s11
	v_add_co_u32_e32 v8, vcc, s10, v12
	v_addc_co_u32_e32 v9, vcc, v5, v13, vcc
	global_load_dwordx4 v[8:11], v[8:9], off
	v_mov_b32_e32 v17, s13
	v_add_co_u32_e32 v12, vcc, s12, v12
	v_addc_co_u32_e32 v13, vcc, v17, v13, vcc
	global_load_dwordx4 v[17:20], v[12:13], off
	v_ashrrev_i32_e32 v5, 31, v4
	v_lshlrev_b64 v[12:13], 4, v[4:5]
	v_mov_b32_e32 v5, s28
	v_add_co_u32_e32 v25, vcc, v41, v12
	v_addc_co_u32_e32 v26, vcc, v42, v13, vcc
	global_load_dwordx4 v[21:24], v[25:26], off
	s_waitcnt vmcnt(2)
	v_mul_f64 v[12:13], v[2:3], v[10:11]
	v_mul_f64 v[10:11], v[10:11], -v[0:1]
	s_waitcnt vmcnt(1)
	v_mul_f64 v[27:28], v[19:20], -v[0:1]
	v_fma_f64 v[12:13], -v[0:1], v[8:9], v[12:13]
	v_fma_f64 v[8:9], -v[2:3], v[8:9], v[10:11]
	v_mul_f64 v[10:11], v[2:3], v[19:20]
	s_waitcnt vmcnt(0)
	v_add_f64 v[19:20], v[21:22], v[12:13]
	v_add_f64 v[21:22], v[8:9], v[23:24]
	v_fma_f64 v[10:11], -v[0:1], v[17:18], v[10:11]
	v_fma_f64 v[12:13], -v[2:3], v[17:18], v[27:28]
	global_store_dwordx4 v[25:26], v[19:22], off
	s_branch .LBB317_67
.LBB317_72:
	s_endpgm
	.section	.rodata,"a",@progbits
	.p2align	6, 0x0
	.amdhsa_kernel _ZN9rocsparseL18gtsv_LBM_wv_kernelILj256ELj32E21rocsparse_complex_numIdEEEviiiPKT1_S5_S5_PS3_S6_S6_Pi
		.amdhsa_group_segment_fixed_size 0
		.amdhsa_private_segment_fixed_size 0
		.amdhsa_kernarg_size 72
		.amdhsa_user_sgpr_count 6
		.amdhsa_user_sgpr_private_segment_buffer 1
		.amdhsa_user_sgpr_dispatch_ptr 0
		.amdhsa_user_sgpr_queue_ptr 0
		.amdhsa_user_sgpr_kernarg_segment_ptr 1
		.amdhsa_user_sgpr_dispatch_id 0
		.amdhsa_user_sgpr_flat_scratch_init 0
		.amdhsa_user_sgpr_private_segment_size 0
		.amdhsa_uses_dynamic_stack 0
		.amdhsa_system_sgpr_private_segment_wavefront_offset 0
		.amdhsa_system_sgpr_workgroup_id_x 1
		.amdhsa_system_sgpr_workgroup_id_y 0
		.amdhsa_system_sgpr_workgroup_id_z 0
		.amdhsa_system_sgpr_workgroup_info 0
		.amdhsa_system_vgpr_workitem_id 0
		.amdhsa_next_free_vgpr 80
		.amdhsa_next_free_sgpr 36
		.amdhsa_reserve_vcc 1
		.amdhsa_reserve_flat_scratch 0
		.amdhsa_float_round_mode_32 0
		.amdhsa_float_round_mode_16_64 0
		.amdhsa_float_denorm_mode_32 3
		.amdhsa_float_denorm_mode_16_64 3
		.amdhsa_dx10_clamp 1
		.amdhsa_ieee_mode 1
		.amdhsa_fp16_overflow 0
		.amdhsa_exception_fp_ieee_invalid_op 0
		.amdhsa_exception_fp_denorm_src 0
		.amdhsa_exception_fp_ieee_div_zero 0
		.amdhsa_exception_fp_ieee_overflow 0
		.amdhsa_exception_fp_ieee_underflow 0
		.amdhsa_exception_fp_ieee_inexact 0
		.amdhsa_exception_int_div_zero 0
	.end_amdhsa_kernel
	.section	.text._ZN9rocsparseL18gtsv_LBM_wv_kernelILj256ELj32E21rocsparse_complex_numIdEEEviiiPKT1_S5_S5_PS3_S6_S6_Pi,"axG",@progbits,_ZN9rocsparseL18gtsv_LBM_wv_kernelILj256ELj32E21rocsparse_complex_numIdEEEviiiPKT1_S5_S5_PS3_S6_S6_Pi,comdat
.Lfunc_end317:
	.size	_ZN9rocsparseL18gtsv_LBM_wv_kernelILj256ELj32E21rocsparse_complex_numIdEEEviiiPKT1_S5_S5_PS3_S6_S6_Pi, .Lfunc_end317-_ZN9rocsparseL18gtsv_LBM_wv_kernelILj256ELj32E21rocsparse_complex_numIdEEEviiiPKT1_S5_S5_PS3_S6_S6_Pi
                                        ; -- End function
	.set _ZN9rocsparseL18gtsv_LBM_wv_kernelILj256ELj32E21rocsparse_complex_numIdEEEviiiPKT1_S5_S5_PS3_S6_S6_Pi.num_vgpr, 80
	.set _ZN9rocsparseL18gtsv_LBM_wv_kernelILj256ELj32E21rocsparse_complex_numIdEEEviiiPKT1_S5_S5_PS3_S6_S6_Pi.num_agpr, 0
	.set _ZN9rocsparseL18gtsv_LBM_wv_kernelILj256ELj32E21rocsparse_complex_numIdEEEviiiPKT1_S5_S5_PS3_S6_S6_Pi.numbered_sgpr, 36
	.set _ZN9rocsparseL18gtsv_LBM_wv_kernelILj256ELj32E21rocsparse_complex_numIdEEEviiiPKT1_S5_S5_PS3_S6_S6_Pi.num_named_barrier, 0
	.set _ZN9rocsparseL18gtsv_LBM_wv_kernelILj256ELj32E21rocsparse_complex_numIdEEEviiiPKT1_S5_S5_PS3_S6_S6_Pi.private_seg_size, 0
	.set _ZN9rocsparseL18gtsv_LBM_wv_kernelILj256ELj32E21rocsparse_complex_numIdEEEviiiPKT1_S5_S5_PS3_S6_S6_Pi.uses_vcc, 1
	.set _ZN9rocsparseL18gtsv_LBM_wv_kernelILj256ELj32E21rocsparse_complex_numIdEEEviiiPKT1_S5_S5_PS3_S6_S6_Pi.uses_flat_scratch, 0
	.set _ZN9rocsparseL18gtsv_LBM_wv_kernelILj256ELj32E21rocsparse_complex_numIdEEEviiiPKT1_S5_S5_PS3_S6_S6_Pi.has_dyn_sized_stack, 0
	.set _ZN9rocsparseL18gtsv_LBM_wv_kernelILj256ELj32E21rocsparse_complex_numIdEEEviiiPKT1_S5_S5_PS3_S6_S6_Pi.has_recursion, 0
	.set _ZN9rocsparseL18gtsv_LBM_wv_kernelILj256ELj32E21rocsparse_complex_numIdEEEviiiPKT1_S5_S5_PS3_S6_S6_Pi.has_indirect_call, 0
	.section	.AMDGPU.csdata,"",@progbits
; Kernel info:
; codeLenInByte = 7364
; TotalNumSgprs: 40
; NumVgprs: 80
; ScratchSize: 0
; MemoryBound: 1
; FloatMode: 240
; IeeeMode: 1
; LDSByteSize: 0 bytes/workgroup (compile time only)
; SGPRBlocks: 4
; VGPRBlocks: 19
; NumSGPRsForWavesPerEU: 40
; NumVGPRsForWavesPerEU: 80
; Occupancy: 3
; WaveLimiterHint : 0
; COMPUTE_PGM_RSRC2:SCRATCH_EN: 0
; COMPUTE_PGM_RSRC2:USER_SGPR: 6
; COMPUTE_PGM_RSRC2:TRAP_HANDLER: 0
; COMPUTE_PGM_RSRC2:TGID_X_EN: 1
; COMPUTE_PGM_RSRC2:TGID_Y_EN: 0
; COMPUTE_PGM_RSRC2:TGID_Z_EN: 0
; COMPUTE_PGM_RSRC2:TIDIG_COMP_CNT: 0
	.section	.text._ZN9rocsparseL19gtsv_LBM_rhs_kernelILj256ELj32ELj8E21rocsparse_complex_numIdEEEviiiPKT2_S5_S5_PS3_S5_PKi,"axG",@progbits,_ZN9rocsparseL19gtsv_LBM_rhs_kernelILj256ELj32ELj8E21rocsparse_complex_numIdEEEviiiPKT2_S5_S5_PS3_S5_PKi,comdat
	.globl	_ZN9rocsparseL19gtsv_LBM_rhs_kernelILj256ELj32ELj8E21rocsparse_complex_numIdEEEviiiPKT2_S5_S5_PS3_S5_PKi ; -- Begin function _ZN9rocsparseL19gtsv_LBM_rhs_kernelILj256ELj32ELj8E21rocsparse_complex_numIdEEEviiiPKT2_S5_S5_PS3_S5_PKi
	.p2align	8
	.type	_ZN9rocsparseL19gtsv_LBM_rhs_kernelILj256ELj32ELj8E21rocsparse_complex_numIdEEEviiiPKT2_S5_S5_PS3_S5_PKi,@function
_ZN9rocsparseL19gtsv_LBM_rhs_kernelILj256ELj32ELj8E21rocsparse_complex_numIdEEEviiiPKT2_S5_S5_PS3_S5_PKi: ; @_ZN9rocsparseL19gtsv_LBM_rhs_kernelILj256ELj32ELj8E21rocsparse_complex_numIdEEEviiiPKT2_S5_S5_PS3_S5_PKi
; %bb.0:
	s_load_dword s23, s[4:5], 0x0
	v_lshl_or_b32 v44, s6, 8, v0
	s_waitcnt lgkmcnt(0)
	s_lshr_b32 s22, s23, 5
	v_cmp_gt_i32_e32 vcc, s22, v44
	s_and_saveexec_b64 s[0:1], vcc
	s_cbranch_execz .LBB318_29
; %bb.1:
	s_load_dwordx4 s[8:11], s[4:5], 0x28
	s_load_dwordx2 s[16:17], s[4:5], 0x38
	s_cmp_lt_i32 s23, 1
	v_add_u32_e32 v103, s22, v44
	s_mul_i32 s24, s7, s23
	s_cbranch_scc1 .LBB318_21
; %bb.2:
	s_load_dwordx4 s[12:15], s[4:5], 0x10
	s_load_dwordx2 s[6:7], s[4:5], 0x20
	v_ashrrev_i32_e32 v45, 31, v44
	v_lshlrev_b64 v[0:1], 4, v[44:45]
	s_lshl_b32 s28, s24, 3
	s_waitcnt lgkmcnt(0)
	v_mov_b32_e32 v2, s15
	v_add_co_u32_e32 v0, vcc, s14, v0
	v_addc_co_u32_e32 v1, vcc, v2, v1, vcc
	global_load_dwordx4 v[0:3], v[0:1], off
	s_add_i32 s29, s28, s23
	s_add_i32 s30, s29, s23
	;; [unrolled: 1-line block ×6, first 2 shown]
	s_mul_i32 s25, s22, 31
	s_mul_i32 s26, s22, 30
	s_lshl_b32 s27, s22, 1
	v_add_u32_e32 v104, s22, v103
	s_add_i32 s36, s35, s23
	v_mov_b32_e32 v46, 0
	s_mov_b64 s[18:19], 0
	v_mov_b32_e32 v106, s7
	v_mov_b32_e32 v105, 0
	s_branch .LBB318_5
.LBB318_3:                              ;   in Loop: Header=BB318_5 Depth=1
	s_or_b64 exec, exec, s[4:5]
	v_fma_f64 v[0:1], v[6:7], v[8:9], v[49:50]
	v_fma_f64 v[2:3], v[4:5], v[8:9], v[47:48]
	v_mul_f64 v[4:5], v[51:52], -v[0:1]
	v_mul_f64 v[6:7], v[51:52], v[2:3]
	v_fma_f64 v[2:3], v[2:3], v[10:11], v[4:5]
	v_fma_f64 v[4:5], v[0:1], v[10:11], v[6:7]
	v_mov_b32_e32 v10, s22
	v_add_f64 v[0:1], v[12:13], -v[2:3]
	v_add_f64 v[2:3], v[14:15], -v[4:5]
.LBB318_4:                              ;   in Loop: Header=BB318_5 Depth=1
	s_or_b64 exec, exec, s[2:3]
	v_add_u32_e32 v105, v10, v105
	v_cmp_le_i32_e32 vcc, s23, v105
	s_or_b64 s[18:19], vcc, s[18:19]
	s_andn2_b64 exec, exec, s[18:19]
	s_cbranch_execz .LBB318_20
.LBB318_5:                              ; =>This Inner Loop Header: Depth=1
	v_add_u32_e32 v24, v105, v44
	v_ashrrev_i32_e32 v25, 31, v24
	v_lshlrev_b64 v[4:5], 4, v[24:25]
	v_mov_b32_e32 v12, 0
	v_add_co_u32_e32 v4, vcc, s6, v4
	v_addc_co_u32_e32 v5, vcc, v106, v5, vcc
	global_load_dwordx4 v[8:11], v[4:5], off
	v_mov_b32_e32 v4, 0
	v_mov_b32_e32 v6, 0
	;; [unrolled: 1-line block ×5, first 2 shown]
	v_cmp_gt_u32_e64 s[0:1], s25, v105
	s_and_saveexec_b64 s[2:3], s[0:1]
	s_cbranch_execz .LBB318_7
; %bb.6:                                ;   in Loop: Header=BB318_5 Depth=1
	v_add_u32_e32 v4, v103, v105
	v_ashrrev_i32_e32 v5, 31, v4
	v_lshlrev_b64 v[4:5], 4, v[4:5]
	v_mov_b32_e32 v6, s13
	v_add_co_u32_e32 v4, vcc, s12, v4
	v_addc_co_u32_e32 v5, vcc, v6, v5, vcc
	global_load_dwordx4 v[4:7], v[4:5], off
.LBB318_7:                              ;   in Loop: Header=BB318_5 Depth=1
	s_or_b64 exec, exec, s[2:3]
	v_mov_b32_e32 v14, 0
	v_mov_b32_e32 v15, 0
	s_and_saveexec_b64 s[2:3], s[0:1]
	s_cbranch_execz .LBB318_9
; %bb.8:                                ;   in Loop: Header=BB318_5 Depth=1
	v_add_u32_e32 v12, v103, v105
	v_ashrrev_i32_e32 v13, 31, v12
	v_lshlrev_b64 v[12:13], 4, v[12:13]
	v_mov_b32_e32 v14, s15
	v_add_co_u32_e32 v12, vcc, s14, v12
	v_addc_co_u32_e32 v13, vcc, v14, v13, vcc
	global_load_dwordx4 v[12:15], v[12:13], off
.LBB318_9:                              ;   in Loop: Header=BB318_5 Depth=1
	s_or_b64 exec, exec, s[2:3]
	v_mov_b32_e32 v20, 0
	v_mov_b32_e32 v16, 0
	;; [unrolled: 1-line block ×6, first 2 shown]
	s_and_saveexec_b64 s[2:3], s[0:1]
	s_cbranch_execz .LBB318_11
; %bb.10:                               ;   in Loop: Header=BB318_5 Depth=1
	v_add_u32_e32 v16, v103, v105
	v_ashrrev_i32_e32 v17, 31, v16
	v_lshlrev_b64 v[16:17], 4, v[16:17]
	v_mov_b32_e32 v18, s7
	v_add_co_u32_e32 v16, vcc, s6, v16
	v_addc_co_u32_e32 v17, vcc, v18, v17, vcc
	global_load_dwordx4 v[16:19], v[16:17], off
.LBB318_11:                             ;   in Loop: Header=BB318_5 Depth=1
	s_or_b64 exec, exec, s[2:3]
	v_mov_b32_e32 v22, 0
	v_mov_b32_e32 v23, 0
	v_cmp_gt_u32_e64 s[2:3], s26, v105
	s_and_saveexec_b64 s[4:5], s[2:3]
	s_cbranch_execz .LBB318_13
; %bb.12:                               ;   in Loop: Header=BB318_5 Depth=1
	v_add_u32_e32 v20, v104, v105
	v_ashrrev_i32_e32 v21, 31, v20
	v_lshlrev_b64 v[20:21], 4, v[20:21]
	v_mov_b32_e32 v22, s13
	v_add_co_u32_e32 v20, vcc, s12, v20
	v_addc_co_u32_e32 v21, vcc, v22, v21, vcc
	global_load_dwordx4 v[20:23], v[20:21], off
.LBB318_13:                             ;   in Loop: Header=BB318_5 Depth=1
	s_or_b64 exec, exec, s[4:5]
	v_lshlrev_b64 v[25:26], 2, v[24:25]
	v_mov_b32_e32 v27, s17
	v_add_co_u32_e32 v25, vcc, s16, v25
	v_addc_co_u32_e32 v26, vcc, v27, v26, vcc
	global_load_dword v25, v[25:26], off
	s_waitcnt vmcnt(1)
	v_mul_f64 v[47:48], v[10:11], -v[6:7]
	v_mul_f64 v[49:50], v[10:11], v[4:5]
	v_cmp_ne_u32_e32 vcc, s25, v105
	v_add_u32_e32 v45, s28, v24
	v_add_u32_e32 v36, s29, v24
	;; [unrolled: 1-line block ×8, first 2 shown]
	s_waitcnt vmcnt(0)
	v_cmp_ne_u32_e64 s[4:5], 1, v25
	s_and_b64 s[4:5], vcc, s[4:5]
	s_and_saveexec_b64 s[20:21], s[4:5]
	s_xor_b64 s[20:21], exec, s[20:21]
	s_cbranch_execz .LBB318_17
; %bb.14:                               ;   in Loop: Header=BB318_5 Depth=1
	v_mul_f64 v[37:38], v[0:1], v[14:15]
	v_mul_f64 v[39:40], v[14:15], -v[2:3]
	v_fma_f64 v[41:42], v[6:7], v[8:9], v[49:50]
	v_fma_f64 v[47:48], v[4:5], v[8:9], v[47:48]
	v_mov_b32_e32 v53, s9
	v_mov_b32_e32 v35, v46
	;; [unrolled: 1-line block ×3, first 2 shown]
	v_add_u32_e32 v81, v103, v105
	v_fma_f64 v[37:38], v[2:3], v[12:13], v[37:38]
	v_fma_f64 v[49:50], v[0:1], v[12:13], v[39:40]
	v_lshlrev_b64 v[34:35], 4, v[34:35]
	v_mov_b32_e32 v33, v46
	v_mov_b32_e32 v62, s9
	v_lshlrev_b64 v[51:52], 4, v[32:33]
	v_mov_b32_e32 v64, s9
	v_mov_b32_e32 v31, v46
	v_add_f64 v[38:39], v[37:38], -v[41:42]
	v_add_f64 v[40:41], v[49:50], -v[47:48]
	v_lshlrev_b64 v[47:48], 4, v[45:46]
	v_mov_b32_e32 v37, v46
	v_add_co_u32_e32 v79, vcc, s8, v47
	v_lshlrev_b64 v[36:37], 4, v[36:37]
	v_addc_co_u32_e32 v80, vcc, v53, v48, vcc
	v_mul_f64 v[42:43], v[38:39], v[38:39]
	v_add_co_u32_e32 v139, vcc, s8, v36
	v_add_u32_e32 v45, s28, v81
	v_addc_co_u32_e32 v140, vcc, v61, v37, vcc
	v_lshlrev_b64 v[32:33], 4, v[45:46]
	v_add_co_u32_e32 v141, vcc, s8, v34
	v_fma_f64 v[42:43], v[40:41], v[40:41], v[42:43]
	v_addc_co_u32_e32 v142, vcc, v62, v35, vcc
	v_add_co_u32_e32 v85, vcc, s8, v32
	v_mov_b32_e32 v29, v46
	v_addc_co_u32_e32 v86, vcc, v64, v33, vcc
	v_div_scale_f64 v[55:56], s[4:5], v[42:43], v[42:43], 1.0
	v_lshlrev_b64 v[57:58], 4, v[30:31]
	v_lshlrev_b64 v[59:60], 4, v[28:29]
	global_load_dwordx4 v[28:31], v[79:80], off
	global_load_dwordx4 v[32:35], v[85:86], off
	v_add_u32_e32 v45, s29, v81
	v_lshlrev_b64 v[53:54], 4, v[45:46]
	v_mov_b32_e32 v63, s9
	v_mov_b32_e32 v71, s9
	v_add_co_u32_e32 v143, vcc, s8, v51
	v_add_co_u32_e64 v36, s[4:5], s8, v53
	v_addc_co_u32_e32 v144, vcc, v63, v52, vcc
	v_rcp_f64_e32 v[49:50], v[55:56]
	v_addc_co_u32_e64 v37, s[4:5], v71, v54, s[4:5]
	v_div_scale_f64 v[65:66], vcc, 1.0, v[42:43], 1.0
	global_load_dwordx4 v[51:54], v[36:37], off
	v_mov_b32_e32 v67, s9
	v_add_co_u32_e64 v145, s[4:5], s8, v57
	v_mov_b32_e32 v27, v46
	v_addc_co_u32_e64 v146, s[4:5], v67, v58, s[4:5]
	v_mov_b32_e32 v68, s9
	v_lshlrev_b64 v[26:27], 4, v[26:27]
	v_add_co_u32_e64 v147, s[4:5], s8, v59
	v_fma_f64 v[47:48], -v[55:56], v[49:50], 1.0
	v_mov_b32_e32 v25, v46
	v_addc_co_u32_e64 v148, s[4:5], v68, v60, s[4:5]
	v_mov_b32_e32 v69, s9
	v_lshlrev_b64 v[24:25], 4, v[24:25]
	v_add_co_u32_e64 v149, s[4:5], s8, v26
	v_fma_f64 v[61:62], v[49:50], v[47:48], v[49:50]
	global_load_dwordx4 v[47:50], v[139:140], off
	v_addc_co_u32_e64 v150, s[4:5], v69, v27, s[4:5]
	v_mov_b32_e32 v70, s9
	v_add_u32_e32 v45, s30, v81
	v_add_co_u32_e64 v151, s[4:5], s8, v24
	v_fma_f64 v[63:64], -v[55:56], v[61:62], 1.0
	v_addc_co_u32_e64 v152, s[4:5], v70, v25, s[4:5]
	v_lshlrev_b64 v[24:25], 4, v[45:46]
	v_mov_b32_e32 v72, s9
	v_add_co_u32_e64 v89, s[4:5], s8, v24
	v_addc_co_u32_e64 v90, s[4:5], v72, v25, s[4:5]
	v_fma_f64 v[63:64], v[61:62], v[63:64], v[61:62]
	global_load_dwordx4 v[59:62], v[141:142], off
	global_load_dwordx4 v[71:74], v[143:144], off
	v_add_u32_e32 v45, s31, v81
	v_mov_b32_e32 v82, s9
	v_mov_b32_e32 v83, s9
	;; [unrolled: 1-line block ×4, first 2 shown]
	v_mul_f64 v[57:58], v[65:66], v[63:64]
	v_mov_b32_e32 v88, s9
	v_fma_f64 v[26:27], -v[55:56], v[57:58], v[65:66]
	global_load_dwordx4 v[65:68], v[89:90], off
	global_load_dwordx4 v[75:78], v[145:146], off
	;; [unrolled: 1-line block ×5, first 2 shown]
	v_div_fmas_f64 v[24:25], v[26:27], v[63:64], v[57:58]
	v_lshlrev_b64 v[26:27], 4, v[45:46]
	v_add_u32_e32 v45, s33, v81
	v_add_co_u32_e32 v97, vcc, s8, v26
	v_addc_co_u32_e32 v98, vcc, v82, v27, vcc
	global_load_dwordx4 v[119:122], v[97:98], off
	v_lshlrev_b64 v[26:27], 4, v[45:46]
	v_fma_f64 v[57:58], v[40:41], 0, -v[38:39]
	v_add_co_u32_e32 v153, vcc, s8, v26
	v_addc_co_u32_e32 v154, vcc, v83, v27, vcc
	global_load_dwordx4 v[123:126], v[153:154], off
	v_fma_f64 v[26:27], v[38:39], 0, v[40:41]
	v_div_fixup_f64 v[42:43], v[24:25], v[42:43], 1.0
	v_add_u32_e32 v45, s34, v81
	v_lshlrev_b64 v[55:56], 4, v[45:46]
	v_add_u32_e32 v45, s35, v81
	v_add_co_u32_e32 v155, vcc, s8, v55
	v_addc_co_u32_e32 v156, vcc, v84, v56, vcc
	v_mul_f64 v[24:25], v[57:58], v[42:43]
	v_mul_f64 v[26:27], v[26:27], v[42:43]
	global_load_dwordx4 v[127:130], v[155:156], off
	v_lshlrev_b64 v[63:64], 4, v[45:46]
	v_add_u32_e32 v45, s36, v81
	v_lshlrev_b64 v[38:39], 4, v[45:46]
	v_add_co_u32_e32 v157, vcc, s8, v63
	s_waitcnt vmcnt(13)
	v_mul_f64 v[40:41], v[24:25], v[28:29]
	s_waitcnt vmcnt(12)
	v_mul_f64 v[42:43], v[24:25], v[32:33]
	v_mul_f64 v[55:56], v[24:25], -v[30:31]
	v_mul_f64 v[57:58], v[24:25], -v[34:35]
	v_addc_co_u32_e32 v158, vcc, v87, v64, vcc
	v_add_co_u32_e32 v159, vcc, s8, v38
	v_fma_f64 v[93:94], v[30:31], v[26:27], v[40:41]
	v_fma_f64 v[95:96], v[34:35], v[26:27], v[42:43]
	s_waitcnt vmcnt(10)
	v_mul_f64 v[30:31], v[24:25], v[47:48]
	v_mul_f64 v[34:35], v[24:25], v[51:52]
	v_addc_co_u32_e32 v160, vcc, v88, v39, vcc
	global_load_dwordx4 v[131:134], v[157:158], off
	v_fma_f64 v[101:102], v[28:29], v[26:27], v[55:56]
	v_fma_f64 v[99:100], v[32:33], v[26:27], v[57:58]
	v_mul_f64 v[28:29], v[93:94], -v[14:15]
	v_mul_f64 v[32:33], v[12:13], v[93:94]
	v_mul_f64 v[38:39], v[95:96], -v[10:11]
	v_mul_f64 v[40:41], v[8:9], v[95:96]
	v_mul_f64 v[42:43], v[24:25], -v[49:50]
	v_fma_f64 v[55:56], v[49:50], v[26:27], v[30:31]
	v_mul_f64 v[30:31], v[24:25], -v[53:54]
	v_fma_f64 v[57:58], v[53:54], v[26:27], v[34:35]
	v_fma_f64 v[28:29], v[12:13], v[101:102], v[28:29]
	;; [unrolled: 1-line block ×6, first 2 shown]
	v_mul_f64 v[40:41], v[55:56], -v[14:15]
	v_mul_f64 v[42:43], v[12:13], v[55:56]
	v_fma_f64 v[69:70], v[51:52], v[26:27], v[30:31]
	v_mul_f64 v[47:48], v[57:58], -v[10:11]
	v_mul_f64 v[49:50], v[8:9], v[57:58]
	v_add_f64 v[28:29], v[28:29], -v[34:35]
	v_add_f64 v[30:31], v[32:33], -v[38:39]
	s_waitcnt vmcnt(10)
	v_mul_f64 v[32:33], v[24:25], v[59:60]
	v_fma_f64 v[34:35], v[12:13], v[63:64], v[40:41]
	v_fma_f64 v[38:39], v[14:15], v[63:64], v[42:43]
	global_load_dwordx4 v[135:138], v[159:160], off
	s_waitcnt vmcnt(9)
	v_mul_f64 v[40:41], v[24:25], v[65:66]
	v_fma_f64 v[42:43], v[8:9], v[69:70], v[47:48]
	v_fma_f64 v[47:48], v[10:11], v[69:70], v[49:50]
	v_mul_f64 v[49:50], v[24:25], -v[61:62]
	v_fma_f64 v[83:84], v[61:62], v[26:27], v[32:33]
	v_mul_f64 v[32:33], v[24:25], -v[67:68]
	global_store_dwordx4 v[79:80], v[28:31], off
	v_mul_f64 v[53:54], v[24:25], -v[73:74]
	v_fma_f64 v[87:88], v[67:68], v[26:27], v[40:41]
	v_add_f64 v[28:29], v[34:35], -v[42:43]
	v_mul_f64 v[34:35], v[24:25], v[71:72]
	v_add_f64 v[30:31], v[38:39], -v[47:48]
	v_fma_f64 v[81:82], v[59:60], v[26:27], v[49:50]
	v_mul_f64 v[38:39], v[83:84], -v[14:15]
	v_fma_f64 v[91:92], v[65:66], v[26:27], v[32:33]
	s_waitcnt vmcnt(5)
	v_mul_f64 v[32:33], v[24:25], v[119:120]
	v_mul_f64 v[42:43], v[87:88], -v[10:11]
	v_mul_f64 v[49:50], v[12:13], v[83:84]
	v_mul_f64 v[51:52], v[8:9], v[87:88]
	v_fma_f64 v[40:41], v[73:74], v[26:27], v[34:35]
	v_mul_f64 v[59:60], v[24:25], -v[121:122]
	v_fma_f64 v[34:35], v[12:13], v[81:82], v[38:39]
	v_fma_f64 v[38:39], v[71:72], v[26:27], v[53:54]
	;; [unrolled: 1-line block ×6, first 2 shown]
	v_mul_f64 v[53:54], v[40:41], -v[14:15]
	v_mul_f64 v[61:62], v[12:13], v[40:41]
	v_fma_f64 v[42:43], v[119:120], v[26:27], v[59:60]
	v_mul_f64 v[65:66], v[24:25], v[75:76]
	v_mul_f64 v[59:60], v[47:48], -v[10:11]
	v_add_f64 v[32:33], v[34:35], -v[32:33]
	v_mul_f64 v[67:68], v[8:9], v[47:48]
	v_add_f64 v[34:35], v[49:50], -v[51:52]
	v_fma_f64 v[49:50], v[12:13], v[38:39], v[53:54]
	s_waitcnt vmcnt(4)
	v_mul_f64 v[53:54], v[24:25], v[123:124]
	v_fma_f64 v[51:52], v[14:15], v[38:39], v[61:62]
	v_mul_f64 v[61:62], v[24:25], -v[77:78]
	v_fma_f64 v[59:60], v[8:9], v[42:43], v[59:60]
	v_fma_f64 v[73:74], v[77:78], v[26:27], v[65:66]
	;; [unrolled: 1-line block ×3, first 2 shown]
	v_mul_f64 v[67:68], v[24:25], -v[125:126]
	global_store_dwordx4 v[139:140], v[28:31], off
	global_store_dwordx4 v[141:142], v[32:35], off
	v_fma_f64 v[77:78], v[125:126], v[26:27], v[53:54]
	v_mul_f64 v[34:35], v[24:25], v[107:108]
	v_fma_f64 v[71:72], v[75:76], v[26:27], v[61:62]
	v_add_f64 v[28:29], v[49:50], -v[59:60]
	v_mul_f64 v[32:33], v[73:74], -v[14:15]
	v_add_f64 v[30:31], v[51:52], -v[65:66]
	v_fma_f64 v[75:76], v[123:124], v[26:27], v[67:68]
	s_waitcnt vmcnt(5)
	v_mul_f64 v[49:50], v[24:25], v[127:128]
	v_mul_f64 v[51:52], v[77:78], -v[10:11]
	v_mul_f64 v[53:54], v[12:13], v[73:74]
	v_mul_f64 v[65:66], v[8:9], v[77:78]
	v_mul_f64 v[67:68], v[24:25], -v[109:110]
	v_fma_f64 v[32:33], v[12:13], v[71:72], v[32:33]
	v_mul_f64 v[79:80], v[24:25], -v[129:130]
	v_fma_f64 v[61:62], v[109:110], v[26:27], v[34:35]
	v_fma_f64 v[59:60], v[129:130], v[26:27], v[49:50]
	;; [unrolled: 1-line block ×5, first 2 shown]
	global_store_dwordx4 v[143:144], v[28:31], off
	v_fma_f64 v[67:68], v[107:108], v[26:27], v[67:68]
	v_fma_f64 v[65:66], v[127:128], v[26:27], v[79:80]
	v_mul_f64 v[53:54], v[61:62], -v[14:15]
	v_mul_f64 v[79:80], v[59:60], -v[10:11]
	v_add_f64 v[28:29], v[32:33], -v[34:35]
	v_mul_f64 v[32:33], v[12:13], v[61:62]
	v_add_f64 v[30:31], v[49:50], -v[51:52]
	v_mul_f64 v[34:35], v[24:25], v[111:112]
	s_waitcnt vmcnt(5)
	v_mul_f64 v[49:50], v[24:25], v[131:132]
	v_mul_f64 v[107:108], v[8:9], v[59:60]
	v_fma_f64 v[53:54], v[12:13], v[67:68], v[53:54]
	v_fma_f64 v[79:80], v[8:9], v[65:66], v[79:80]
	v_mul_f64 v[109:110], v[24:25], -v[113:114]
	v_fma_f64 v[32:33], v[14:15], v[67:68], v[32:33]
	v_mul_f64 v[119:120], v[24:25], -v[133:134]
	v_fma_f64 v[51:52], v[113:114], v[26:27], v[34:35]
	v_fma_f64 v[49:50], v[133:134], v[26:27], v[49:50]
	;; [unrolled: 1-line block ×3, first 2 shown]
	global_store_dwordx4 v[145:146], v[28:31], off
	v_add_f64 v[107:108], v[53:54], -v[79:80]
	v_fma_f64 v[53:54], v[111:112], v[26:27], v[109:110]
	v_mul_f64 v[28:29], v[24:25], v[115:116]
	v_fma_f64 v[79:80], v[131:132], v[26:27], v[119:120]
	v_mul_f64 v[30:31], v[51:52], -v[14:15]
	v_mul_f64 v[111:112], v[49:50], -v[10:11]
	v_add_f64 v[109:110], v[32:33], -v[34:35]
	s_waitcnt vmcnt(5)
	v_mul_f64 v[32:33], v[24:25], v[135:136]
	v_mul_f64 v[34:35], v[12:13], v[51:52]
	v_mul_f64 v[113:114], v[24:25], -v[117:118]
	v_fma_f64 v[28:29], v[117:118], v[26:27], v[28:29]
	v_mul_f64 v[117:118], v[8:9], v[49:50]
	v_fma_f64 v[119:120], v[12:13], v[53:54], v[30:31]
	v_fma_f64 v[111:112], v[8:9], v[79:80], v[111:112]
	v_mul_f64 v[121:122], v[24:25], -v[137:138]
	v_fma_f64 v[32:33], v[137:138], v[26:27], v[32:33]
	global_store_dwordx4 v[147:148], v[107:110], off
	v_fma_f64 v[30:31], v[115:116], v[26:27], v[113:114]
	v_mul_f64 v[109:110], v[28:29], -v[14:15]
	v_fma_f64 v[113:114], v[14:15], v[53:54], v[34:35]
	v_fma_f64 v[115:116], v[10:11], v[79:80], v[117:118]
	v_add_f64 v[107:108], v[119:120], -v[111:112]
	v_fma_f64 v[34:35], v[135:136], v[26:27], v[121:122]
	v_mul_f64 v[111:112], v[32:33], -v[10:11]
	v_mul_f64 v[117:118], v[12:13], v[28:29]
	v_mul_f64 v[119:120], v[8:9], v[32:33]
	v_fma_f64 v[12:13], v[12:13], v[30:31], v[109:110]
	v_mul_f64 v[121:122], v[6:7], v[93:94]
	v_mul_f64 v[123:124], v[93:94], -v[4:5]
	v_mul_f64 v[125:126], v[95:96], -v[2:3]
	v_mul_f64 v[127:128], v[0:1], v[95:96]
	v_fma_f64 v[8:9], v[8:9], v[34:35], v[111:112]
	v_fma_f64 v[14:15], v[14:15], v[30:31], v[117:118]
	;; [unrolled: 1-line block ×3, first 2 shown]
	v_add_f64 v[109:110], v[113:114], -v[115:116]
	v_fma_f64 v[111:112], -v[4:5], v[101:102], v[121:122]
	v_fma_f64 v[113:114], -v[6:7], v[101:102], v[123:124]
	v_fma_f64 v[115:116], v[0:1], v[99:100], v[125:126]
	v_fma_f64 v[117:118], v[2:3], v[99:100], v[127:128]
	v_add_f64 v[8:9], v[12:13], -v[8:9]
	v_mul_f64 v[119:120], v[6:7], v[55:56]
	v_mul_f64 v[121:122], v[55:56], -v[4:5]
	v_add_f64 v[10:11], v[14:15], -v[10:11]
	v_mul_f64 v[123:124], v[57:58], -v[2:3]
	v_mul_f64 v[125:126], v[0:1], v[57:58]
	global_store_dwordx4 v[149:150], v[107:110], off
	v_add_f64 v[12:13], v[111:112], v[115:116]
	v_add_f64 v[14:15], v[113:114], v[117:118]
	v_fma_f64 v[107:108], -v[4:5], v[63:64], v[119:120]
	v_fma_f64 v[109:110], -v[6:7], v[63:64], v[121:122]
	global_store_dwordx4 v[151:152], v[8:11], off
	v_mul_f64 v[115:116], v[87:88], -v[2:3]
	v_mul_f64 v[8:9], v[6:7], v[83:84]
	v_mul_f64 v[10:11], v[83:84], -v[4:5]
	v_mul_f64 v[117:118], v[0:1], v[87:88]
	v_mul_f64 v[119:120], v[6:7], v[40:41]
	v_mul_f64 v[121:122], v[47:48], -v[2:3]
	v_fma_f64 v[111:112], v[0:1], v[69:70], v[123:124]
	v_fma_f64 v[113:114], v[2:3], v[69:70], v[125:126]
	v_mul_f64 v[123:124], v[40:41], -v[4:5]
	v_mul_f64 v[125:126], v[0:1], v[47:48]
	v_fma_f64 v[127:128], -v[4:5], v[81:82], v[8:9]
	v_fma_f64 v[129:130], -v[6:7], v[81:82], v[10:11]
	v_fma_f64 v[115:116], v[0:1], v[91:92], v[115:116]
	v_fma_f64 v[117:118], v[2:3], v[91:92], v[117:118]
	v_fma_f64 v[119:120], -v[4:5], v[38:39], v[119:120]
	v_fma_f64 v[121:122], v[0:1], v[42:43], v[121:122]
	v_add_f64 v[8:9], v[107:108], v[111:112]
	v_add_f64 v[10:11], v[109:110], v[113:114]
	v_mul_f64 v[111:112], v[6:7], v[73:74]
	v_mul_f64 v[113:114], v[77:78], -v[2:3]
	global_store_dwordx4 v[85:86], v[12:15], off
	v_fma_f64 v[85:86], -v[6:7], v[38:39], v[123:124]
	v_fma_f64 v[109:110], v[2:3], v[42:43], v[125:126]
	v_add_f64 v[12:13], v[127:128], v[115:116]
	v_add_f64 v[14:15], v[129:130], v[117:118]
	;; [unrolled: 1-line block ×3, first 2 shown]
	v_mul_f64 v[115:116], v[73:74], -v[4:5]
	v_mul_f64 v[117:118], v[0:1], v[77:78]
	v_mul_f64 v[119:120], v[6:7], v[61:62]
	v_mul_f64 v[121:122], v[61:62], -v[4:5]
	v_mul_f64 v[123:124], v[59:60], -v[2:3]
	v_mul_f64 v[125:126], v[0:1], v[59:60]
	v_fma_f64 v[111:112], -v[4:5], v[71:72], v[111:112]
	v_fma_f64 v[113:114], v[0:1], v[75:76], v[113:114]
	v_add_f64 v[109:110], v[85:86], v[109:110]
	v_fma_f64 v[85:86], -v[6:7], v[71:72], v[115:116]
	v_fma_f64 v[115:116], v[2:3], v[75:76], v[117:118]
	v_fma_f64 v[117:118], -v[4:5], v[67:68], v[119:120]
	v_fma_f64 v[119:120], -v[6:7], v[67:68], v[121:122]
	v_fma_f64 v[121:122], v[0:1], v[65:66], v[123:124]
	v_fma_f64 v[123:124], v[2:3], v[65:66], v[125:126]
	v_mul_f64 v[125:126], v[51:52], -v[4:5]
	v_mul_f64 v[129:130], v[0:1], v[49:50]
	v_mul_f64 v[131:132], v[6:7], v[28:29]
	v_mul_f64 v[133:134], v[28:29], -v[4:5]
	v_mul_f64 v[135:136], v[32:33], -v[2:3]
	v_mul_f64 v[137:138], v[0:1], v[32:33]
	v_add_f64 v[111:112], v[111:112], v[113:114]
	v_mul_f64 v[113:114], v[6:7], v[51:52]
	v_mul_f64 v[127:128], v[49:50], -v[2:3]
	v_fma_f64 v[125:126], -v[6:7], v[53:54], v[125:126]
	v_fma_f64 v[129:130], v[2:3], v[79:80], v[129:130]
	v_fma_f64 v[131:132], -v[4:5], v[30:31], v[131:132]
	v_fma_f64 v[133:134], -v[6:7], v[30:31], v[133:134]
	v_fma_f64 v[135:136], v[0:1], v[34:35], v[135:136]
	v_fma_f64 v[137:138], v[2:3], v[34:35], v[137:138]
	v_fma_f64 v[139:140], -v[4:5], v[53:54], v[113:114]
	v_fma_f64 v[127:128], v[0:1], v[79:80], v[127:128]
	v_add_f64 v[113:114], v[85:86], v[115:116]
	v_add_f64 v[115:116], v[117:118], v[121:122]
	;; [unrolled: 1-line block ×6, first 2 shown]
	global_store_dwordx4 v[36:37], v[8:11], off
	v_add_f64 v[119:120], v[139:140], v[127:128]
	v_mov_b32_e32 v8, 0
	v_mov_b32_e32 v10, 0
	;; [unrolled: 1-line block ×4, first 2 shown]
	global_store_dwordx4 v[89:90], v[12:15], off
	global_store_dwordx4 v[97:98], v[107:110], off
	;; [unrolled: 1-line block ×6, first 2 shown]
	s_and_saveexec_b64 s[4:5], s[2:3]
	s_cbranch_execz .LBB318_16
; %bb.15:                               ;   in Loop: Header=BB318_5 Depth=1
	v_add_u32_e32 v12, v104, v105
	v_add_u32_e32 v45, s28, v12
	v_lshlrev_b64 v[8:9], 4, v[45:46]
	v_mov_b32_e32 v10, s9
	v_add_co_u32_e32 v13, vcc, s8, v8
	v_addc_co_u32_e32 v14, vcc, v10, v9, vcc
	global_load_dwordx4 v[8:11], v[13:14], off
	v_mul_f64 v[36:37], v[22:23], -v[4:5]
	v_mul_f64 v[85:86], v[6:7], v[22:23]
	v_mul_f64 v[89:90], v[0:1], v[22:23]
	v_mul_f64 v[97:98], v[22:23], -v[2:3]
	v_add_u32_e32 v45, s29, v12
	v_mov_b32_e32 v15, s9
	v_fma_f64 v[36:37], -v[6:7], v[20:21], v[36:37]
	v_fma_f64 v[85:86], -v[4:5], v[20:21], v[85:86]
	v_fma_f64 v[89:90], v[2:3], v[20:21], v[89:90]
	v_fma_f64 v[97:98], v[0:1], v[20:21], v[97:98]
	v_mul_f64 v[4:5], v[36:37], v[93:94]
	v_mul_f64 v[6:7], v[93:94], -v[85:86]
	v_mul_f64 v[93:94], v[95:96], -v[89:90]
	v_mul_f64 v[95:96], v[97:98], v[95:96]
	v_fma_f64 v[4:5], -v[85:86], v[101:102], v[4:5]
	v_fma_f64 v[6:7], -v[36:37], v[101:102], v[6:7]
	v_fma_f64 v[93:94], v[97:98], v[99:100], v[93:94]
	v_fma_f64 v[95:96], v[89:90], v[99:100], v[95:96]
	v_mul_f64 v[101:102], v[36:37], v[83:84]
	v_add_f64 v[93:94], v[4:5], -v[93:94]
	v_add_f64 v[95:96], v[6:7], -v[95:96]
	v_lshlrev_b64 v[4:5], 4, v[45:46]
	v_add_u32_e32 v45, s30, v12
	v_add_co_u32_e32 v99, vcc, s8, v4
	v_addc_co_u32_e32 v100, vcc, v15, v5, vcc
	global_load_dwordx4 v[4:7], v[99:100], off
	s_waitcnt vmcnt(1)
	v_add_f64 v[8:9], v[93:94], v[8:9]
	v_add_f64 v[10:11], v[95:96], v[10:11]
	v_lshlrev_b64 v[93:94], 4, v[45:46]
	v_mul_f64 v[95:96], v[57:58], -v[89:90]
	v_add_co_u32_e32 v93, vcc, s8, v93
	v_addc_co_u32_e32 v94, vcc, v15, v94, vcc
	v_mul_f64 v[57:58], v[97:98], v[57:58]
	global_store_dwordx4 v[13:14], v[8:11], off
	global_load_dwordx4 v[8:11], v[93:94], off
	v_mul_f64 v[13:14], v[36:37], v[55:56]
	v_mul_f64 v[55:56], v[55:56], -v[85:86]
	v_add_u32_e32 v45, s31, v12
	v_fma_f64 v[57:58], v[89:90], v[69:70], v[57:58]
	v_fma_f64 v[13:14], -v[85:86], v[63:64], v[13:14]
	v_fma_f64 v[55:56], -v[36:37], v[63:64], v[55:56]
	v_fma_f64 v[63:64], v[97:98], v[69:70], v[95:96]
	v_mul_f64 v[69:70], v[83:84], -v[85:86]
	v_mul_f64 v[83:84], v[87:88], -v[89:90]
	v_mul_f64 v[87:88], v[97:98], v[87:88]
	v_fma_f64 v[95:96], -v[85:86], v[81:82], v[101:102]
	v_add_f64 v[55:56], v[55:56], -v[57:58]
	v_add_f64 v[13:14], v[13:14], -v[63:64]
	v_fma_f64 v[57:58], -v[36:37], v[81:82], v[69:70]
	v_fma_f64 v[63:64], v[97:98], v[91:92], v[83:84]
	v_fma_f64 v[69:70], v[89:90], v[91:92], v[87:88]
	v_mul_f64 v[81:82], v[77:78], -v[89:90]
	v_mul_f64 v[77:78], v[97:98], v[77:78]
	v_add_f64 v[57:58], v[57:58], -v[69:70]
	v_mul_f64 v[69:70], v[36:37], v[73:74]
	v_mul_f64 v[73:74], v[73:74], -v[85:86]
	s_waitcnt vmcnt(2)
	v_add_f64 v[6:7], v[55:56], v[6:7]
	v_add_f64 v[55:56], v[95:96], -v[63:64]
	v_add_f64 v[4:5], v[13:14], v[4:5]
	v_lshlrev_b64 v[13:14], 4, v[45:46]
	v_add_u32_e32 v45, s33, v12
	v_add_co_u32_e32 v13, vcc, s8, v13
	v_addc_co_u32_e32 v14, vcc, v15, v14, vcc
	v_mul_f64 v[63:64], v[47:48], -v[89:90]
	global_store_dwordx4 v[99:100], v[4:7], off
	global_load_dwordx4 v[4:7], v[13:14], off
	v_mul_f64 v[47:48], v[97:98], v[47:48]
	s_waitcnt vmcnt(2)
	v_add_f64 v[8:9], v[55:56], v[8:9]
	v_add_f64 v[10:11], v[57:58], v[10:11]
	v_lshlrev_b64 v[55:56], 4, v[45:46]
	v_mul_f64 v[57:58], v[36:37], v[40:41]
	v_add_co_u32_e32 v55, vcc, s8, v55
	v_addc_co_u32_e32 v56, vcc, v15, v56, vcc
	v_mul_f64 v[40:41], v[40:41], -v[85:86]
	global_store_dwordx4 v[93:94], v[8:11], off
	global_load_dwordx4 v[8:11], v[55:56], off
	v_fma_f64 v[57:58], -v[85:86], v[38:39], v[57:58]
	v_add_u32_e32 v45, s34, v12
	v_fma_f64 v[38:39], -v[36:37], v[38:39], v[40:41]
	v_fma_f64 v[40:41], v[97:98], v[42:43], v[63:64]
	v_fma_f64 v[42:43], v[89:90], v[42:43], v[47:48]
	v_fma_f64 v[47:48], -v[85:86], v[71:72], v[69:70]
	v_fma_f64 v[63:64], -v[36:37], v[71:72], v[73:74]
	v_fma_f64 v[69:70], v[97:98], v[75:76], v[81:82]
	v_fma_f64 v[71:72], v[89:90], v[75:76], v[77:78]
	v_add_f64 v[40:41], v[57:58], -v[40:41]
	v_add_f64 v[38:39], v[38:39], -v[42:43]
	v_add_f64 v[42:43], v[47:48], -v[69:70]
	v_add_f64 v[47:48], v[63:64], -v[71:72]
	s_waitcnt vmcnt(2)
	v_add_f64 v[4:5], v[40:41], v[4:5]
	v_add_f64 v[6:7], v[38:39], v[6:7]
	v_lshlrev_b64 v[38:39], 4, v[45:46]
	v_mul_f64 v[40:41], v[97:98], v[59:60]
	v_add_co_u32_e32 v38, vcc, s8, v38
	v_addc_co_u32_e32 v39, vcc, v15, v39, vcc
	v_add_u32_e32 v45, s35, v12
	v_fma_f64 v[40:41], v[89:90], v[65:66], v[40:41]
	s_waitcnt vmcnt(0)
	v_add_f64 v[8:9], v[42:43], v[8:9]
	v_add_f64 v[10:11], v[47:48], v[10:11]
	global_store_dwordx4 v[13:14], v[4:7], off
	global_store_dwordx4 v[55:56], v[8:11], off
	global_load_dwordx4 v[4:7], v[38:39], off
	v_mul_f64 v[8:9], v[36:37], v[61:62]
	v_mul_f64 v[10:11], v[61:62], -v[85:86]
	v_mul_f64 v[13:14], v[59:60], -v[89:90]
	v_fma_f64 v[8:9], -v[85:86], v[67:68], v[8:9]
	v_fma_f64 v[10:11], -v[36:37], v[67:68], v[10:11]
	v_fma_f64 v[13:14], v[97:98], v[65:66], v[13:14]
	v_add_f64 v[10:11], v[10:11], -v[40:41]
	v_add_f64 v[8:9], v[8:9], -v[13:14]
	v_mul_f64 v[13:14], v[51:52], -v[85:86]
	v_mul_f64 v[40:41], v[97:98], v[49:50]
	v_fma_f64 v[13:14], -v[36:37], v[53:54], v[13:14]
	v_fma_f64 v[40:41], v[89:90], v[79:80], v[40:41]
	v_add_f64 v[14:15], v[13:14], -v[40:41]
	v_ashrrev_i32_e32 v13, 31, v12
	s_waitcnt vmcnt(0)
	v_add_f64 v[4:5], v[8:9], v[4:5]
	v_add_f64 v[6:7], v[10:11], v[6:7]
	v_lshlrev_b64 v[8:9], 4, v[45:46]
	v_mov_b32_e32 v10, s9
	v_add_co_u32_e32 v8, vcc, s8, v8
	v_addc_co_u32_e32 v9, vcc, v10, v9, vcc
	v_mul_f64 v[10:11], v[36:37], v[51:52]
	global_store_dwordx4 v[38:39], v[4:7], off
	global_load_dwordx4 v[4:7], v[8:9], off
	v_mul_f64 v[38:39], v[49:50], -v[89:90]
	v_add_u32_e32 v45, s36, v12
	v_fma_f64 v[10:11], -v[85:86], v[53:54], v[10:11]
	v_fma_f64 v[38:39], v[97:98], v[79:80], v[38:39]
	v_add_f64 v[10:11], v[10:11], -v[38:39]
	v_mov_b32_e32 v38, s9
	v_mov_b32_e32 v39, s15
	s_waitcnt vmcnt(0)
	v_add_f64 v[4:5], v[10:11], v[4:5]
	v_add_f64 v[6:7], v[14:15], v[6:7]
	v_lshlrev_b64 v[10:11], 4, v[12:13]
	v_lshlrev_b64 v[12:13], 4, v[45:46]
	v_add_co_u32_e32 v14, vcc, s8, v12
	v_addc_co_u32_e32 v15, vcc, v38, v13, vcc
	global_store_dwordx4 v[8:9], v[4:7], off
	v_add_co_u32_e32 v8, vcc, s14, v10
	v_addc_co_u32_e32 v9, vcc, v39, v11, vcc
	global_load_dwordx4 v[4:7], v[14:15], off
	global_load_dwordx4 v[10:13], v[8:9], off
	v_mul_f64 v[8:9], v[2:3], -v[22:23]
	v_mul_f64 v[2:3], v[2:3], v[20:21]
	v_fma_f64 v[8:9], v[20:21], v[0:1], v[8:9]
	v_fma_f64 v[0:1], v[22:23], v[0:1], v[2:3]
	v_mul_f64 v[20:21], v[36:37], v[28:29]
	v_mul_f64 v[22:23], v[28:29], -v[85:86]
	v_mul_f64 v[28:29], v[32:33], -v[89:90]
	v_mul_f64 v[32:33], v[97:98], v[32:33]
	v_mul_f64 v[2:3], v[18:19], v[8:9]
	v_mul_f64 v[18:19], v[18:19], -v[0:1]
	v_fma_f64 v[0:1], v[0:1], v[16:17], v[2:3]
	v_fma_f64 v[2:3], v[8:9], v[16:17], v[18:19]
	v_fma_f64 v[8:9], -v[85:86], v[30:31], v[20:21]
	v_fma_f64 v[16:17], -v[36:37], v[30:31], v[22:23]
	v_fma_f64 v[18:19], v[97:98], v[34:35], v[28:29]
	v_fma_f64 v[20:21], v[89:90], v[34:35], v[32:33]
	v_mul_f64 v[22:23], v[24:25], -v[0:1]
	v_mul_f64 v[24:25], v[24:25], v[2:3]
	v_add_f64 v[8:9], v[8:9], -v[18:19]
	v_add_f64 v[16:17], v[16:17], -v[20:21]
	v_fma_f64 v[18:19], v[2:3], v[26:27], v[22:23]
	v_fma_f64 v[20:21], v[0:1], v[26:27], v[24:25]
	s_waitcnt vmcnt(1)
	v_add_f64 v[0:1], v[8:9], v[4:5]
	v_add_f64 v[2:3], v[16:17], v[6:7]
	s_waitcnt vmcnt(0)
	v_add_f64 v[10:11], v[10:11], -v[18:19]
	v_add_f64 v[8:9], v[12:13], -v[20:21]
	global_store_dwordx4 v[14:15], v[0:3], off
.LBB318_16:                             ;   in Loop: Header=BB318_5 Depth=1
	s_or_b64 exec, exec, s[4:5]
	v_mov_b32_e32 v2, v8
	v_mov_b32_e32 v0, v10
	;; [unrolled: 1-line block ×4, first 2 shown]
                                        ; implicit-def: $vgpr4_vgpr5
                                        ; implicit-def: $vgpr12_vgpr13
                                        ; implicit-def: $vgpr8_vgpr9
                                        ; implicit-def: $vgpr47_vgpr48
                                        ; implicit-def: $vgpr49_vgpr50
                                        ; implicit-def: $vgpr36
                                        ; implicit-def: $vgpr34
                                        ; implicit-def: $vgpr32
                                        ; implicit-def: $vgpr30
                                        ; implicit-def: $vgpr28
                                        ; implicit-def: $vgpr26
                                        ; implicit-def: $vgpr24
.LBB318_17:                             ;   in Loop: Header=BB318_5 Depth=1
	s_or_saveexec_b64 s[2:3], s[20:21]
	v_mov_b32_e32 v10, s27
	s_xor_b64 exec, exec, s[2:3]
	s_cbranch_execz .LBB318_4
; %bb.18:                               ;   in Loop: Header=BB318_5 Depth=1
	v_mul_f64 v[10:11], v[2:3], v[2:3]
	v_lshlrev_b64 v[16:17], 4, v[45:46]
	v_mov_b32_e32 v35, v46
	v_mov_b32_e32 v37, v46
	v_lshlrev_b64 v[20:21], 4, v[34:35]
	v_mov_b32_e32 v25, s9
	v_lshlrev_b64 v[18:19], 4, v[36:37]
	v_add_co_u32_e32 v73, vcc, s8, v16
	v_fma_f64 v[10:11], v[0:1], v[0:1], v[10:11]
	v_addc_co_u32_e32 v74, vcc, v25, v17, vcc
	v_mov_b32_e32 v40, s9
	v_add_co_u32_e32 v75, vcc, s8, v18
	v_mov_b32_e32 v33, v46
	v_addc_co_u32_e32 v76, vcc, v40, v19, vcc
	v_div_scale_f64 v[38:39], s[4:5], v[10:11], v[10:11], 1.0
	v_mov_b32_e32 v41, s9
	v_lshlrev_b64 v[22:23], 4, v[32:33]
	v_add_co_u32_e32 v77, vcc, s8, v20
	v_mov_b32_e32 v31, v46
	v_addc_co_u32_e32 v78, vcc, v41, v21, vcc
	v_mov_b32_e32 v42, s9
	v_lshlrev_b64 v[30:31], 4, v[30:31]
	v_add_co_u32_e32 v79, vcc, s8, v22
	v_mov_b32_e32 v29, v46
	v_addc_co_u32_e32 v80, vcc, v42, v23, vcc
	v_rcp_f64_e32 v[34:35], v[38:39]
	v_mov_b32_e32 v43, s9
	v_lshlrev_b64 v[28:29], 4, v[28:29]
	v_add_co_u32_e32 v81, vcc, s8, v30
	v_mov_b32_e32 v27, v46
	v_addc_co_u32_e32 v82, vcc, v43, v31, vcc
	v_mov_b32_e32 v45, s9
	v_lshlrev_b64 v[32:33], 4, v[26:27]
	v_add_co_u32_e32 v83, vcc, s8, v28
	v_addc_co_u32_e32 v84, vcc, v45, v29, vcc
	v_mov_b32_e32 v25, v46
	v_mov_b32_e32 v51, s9
	v_add_co_u32_e32 v85, vcc, s8, v32
	v_lshlrev_b64 v[24:25], 4, v[24:25]
	v_addc_co_u32_e32 v86, vcc, v51, v33, vcc
	v_mov_b32_e32 v32, s9
	v_add_co_u32_e32 v87, vcc, s8, v24
	v_fma_f64 v[30:31], -v[38:39], v[34:35], 1.0
	global_load_dwordx4 v[16:19], v[73:74], off
	global_load_dwordx4 v[20:23], v[75:76], off
	;; [unrolled: 1-line block ×6, first 2 shown]
	v_addc_co_u32_e32 v88, vcc, v32, v25, vcc
	global_load_dwordx4 v[65:68], v[85:86], off
	global_load_dwordx4 v[69:72], v[87:88], off
	v_div_scale_f64 v[24:25], vcc, 1.0, v[10:11], 1.0
	v_fma_f64 v[30:31], v[34:35], v[30:31], v[34:35]
	v_fma_f64 v[32:33], -v[38:39], v[30:31], 1.0
	v_fma_f64 v[30:31], v[30:31], v[32:33], v[30:31]
	v_mul_f64 v[32:33], v[24:25], v[30:31]
	v_fma_f64 v[24:25], -v[38:39], v[32:33], v[24:25]
	v_div_fmas_f64 v[24:25], v[24:25], v[30:31], v[32:33]
	v_fma_f64 v[30:31], v[0:1], 0, -v[2:3]
	v_fma_f64 v[0:1], v[2:3], 0, v[0:1]
	v_div_fixup_f64 v[10:11], v[24:25], v[10:11], 1.0
	v_mul_f64 v[51:52], v[30:31], v[10:11]
	v_mul_f64 v[10:11], v[0:1], v[10:11]
	s_waitcnt vmcnt(7)
	v_mul_f64 v[0:1], v[51:52], -v[18:19]
	v_mul_f64 v[2:3], v[51:52], v[16:17]
	s_waitcnt vmcnt(6)
	v_mul_f64 v[24:25], v[51:52], -v[22:23]
	;; [unrolled: 3-line block ×8, first 2 shown]
	v_mul_f64 v[111:112], v[51:52], v[69:70]
	v_fma_f64 v[40:41], v[16:17], v[10:11], v[0:1]
	v_fma_f64 v[42:43], v[18:19], v[10:11], v[2:3]
	;; [unrolled: 1-line block ×16, first 2 shown]
	global_store_dwordx4 v[73:74], v[40:43], off
	global_store_dwordx4 v[75:76], v[36:39], off
	global_store_dwordx4 v[77:78], v[32:35], off
	global_store_dwordx4 v[79:80], v[28:31], off
	global_store_dwordx4 v[81:82], v[24:27], off
	global_store_dwordx4 v[83:84], v[20:23], off
	global_store_dwordx4 v[85:86], v[16:19], off
	global_store_dwordx4 v[87:88], v[0:3], off
	s_and_saveexec_b64 s[4:5], s[0:1]
	s_cbranch_execz .LBB318_3
; %bb.19:                               ;   in Loop: Header=BB318_5 Depth=1
	v_add_u32_e32 v65, v103, v105
	v_add_u32_e32 v45, s28, v65
	v_lshlrev_b64 v[53:54], 4, v[45:46]
	v_mov_b32_e32 v45, s9
	v_add_co_u32_e32 v61, vcc, s8, v53
	v_addc_co_u32_e32 v62, vcc, v45, v54, vcc
	global_load_dwordx4 v[53:56], v[61:62], off
	v_add_u32_e32 v45, s29, v65
	v_lshlrev_b64 v[57:58], 4, v[45:46]
	v_add_u32_e32 v45, s30, v65
	v_mov_b32_e32 v59, s9
	v_add_co_u32_e32 v63, vcc, s8, v57
	v_addc_co_u32_e32 v64, vcc, v59, v58, vcc
	global_load_dwordx4 v[57:60], v[63:64], off
	s_waitcnt vmcnt(1)
	v_fma_f64 v[53:54], -v[4:5], v[40:41], v[53:54]
	v_fma_f64 v[55:56], -v[6:7], v[40:41], v[55:56]
	v_fma_f64 v[40:41], v[6:7], v[42:43], v[53:54]
	v_fma_f64 v[42:43], -v[4:5], v[42:43], v[55:56]
	v_lshlrev_b64 v[53:54], 4, v[45:46]
	v_mov_b32_e32 v55, s9
	v_add_co_u32_e32 v53, vcc, s8, v53
	v_addc_co_u32_e32 v54, vcc, v55, v54, vcc
	v_add_u32_e32 v45, s31, v65
	global_store_dwordx4 v[61:62], v[40:43], off
	global_load_dwordx4 v[40:43], v[53:54], off
	s_waitcnt vmcnt(2)
	v_fma_f64 v[55:56], -v[4:5], v[36:37], v[57:58]
	v_fma_f64 v[57:58], -v[6:7], v[36:37], v[59:60]
	v_fma_f64 v[36:37], v[6:7], v[38:39], v[55:56]
	v_fma_f64 v[38:39], -v[4:5], v[38:39], v[57:58]
	v_lshlrev_b64 v[55:56], 4, v[45:46]
	v_add_u32_e32 v45, s33, v65
	v_mov_b32_e32 v57, s9
	v_add_co_u32_e32 v55, vcc, s8, v55
	v_addc_co_u32_e32 v56, vcc, v57, v56, vcc
	global_store_dwordx4 v[63:64], v[36:39], off
	global_load_dwordx4 v[36:39], v[55:56], off
	s_waitcnt vmcnt(2)
	v_fma_f64 v[40:41], -v[4:5], v[32:33], v[40:41]
	v_fma_f64 v[42:43], -v[6:7], v[32:33], v[42:43]
	v_fma_f64 v[32:33], v[6:7], v[34:35], v[40:41]
	v_fma_f64 v[34:35], -v[4:5], v[34:35], v[42:43]
	v_lshlrev_b64 v[40:41], 4, v[45:46]
	v_mov_b32_e32 v42, s9
	v_add_co_u32_e32 v40, vcc, s8, v40
	v_addc_co_u32_e32 v41, vcc, v42, v41, vcc
	v_add_u32_e32 v45, s34, v65
	global_store_dwordx4 v[53:54], v[32:35], off
	global_load_dwordx4 v[32:35], v[40:41], off
	s_waitcnt vmcnt(2)
	v_fma_f64 v[36:37], -v[4:5], v[28:29], v[36:37]
	v_fma_f64 v[38:39], -v[6:7], v[28:29], v[38:39]
	v_fma_f64 v[28:29], v[6:7], v[30:31], v[36:37]
	v_fma_f64 v[30:31], -v[4:5], v[30:31], v[38:39]
	s_waitcnt vmcnt(0)
	v_fma_f64 v[32:33], -v[4:5], v[24:25], v[32:33]
	v_fma_f64 v[34:35], -v[6:7], v[24:25], v[34:35]
	v_fma_f64 v[24:25], v[6:7], v[26:27], v[32:33]
	v_fma_f64 v[26:27], -v[4:5], v[26:27], v[34:35]
	v_lshlrev_b64 v[32:33], 4, v[45:46]
	global_store_dwordx4 v[55:56], v[28:31], off
	global_store_dwordx4 v[40:41], v[24:27], off
	v_add_co_u32_e32 v32, vcc, s8, v32
	v_addc_co_u32_e32 v33, vcc, v42, v33, vcc
	global_load_dwordx4 v[24:27], v[32:33], off
	v_add_u32_e32 v45, s35, v65
	s_waitcnt vmcnt(0)
	v_fma_f64 v[24:25], -v[4:5], v[20:21], v[24:25]
	v_fma_f64 v[26:27], -v[6:7], v[20:21], v[26:27]
	v_fma_f64 v[20:21], v[6:7], v[22:23], v[24:25]
	v_fma_f64 v[22:23], -v[4:5], v[22:23], v[26:27]
	v_lshlrev_b64 v[24:25], 4, v[45:46]
	v_mov_b32_e32 v26, s9
	v_add_co_u32_e32 v24, vcc, s8, v24
	v_addc_co_u32_e32 v25, vcc, v26, v25, vcc
	v_add_u32_e32 v45, s36, v65
	global_store_dwordx4 v[32:33], v[20:23], off
	global_load_dwordx4 v[20:23], v[24:25], off
	s_waitcnt vmcnt(0)
	v_fma_f64 v[20:21], -v[4:5], v[16:17], v[20:21]
	v_fma_f64 v[22:23], -v[6:7], v[16:17], v[22:23]
	v_fma_f64 v[16:17], v[6:7], v[18:19], v[20:21]
	v_fma_f64 v[18:19], -v[4:5], v[18:19], v[22:23]
	v_lshlrev_b64 v[20:21], 4, v[45:46]
	v_mov_b32_e32 v22, s9
	v_add_co_u32_e32 v20, vcc, s8, v20
	v_addc_co_u32_e32 v21, vcc, v22, v21, vcc
	global_store_dwordx4 v[24:25], v[16:19], off
	global_load_dwordx4 v[16:19], v[20:21], off
	s_waitcnt vmcnt(0)
	v_fma_f64 v[16:17], -v[4:5], v[0:1], v[16:17]
	v_fma_f64 v[18:19], -v[6:7], v[0:1], v[18:19]
	v_fma_f64 v[0:1], v[6:7], v[2:3], v[16:17]
	v_fma_f64 v[2:3], -v[4:5], v[2:3], v[18:19]
	global_store_dwordx4 v[20:21], v[0:3], off
	s_branch .LBB318_3
.LBB318_20:
	s_or_b64 exec, exec, s[18:19]
	s_branch .LBB318_22
.LBB318_21:
	v_mov_b32_e32 v105, 0
.LBB318_22:
	v_subrev_u32_e32 v2, s22, v105
	v_add_u32_e32 v0, v2, v44
	v_ashrrev_i32_e32 v1, 31, v0
	v_lshlrev_b64 v[0:1], 2, v[0:1]
	s_waitcnt lgkmcnt(0)
	v_mov_b32_e32 v3, s17
	v_add_co_u32_e32 v0, vcc, s16, v0
	v_addc_co_u32_e32 v1, vcc, v3, v1, vcc
	s_waitcnt vmcnt(0)
	buffer_wbinvl1_vol
	global_load_dword v0, v[0:1], off
	s_waitcnt vmcnt(0)
	v_mul_lo_u32 v0, v0, s22
	v_sub_u32_e32 v8, v2, v0
	v_cmp_lt_i32_e32 vcc, -1, v8
	s_and_b64 exec, exec, vcc
	s_cbranch_execz .LBB318_29
; %bb.23:
	s_lshl_b32 s4, s24, 3
	s_add_i32 s5, s4, s23
	s_add_i32 s6, s5, s23
	;; [unrolled: 1-line block ×7, first 2 shown]
	s_lshl_b32 s18, s22, 1
	s_mov_b64 s[0:1], 0
	v_mov_b32_e32 v9, s17
	v_mov_b32_e32 v10, s11
	;; [unrolled: 1-line block ×3, first 2 shown]
	s_branch .LBB318_25
.LBB318_24:                             ;   in Loop: Header=BB318_25 Depth=1
	s_or_b64 exec, exec, s[2:3]
	v_sub_u32_e32 v8, v8, v4
	v_cmp_gt_i32_e32 vcc, 0, v8
	s_or_b64 s[0:1], vcc, s[0:1]
	s_andn2_b64 exec, exec, s[0:1]
	s_cbranch_execz .LBB318_29
.LBB318_25:                             ; =>This Inner Loop Header: Depth=1
	v_add_u32_e32 v6, v8, v44
	v_ashrrev_i32_e32 v7, 31, v6
	s_waitcnt vmcnt(0)
	v_lshlrev_b64 v[0:1], 2, v[6:7]
	v_add_co_u32_e32 v0, vcc, s16, v0
	v_addc_co_u32_e32 v1, vcc, v9, v1, vcc
	global_load_dword v4, v[0:1], off
	v_lshlrev_b64 v[0:1], 4, v[6:7]
	v_add_co_u32_e32 v0, vcc, s10, v0
	v_addc_co_u32_e32 v1, vcc, v10, v1, vcc
	global_load_dwordx4 v[0:3], v[0:1], off
	s_waitcnt vmcnt(1)
	v_cmp_ne_u32_e32 vcc, 1, v4
	s_and_saveexec_b64 s[2:3], vcc
	s_xor_b64 s[2:3], exec, s[2:3]
	s_cbranch_execz .LBB318_27
; %bb.26:                               ;   in Loop: Header=BB318_25 Depth=1
	v_add_u32_e32 v7, v103, v8
	v_add_u32_e32 v4, s4, v7
	v_lshlrev_b64 v[11:12], 4, v[4:5]
	v_mov_b32_e32 v4, s9
	v_add_co_u32_e32 v11, vcc, s8, v11
	v_addc_co_u32_e32 v12, vcc, v4, v12, vcc
	v_add_u32_e32 v4, s5, v7
	v_lshlrev_b64 v[19:20], 4, v[4:5]
	v_add_u32_e32 v4, s6, v7
	v_lshlrev_b64 v[23:24], 4, v[4:5]
	;; [unrolled: 2-line block ×8, first 2 shown]
	v_mov_b32_e32 v4, s9
	v_add_co_u32_e32 v49, vcc, s8, v15
	v_addc_co_u32_e32 v50, vcc, v4, v16, vcc
	global_load_dwordx4 v[11:14], v[11:12], off
	v_add_co_u32_e32 v19, vcc, s8, v19
	global_load_dwordx4 v[15:18], v[49:50], off
	v_addc_co_u32_e32 v20, vcc, v4, v20, vcc
	global_load_dwordx4 v[19:22], v[19:20], off
	v_mov_b32_e32 v7, s9
	v_add_co_u32_e32 v35, vcc, s8, v23
	v_addc_co_u32_e32 v36, vcc, v7, v24, vcc
	v_mov_b32_e32 v27, s9
	v_add_co_u32_e32 v37, vcc, s8, v25
	v_addc_co_u32_e32 v38, vcc, v27, v26, vcc
	;; [unrolled: 3-line block ×5, first 2 shown]
	v_add_u32_e32 v4, s5, v6
	v_mov_b32_e32 v54, s9
	v_add_co_u32_e32 v53, vcc, s8, v41
	v_lshlrev_b64 v[55:56], 4, v[4:5]
	v_addc_co_u32_e32 v54, vcc, v54, v42, vcc
	v_mov_b32_e32 v57, s9
	global_load_dwordx4 v[23:26], v[35:36], off
	global_load_dwordx4 v[27:30], v[37:38], off
	global_load_dwordx4 v[31:34], v[45:46], off
	s_nop 0
	global_load_dwordx4 v[35:38], v[47:48], off
	global_load_dwordx4 v[39:42], v[51:52], off
	s_nop 0
	global_load_dwordx4 v[45:48], v[53:54], off
	v_add_co_u32_e32 v51, vcc, s8, v55
	v_addc_co_u32_e32 v52, vcc, v57, v56, vcc
	v_add_u32_e32 v4, s6, v6
	s_waitcnt vmcnt(7)
	v_fma_f64 v[15:16], -v[0:1], v[11:12], v[15:16]
	v_fma_f64 v[17:18], -v[2:3], v[11:12], v[17:18]
	v_fma_f64 v[15:16], v[2:3], v[13:14], v[15:16]
	v_fma_f64 v[17:18], -v[0:1], v[13:14], v[17:18]
	global_store_dwordx4 v[49:50], v[15:18], off
	global_load_dwordx4 v[15:18], v[51:52], off
	v_lshlrev_b64 v[49:50], 4, v[4:5]
	v_add_u32_e32 v4, s7, v6
	v_add_co_u32_e32 v49, vcc, s8, v49
	v_addc_co_u32_e32 v50, vcc, v7, v50, vcc
	s_waitcnt vmcnt(0)
	v_fma_f64 v[15:16], -v[0:1], v[19:20], v[15:16]
	v_fma_f64 v[17:18], -v[2:3], v[19:20], v[17:18]
	v_fma_f64 v[15:16], v[2:3], v[21:22], v[15:16]
	v_fma_f64 v[17:18], -v[0:1], v[21:22], v[17:18]
	global_store_dwordx4 v[51:52], v[15:18], off
	global_load_dwordx4 v[15:18], v[49:50], off
	v_lshlrev_b64 v[51:52], 4, v[4:5]
	v_add_u32_e32 v4, s12, v6
	v_add_co_u32_e32 v51, vcc, s8, v51
	v_addc_co_u32_e32 v52, vcc, v7, v52, vcc
	;; [unrolled: 11-line block ×5, first 2 shown]
	v_lshlrev_b64 v[6:7], 4, v[4:5]
	v_subrev_u32_e32 v4, s22, v8
	v_add_co_u32_e32 v6, vcc, s8, v6
	v_addc_co_u32_e32 v7, vcc, v43, v7, vcc
	v_mov_b32_e32 v43, s11
	s_waitcnt vmcnt(0)
	v_fma_f64 v[15:16], -v[0:1], v[35:36], v[15:16]
	v_fma_f64 v[17:18], -v[2:3], v[35:36], v[17:18]
	v_fma_f64 v[15:16], v[2:3], v[37:38], v[15:16]
	v_fma_f64 v[17:18], -v[0:1], v[37:38], v[17:18]
	global_store_dwordx4 v[51:52], v[15:18], off
	global_load_dwordx4 v[15:18], v[49:50], off
	v_mov_b32_e32 v52, s9
	s_waitcnt vmcnt(0)
	v_fma_f64 v[15:16], -v[0:1], v[39:40], v[15:16]
	v_fma_f64 v[17:18], -v[2:3], v[39:40], v[17:18]
	v_fma_f64 v[15:16], v[2:3], v[41:42], v[15:16]
	v_fma_f64 v[17:18], -v[0:1], v[41:42], v[17:18]
	global_store_dwordx4 v[49:50], v[15:18], off
	global_load_dwordx4 v[15:18], v[6:7], off
	v_add_u32_e32 v49, v4, v44
	v_ashrrev_i32_e32 v50, 31, v49
	v_lshlrev_b64 v[50:51], 4, v[49:50]
	v_add_u32_e32 v4, s4, v49
	v_add_co_u32_e32 v50, vcc, s10, v50
	v_addc_co_u32_e32 v51, vcc, v43, v51, vcc
	s_waitcnt vmcnt(0)
	v_fma_f64 v[15:16], -v[0:1], v[45:46], v[15:16]
	v_fma_f64 v[17:18], -v[2:3], v[45:46], v[17:18]
	v_fma_f64 v[15:16], v[2:3], v[47:48], v[15:16]
	v_fma_f64 v[17:18], -v[0:1], v[47:48], v[17:18]
	global_load_dwordx4 v[0:3], v[50:51], off
	v_lshlrev_b64 v[50:51], 4, v[4:5]
	v_add_u32_e32 v4, s5, v49
	v_add_co_u32_e32 v50, vcc, s8, v50
	v_addc_co_u32_e32 v51, vcc, v52, v51, vcc
	global_store_dwordx4 v[6:7], v[15:18], off
	global_load_dwordx4 v[15:18], v[50:51], off
	s_waitcnt vmcnt(0)
	v_fma_f64 v[6:7], -v[0:1], v[11:12], v[15:16]
	v_fma_f64 v[15:16], -v[2:3], v[11:12], v[17:18]
	v_mov_b32_e32 v17, s9
	v_fma_f64 v[11:12], v[2:3], v[13:14], v[6:7]
	v_fma_f64 v[13:14], -v[0:1], v[13:14], v[15:16]
	v_lshlrev_b64 v[6:7], 4, v[4:5]
	v_mov_b32_e32 v15, s9
	v_add_co_u32_e32 v6, vcc, s8, v6
	v_addc_co_u32_e32 v7, vcc, v15, v7, vcc
	v_add_u32_e32 v4, s6, v49
	global_store_dwordx4 v[50:51], v[11:14], off
	global_load_dwordx4 v[11:14], v[6:7], off
	v_lshlrev_b64 v[15:16], 4, v[4:5]
	v_add_u32_e32 v4, s7, v49
	v_add_co_u32_e32 v15, vcc, s8, v15
	v_addc_co_u32_e32 v16, vcc, v17, v16, vcc
	s_waitcnt vmcnt(0)
	v_fma_f64 v[11:12], -v[0:1], v[19:20], v[11:12]
	v_fma_f64 v[13:14], -v[2:3], v[19:20], v[13:14]
	v_fma_f64 v[11:12], v[2:3], v[21:22], v[11:12]
	v_fma_f64 v[13:14], -v[0:1], v[21:22], v[13:14]
	global_store_dwordx4 v[6:7], v[11:14], off
	global_load_dwordx4 v[11:14], v[15:16], off
	s_waitcnt vmcnt(0)
	v_fma_f64 v[6:7], -v[0:1], v[23:24], v[11:12]
	v_fma_f64 v[13:14], -v[2:3], v[23:24], v[13:14]
	v_fma_f64 v[11:12], v[2:3], v[25:26], v[6:7]
	v_fma_f64 v[13:14], -v[0:1], v[25:26], v[13:14]
	v_lshlrev_b64 v[6:7], 4, v[4:5]
	v_add_u32_e32 v4, s12, v49
	v_add_co_u32_e32 v6, vcc, s8, v6
	v_addc_co_u32_e32 v7, vcc, v17, v7, vcc
	global_store_dwordx4 v[15:16], v[11:14], off
	global_load_dwordx4 v[11:14], v[6:7], off
	v_lshlrev_b64 v[15:16], 4, v[4:5]
	v_add_u32_e32 v4, s13, v49
	v_add_co_u32_e32 v15, vcc, s8, v15
	v_addc_co_u32_e32 v16, vcc, v17, v16, vcc
	s_waitcnt vmcnt(0)
	v_fma_f64 v[11:12], -v[0:1], v[27:28], v[11:12]
	v_fma_f64 v[13:14], -v[2:3], v[27:28], v[13:14]
	v_fma_f64 v[11:12], v[2:3], v[29:30], v[11:12]
	v_fma_f64 v[13:14], -v[0:1], v[29:30], v[13:14]
	global_store_dwordx4 v[6:7], v[11:14], off
	global_load_dwordx4 v[11:14], v[15:16], off
	s_waitcnt vmcnt(0)
	v_fma_f64 v[6:7], -v[0:1], v[31:32], v[11:12]
	v_fma_f64 v[13:14], -v[2:3], v[31:32], v[13:14]
	v_fma_f64 v[11:12], v[2:3], v[33:34], v[6:7]
	v_fma_f64 v[13:14], -v[0:1], v[33:34], v[13:14]
	v_lshlrev_b64 v[6:7], 4, v[4:5]
	v_add_u32_e32 v4, s14, v49
	v_add_co_u32_e32 v6, vcc, s8, v6
	v_addc_co_u32_e32 v7, vcc, v17, v7, vcc
	global_store_dwordx4 v[15:16], v[11:14], off
	global_load_dwordx4 v[11:14], v[6:7], off
	v_lshlrev_b64 v[15:16], 4, v[4:5]
	v_add_u32_e32 v4, s15, v49
	v_add_co_u32_e32 v15, vcc, s8, v15
	v_addc_co_u32_e32 v16, vcc, v17, v16, vcc
	s_waitcnt vmcnt(0)
	v_fma_f64 v[11:12], -v[0:1], v[35:36], v[11:12]
	v_fma_f64 v[13:14], -v[2:3], v[35:36], v[13:14]
	v_fma_f64 v[11:12], v[2:3], v[37:38], v[11:12]
	v_fma_f64 v[13:14], -v[0:1], v[37:38], v[13:14]
	global_store_dwordx4 v[6:7], v[11:14], off
	global_load_dwordx4 v[11:14], v[15:16], off
	s_waitcnt vmcnt(0)
	v_fma_f64 v[6:7], -v[0:1], v[39:40], v[11:12]
	v_fma_f64 v[13:14], -v[2:3], v[39:40], v[13:14]
	v_fma_f64 v[11:12], v[2:3], v[41:42], v[6:7]
	v_fma_f64 v[13:14], -v[0:1], v[41:42], v[13:14]
	v_lshlrev_b64 v[6:7], 4, v[4:5]
	v_add_co_u32_e32 v6, vcc, s8, v6
	v_addc_co_u32_e32 v7, vcc, v17, v7, vcc
	global_store_dwordx4 v[15:16], v[11:14], off
	global_load_dwordx4 v[11:14], v[6:7], off
	s_waitcnt vmcnt(0)
	v_fma_f64 v[11:12], -v[0:1], v[45:46], v[11:12]
	v_fma_f64 v[13:14], -v[2:3], v[45:46], v[13:14]
	v_fma_f64 v[11:12], v[2:3], v[47:48], v[11:12]
	v_fma_f64 v[13:14], -v[0:1], v[47:48], v[13:14]
                                        ; implicit-def: $vgpr0_vgpr1
	global_store_dwordx4 v[6:7], v[11:14], off
                                        ; implicit-def: $vgpr6
.LBB318_27:                             ;   in Loop: Header=BB318_25 Depth=1
	s_or_saveexec_b64 s[2:3], s[2:3]
	v_mov_b32_e32 v4, s18
	s_xor_b64 exec, exec, s[2:3]
	s_cbranch_execz .LBB318_24
; %bb.28:                               ;   in Loop: Header=BB318_25 Depth=1
	v_add_u32_e32 v7, v103, v8
	v_add_u32_e32 v4, s4, v7
	v_lshlrev_b64 v[11:12], 4, v[4:5]
	v_mov_b32_e32 v4, s9
	v_add_co_u32_e32 v19, vcc, s8, v11
	v_addc_co_u32_e32 v20, vcc, v4, v12, vcc
	v_add_u32_e32 v4, s4, v6
	v_lshlrev_b64 v[11:12], 4, v[4:5]
	v_mov_b32_e32 v4, s9
	v_add_co_u32_e32 v21, vcc, s8, v11
	v_addc_co_u32_e32 v22, vcc, v4, v12, vcc
	global_load_dwordx4 v[11:14], v[19:20], off
	global_load_dwordx4 v[15:18], v[21:22], off
	v_add_u32_e32 v4, s5, v7
	v_lshlrev_b64 v[19:20], 4, v[4:5]
	v_add_u32_e32 v4, s5, v6
	v_mov_b32_e32 v25, s9
	v_lshlrev_b64 v[23:24], 4, v[4:5]
	v_add_co_u32_e32 v19, vcc, s8, v19
	v_addc_co_u32_e32 v20, vcc, v25, v20, vcc
	v_mov_b32_e32 v26, s9
	v_add_co_u32_e32 v23, vcc, s8, v23
	v_addc_co_u32_e32 v24, vcc, v26, v24, vcc
	v_add_u32_e32 v4, s6, v7
	s_waitcnt vmcnt(0)
	v_fma_f64 v[15:16], -v[0:1], v[11:12], v[15:16]
	v_fma_f64 v[17:18], -v[2:3], v[11:12], v[17:18]
	v_fma_f64 v[11:12], v[2:3], v[13:14], v[15:16]
	v_fma_f64 v[13:14], -v[0:1], v[13:14], v[17:18]
	global_store_dwordx4 v[21:22], v[11:14], off
	global_load_dwordx4 v[11:14], v[19:20], off
	s_nop 0
	global_load_dwordx4 v[15:18], v[23:24], off
	v_lshlrev_b64 v[19:20], 4, v[4:5]
	v_add_u32_e32 v4, s6, v6
	v_lshlrev_b64 v[21:22], 4, v[4:5]
	v_add_co_u32_e32 v19, vcc, s8, v19
	v_addc_co_u32_e32 v20, vcc, v25, v20, vcc
	v_add_co_u32_e32 v21, vcc, s8, v21
	v_addc_co_u32_e32 v22, vcc, v26, v22, vcc
	v_add_u32_e32 v4, s7, v7
	s_waitcnt vmcnt(0)
	v_fma_f64 v[15:16], -v[0:1], v[11:12], v[15:16]
	v_fma_f64 v[17:18], -v[2:3], v[11:12], v[17:18]
	v_fma_f64 v[11:12], v[2:3], v[13:14], v[15:16]
	v_fma_f64 v[13:14], -v[0:1], v[13:14], v[17:18]
	global_store_dwordx4 v[23:24], v[11:14], off
	global_load_dwordx4 v[11:14], v[19:20], off
	s_nop 0
	global_load_dwordx4 v[15:18], v[21:22], off
	v_lshlrev_b64 v[19:20], 4, v[4:5]
	v_add_u32_e32 v4, s7, v6
	v_lshlrev_b64 v[23:24], 4, v[4:5]
	v_add_co_u32_e32 v19, vcc, s8, v19
	v_addc_co_u32_e32 v20, vcc, v25, v20, vcc
	;; [unrolled: 17-line block ×5, first 2 shown]
	v_add_co_u32_e32 v21, vcc, s8, v21
	v_addc_co_u32_e32 v22, vcc, v26, v22, vcc
	v_add_u32_e32 v4, s15, v7
	s_waitcnt vmcnt(0)
	v_fma_f64 v[15:16], -v[0:1], v[11:12], v[15:16]
	v_fma_f64 v[17:18], -v[2:3], v[11:12], v[17:18]
	v_fma_f64 v[11:12], v[2:3], v[13:14], v[15:16]
	v_fma_f64 v[13:14], -v[0:1], v[13:14], v[17:18]
	global_store_dwordx4 v[23:24], v[11:14], off
	global_load_dwordx4 v[11:14], v[19:20], off
	s_nop 0
	global_load_dwordx4 v[15:18], v[21:22], off
	v_lshlrev_b64 v[19:20], 4, v[4:5]
	v_add_u32_e32 v4, s15, v6
	v_mov_b32_e32 v23, s9
	v_lshlrev_b64 v[6:7], 4, v[4:5]
	v_add_co_u32_e32 v19, vcc, s8, v19
	v_addc_co_u32_e32 v20, vcc, v23, v20, vcc
	v_mov_b32_e32 v24, s9
	v_add_co_u32_e32 v6, vcc, s8, v6
	v_addc_co_u32_e32 v7, vcc, v24, v7, vcc
	v_mov_b32_e32 v4, s22
	s_waitcnt vmcnt(0)
	v_fma_f64 v[15:16], -v[0:1], v[11:12], v[15:16]
	v_fma_f64 v[17:18], -v[2:3], v[11:12], v[17:18]
	v_fma_f64 v[11:12], v[2:3], v[13:14], v[15:16]
	v_fma_f64 v[13:14], -v[0:1], v[13:14], v[17:18]
	global_store_dwordx4 v[21:22], v[11:14], off
	global_load_dwordx4 v[11:14], v[19:20], off
	s_nop 0
	global_load_dwordx4 v[15:18], v[6:7], off
	s_waitcnt vmcnt(0)
	v_fma_f64 v[15:16], -v[0:1], v[11:12], v[15:16]
	v_fma_f64 v[17:18], -v[2:3], v[11:12], v[17:18]
	v_fma_f64 v[11:12], v[2:3], v[13:14], v[15:16]
	v_fma_f64 v[13:14], -v[0:1], v[13:14], v[17:18]
	global_store_dwordx4 v[6:7], v[11:14], off
	s_branch .LBB318_24
.LBB318_29:
	s_endpgm
	.section	.rodata,"a",@progbits
	.p2align	6, 0x0
	.amdhsa_kernel _ZN9rocsparseL19gtsv_LBM_rhs_kernelILj256ELj32ELj8E21rocsparse_complex_numIdEEEviiiPKT2_S5_S5_PS3_S5_PKi
		.amdhsa_group_segment_fixed_size 0
		.amdhsa_private_segment_fixed_size 0
		.amdhsa_kernarg_size 64
		.amdhsa_user_sgpr_count 6
		.amdhsa_user_sgpr_private_segment_buffer 1
		.amdhsa_user_sgpr_dispatch_ptr 0
		.amdhsa_user_sgpr_queue_ptr 0
		.amdhsa_user_sgpr_kernarg_segment_ptr 1
		.amdhsa_user_sgpr_dispatch_id 0
		.amdhsa_user_sgpr_flat_scratch_init 0
		.amdhsa_user_sgpr_private_segment_size 0
		.amdhsa_uses_dynamic_stack 0
		.amdhsa_system_sgpr_private_segment_wavefront_offset 0
		.amdhsa_system_sgpr_workgroup_id_x 1
		.amdhsa_system_sgpr_workgroup_id_y 1
		.amdhsa_system_sgpr_workgroup_id_z 0
		.amdhsa_system_sgpr_workgroup_info 0
		.amdhsa_system_vgpr_workitem_id 0
		.amdhsa_next_free_vgpr 161
		.amdhsa_next_free_sgpr 37
		.amdhsa_reserve_vcc 1
		.amdhsa_reserve_flat_scratch 0
		.amdhsa_float_round_mode_32 0
		.amdhsa_float_round_mode_16_64 0
		.amdhsa_float_denorm_mode_32 3
		.amdhsa_float_denorm_mode_16_64 3
		.amdhsa_dx10_clamp 1
		.amdhsa_ieee_mode 1
		.amdhsa_fp16_overflow 0
		.amdhsa_exception_fp_ieee_invalid_op 0
		.amdhsa_exception_fp_denorm_src 0
		.amdhsa_exception_fp_ieee_div_zero 0
		.amdhsa_exception_fp_ieee_overflow 0
		.amdhsa_exception_fp_ieee_underflow 0
		.amdhsa_exception_fp_ieee_inexact 0
		.amdhsa_exception_int_div_zero 0
	.end_amdhsa_kernel
	.section	.text._ZN9rocsparseL19gtsv_LBM_rhs_kernelILj256ELj32ELj8E21rocsparse_complex_numIdEEEviiiPKT2_S5_S5_PS3_S5_PKi,"axG",@progbits,_ZN9rocsparseL19gtsv_LBM_rhs_kernelILj256ELj32ELj8E21rocsparse_complex_numIdEEEviiiPKT2_S5_S5_PS3_S5_PKi,comdat
.Lfunc_end318:
	.size	_ZN9rocsparseL19gtsv_LBM_rhs_kernelILj256ELj32ELj8E21rocsparse_complex_numIdEEEviiiPKT2_S5_S5_PS3_S5_PKi, .Lfunc_end318-_ZN9rocsparseL19gtsv_LBM_rhs_kernelILj256ELj32ELj8E21rocsparse_complex_numIdEEEviiiPKT2_S5_S5_PS3_S5_PKi
                                        ; -- End function
	.set _ZN9rocsparseL19gtsv_LBM_rhs_kernelILj256ELj32ELj8E21rocsparse_complex_numIdEEEviiiPKT2_S5_S5_PS3_S5_PKi.num_vgpr, 161
	.set _ZN9rocsparseL19gtsv_LBM_rhs_kernelILj256ELj32ELj8E21rocsparse_complex_numIdEEEviiiPKT2_S5_S5_PS3_S5_PKi.num_agpr, 0
	.set _ZN9rocsparseL19gtsv_LBM_rhs_kernelILj256ELj32ELj8E21rocsparse_complex_numIdEEEviiiPKT2_S5_S5_PS3_S5_PKi.numbered_sgpr, 37
	.set _ZN9rocsparseL19gtsv_LBM_rhs_kernelILj256ELj32ELj8E21rocsparse_complex_numIdEEEviiiPKT2_S5_S5_PS3_S5_PKi.num_named_barrier, 0
	.set _ZN9rocsparseL19gtsv_LBM_rhs_kernelILj256ELj32ELj8E21rocsparse_complex_numIdEEEviiiPKT2_S5_S5_PS3_S5_PKi.private_seg_size, 0
	.set _ZN9rocsparseL19gtsv_LBM_rhs_kernelILj256ELj32ELj8E21rocsparse_complex_numIdEEEviiiPKT2_S5_S5_PS3_S5_PKi.uses_vcc, 1
	.set _ZN9rocsparseL19gtsv_LBM_rhs_kernelILj256ELj32ELj8E21rocsparse_complex_numIdEEEviiiPKT2_S5_S5_PS3_S5_PKi.uses_flat_scratch, 0
	.set _ZN9rocsparseL19gtsv_LBM_rhs_kernelILj256ELj32ELj8E21rocsparse_complex_numIdEEEviiiPKT2_S5_S5_PS3_S5_PKi.has_dyn_sized_stack, 0
	.set _ZN9rocsparseL19gtsv_LBM_rhs_kernelILj256ELj32ELj8E21rocsparse_complex_numIdEEEviiiPKT2_S5_S5_PS3_S5_PKi.has_recursion, 0
	.set _ZN9rocsparseL19gtsv_LBM_rhs_kernelILj256ELj32ELj8E21rocsparse_complex_numIdEEEviiiPKT2_S5_S5_PS3_S5_PKi.has_indirect_call, 0
	.section	.AMDGPU.csdata,"",@progbits
; Kernel info:
; codeLenInByte = 8768
; TotalNumSgprs: 41
; NumVgprs: 161
; ScratchSize: 0
; MemoryBound: 1
; FloatMode: 240
; IeeeMode: 1
; LDSByteSize: 0 bytes/workgroup (compile time only)
; SGPRBlocks: 5
; VGPRBlocks: 40
; NumSGPRsForWavesPerEU: 41
; NumVGPRsForWavesPerEU: 161
; Occupancy: 1
; WaveLimiterHint : 0
; COMPUTE_PGM_RSRC2:SCRATCH_EN: 0
; COMPUTE_PGM_RSRC2:USER_SGPR: 6
; COMPUTE_PGM_RSRC2:TRAP_HANDLER: 0
; COMPUTE_PGM_RSRC2:TGID_X_EN: 1
; COMPUTE_PGM_RSRC2:TGID_Y_EN: 1
; COMPUTE_PGM_RSRC2:TGID_Z_EN: 0
; COMPUTE_PGM_RSRC2:TIDIG_COMP_CNT: 0
	.section	.text._ZN9rocsparseL19gtsv_LBM_rhs_kernelILj256ELj32ELj4E21rocsparse_complex_numIdEEEviiiPKT2_S5_S5_PS3_S5_PKi,"axG",@progbits,_ZN9rocsparseL19gtsv_LBM_rhs_kernelILj256ELj32ELj4E21rocsparse_complex_numIdEEEviiiPKT2_S5_S5_PS3_S5_PKi,comdat
	.globl	_ZN9rocsparseL19gtsv_LBM_rhs_kernelILj256ELj32ELj4E21rocsparse_complex_numIdEEEviiiPKT2_S5_S5_PS3_S5_PKi ; -- Begin function _ZN9rocsparseL19gtsv_LBM_rhs_kernelILj256ELj32ELj4E21rocsparse_complex_numIdEEEviiiPKT2_S5_S5_PS3_S5_PKi
	.p2align	8
	.type	_ZN9rocsparseL19gtsv_LBM_rhs_kernelILj256ELj32ELj4E21rocsparse_complex_numIdEEEviiiPKT2_S5_S5_PS3_S5_PKi,@function
_ZN9rocsparseL19gtsv_LBM_rhs_kernelILj256ELj32ELj4E21rocsparse_complex_numIdEEEviiiPKT2_S5_S5_PS3_S5_PKi: ; @_ZN9rocsparseL19gtsv_LBM_rhs_kernelILj256ELj32ELj4E21rocsparse_complex_numIdEEEviiiPKT2_S5_S5_PS3_S5_PKi
; %bb.0:
	s_load_dword s23, s[4:5], 0x0
	v_lshl_or_b32 v28, s6, 8, v0
	s_waitcnt lgkmcnt(0)
	s_lshr_b32 s22, s23, 5
	v_cmp_gt_i32_e32 vcc, s22, v28
	s_and_saveexec_b64 s[0:1], vcc
	s_cbranch_execz .LBB319_29
; %bb.1:
	s_load_dwordx4 s[8:11], s[4:5], 0x28
	s_load_dwordx2 s[16:17], s[4:5], 0x38
	s_cmp_lt_i32 s23, 1
	v_add_u32_e32 v65, s22, v28
	s_mul_i32 s24, s7, s23
	s_cbranch_scc1 .LBB319_21
; %bb.2:
	s_load_dwordx4 s[12:15], s[4:5], 0x10
	s_load_dwordx2 s[6:7], s[4:5], 0x20
	v_ashrrev_i32_e32 v29, 31, v28
	v_lshlrev_b64 v[0:1], 4, v[28:29]
	s_lshl_b32 s28, s24, 2
	s_waitcnt lgkmcnt(0)
	v_mov_b32_e32 v2, s15
	v_add_co_u32_e32 v0, vcc, s14, v0
	v_addc_co_u32_e32 v1, vcc, v2, v1, vcc
	global_load_dwordx4 v[0:3], v[0:1], off
	s_add_i32 s29, s28, s23
	s_add_i32 s30, s29, s23
	s_mul_i32 s25, s22, 31
	s_mul_i32 s26, s22, 30
	s_lshl_b32 s27, s22, 1
	v_add_u32_e32 v67, s22, v65
	s_add_i32 s31, s30, s23
	v_mov_b32_e32 v30, 0
	s_mov_b64 s[18:19], 0
	v_mov_b32_e32 v68, s7
	v_mov_b32_e32 v66, 0
	s_branch .LBB319_5
.LBB319_3:                              ;   in Loop: Header=BB319_5 Depth=1
	s_or_b64 exec, exec, s[4:5]
	v_fma_f64 v[0:1], v[6:7], v[8:9], v[33:34]
	v_fma_f64 v[2:3], v[4:5], v[8:9], v[31:32]
	v_mov_b32_e32 v10, s22
	v_mul_f64 v[4:5], v[35:36], -v[0:1]
	v_mul_f64 v[6:7], v[35:36], v[2:3]
	v_fma_f64 v[2:3], v[2:3], v[14:15], v[4:5]
	v_fma_f64 v[4:5], v[0:1], v[14:15], v[6:7]
	v_add_f64 v[0:1], v[16:17], -v[2:3]
	v_add_f64 v[2:3], v[18:19], -v[4:5]
.LBB319_4:                              ;   in Loop: Header=BB319_5 Depth=1
	s_or_b64 exec, exec, s[2:3]
	v_add_u32_e32 v66, v10, v66
	v_cmp_le_i32_e32 vcc, s23, v66
	s_or_b64 s[18:19], vcc, s[18:19]
	s_andn2_b64 exec, exec, s[18:19]
	s_cbranch_execz .LBB319_20
.LBB319_5:                              ; =>This Inner Loop Header: Depth=1
	v_add_u32_e32 v25, v66, v28
	v_ashrrev_i32_e32 v26, 31, v25
	v_lshlrev_b64 v[4:5], 4, v[25:26]
	v_mov_b32_e32 v16, 0
	v_add_co_u32_e32 v4, vcc, s6, v4
	v_addc_co_u32_e32 v5, vcc, v68, v5, vcc
	global_load_dwordx4 v[8:11], v[4:5], off
	v_mov_b32_e32 v4, 0
	v_mov_b32_e32 v6, 0
	;; [unrolled: 1-line block ×5, first 2 shown]
	v_cmp_gt_u32_e64 s[0:1], s25, v66
	s_and_saveexec_b64 s[2:3], s[0:1]
	s_cbranch_execz .LBB319_7
; %bb.6:                                ;   in Loop: Header=BB319_5 Depth=1
	v_add_u32_e32 v4, v65, v66
	v_ashrrev_i32_e32 v5, 31, v4
	v_lshlrev_b64 v[4:5], 4, v[4:5]
	v_mov_b32_e32 v6, s13
	v_add_co_u32_e32 v4, vcc, s12, v4
	v_addc_co_u32_e32 v5, vcc, v6, v5, vcc
	global_load_dwordx4 v[4:7], v[4:5], off
.LBB319_7:                              ;   in Loop: Header=BB319_5 Depth=1
	s_or_b64 exec, exec, s[2:3]
	v_mov_b32_e32 v18, 0
	v_mov_b32_e32 v19, 0
	s_and_saveexec_b64 s[2:3], s[0:1]
	s_cbranch_execz .LBB319_9
; %bb.8:                                ;   in Loop: Header=BB319_5 Depth=1
	v_add_u32_e32 v12, v65, v66
	v_ashrrev_i32_e32 v13, 31, v12
	v_lshlrev_b64 v[12:13], 4, v[12:13]
	v_mov_b32_e32 v14, s15
	v_add_co_u32_e32 v12, vcc, s14, v12
	v_addc_co_u32_e32 v13, vcc, v14, v13, vcc
	global_load_dwordx4 v[16:19], v[12:13], off
.LBB319_9:                              ;   in Loop: Header=BB319_5 Depth=1
	s_or_b64 exec, exec, s[2:3]
	v_mov_b32_e32 v20, 0
	v_mov_b32_e32 v12, 0
	;; [unrolled: 1-line block ×6, first 2 shown]
	s_and_saveexec_b64 s[2:3], s[0:1]
	s_cbranch_execz .LBB319_11
; %bb.10:                               ;   in Loop: Header=BB319_5 Depth=1
	v_add_u32_e32 v12, v65, v66
	v_ashrrev_i32_e32 v13, 31, v12
	v_lshlrev_b64 v[12:13], 4, v[12:13]
	v_mov_b32_e32 v14, s7
	v_add_co_u32_e32 v12, vcc, s6, v12
	v_addc_co_u32_e32 v13, vcc, v14, v13, vcc
	global_load_dwordx4 v[12:15], v[12:13], off
.LBB319_11:                             ;   in Loop: Header=BB319_5 Depth=1
	s_or_b64 exec, exec, s[2:3]
	v_mov_b32_e32 v22, 0
	v_mov_b32_e32 v23, 0
	v_cmp_gt_u32_e64 s[2:3], s26, v66
	s_and_saveexec_b64 s[4:5], s[2:3]
	s_cbranch_execz .LBB319_13
; %bb.12:                               ;   in Loop: Header=BB319_5 Depth=1
	v_add_u32_e32 v20, v67, v66
	v_ashrrev_i32_e32 v21, 31, v20
	v_lshlrev_b64 v[20:21], 4, v[20:21]
	v_mov_b32_e32 v22, s13
	v_add_co_u32_e32 v20, vcc, s12, v20
	v_addc_co_u32_e32 v21, vcc, v22, v21, vcc
	global_load_dwordx4 v[20:23], v[20:21], off
.LBB319_13:                             ;   in Loop: Header=BB319_5 Depth=1
	s_or_b64 exec, exec, s[4:5]
	v_lshlrev_b64 v[26:27], 2, v[25:26]
	v_mov_b32_e32 v24, s17
	v_add_co_u32_e32 v26, vcc, s16, v26
	v_addc_co_u32_e32 v27, vcc, v24, v27, vcc
	global_load_dword v26, v[26:27], off
	s_waitcnt vmcnt(1)
	v_mul_f64 v[31:32], v[10:11], -v[6:7]
	v_mul_f64 v[33:34], v[10:11], v[4:5]
	v_cmp_ne_u32_e32 vcc, s25, v66
	v_add_u32_e32 v29, s28, v25
	v_add_u32_e32 v24, s29, v25
	;; [unrolled: 1-line block ×4, first 2 shown]
	s_waitcnt vmcnt(0)
	v_cmp_ne_u32_e64 s[4:5], 1, v26
	s_and_b64 s[4:5], vcc, s[4:5]
	s_and_saveexec_b64 s[20:21], s[4:5]
	s_xor_b64 s[20:21], exec, s[20:21]
	s_cbranch_execz .LBB319_17
; %bb.14:                               ;   in Loop: Header=BB319_5 Depth=1
	v_mul_f64 v[25:26], v[0:1], v[18:19]
	v_mul_f64 v[38:39], v[18:19], -v[2:3]
	v_fma_f64 v[33:34], v[6:7], v[8:9], v[33:34]
	v_fma_f64 v[31:32], v[4:5], v[8:9], v[31:32]
	v_add_u32_e32 v71, v65, v66
	v_mov_b32_e32 v36, s9
	v_mov_b32_e32 v63, s9
	;; [unrolled: 1-line block ×3, first 2 shown]
	v_fma_f64 v[25:26], v[2:3], v[16:17], v[25:26]
	v_fma_f64 v[38:39], v[0:1], v[16:17], v[38:39]
	v_mov_b32_e32 v75, s9
	v_mov_b32_e32 v76, s9
	v_add_f64 v[26:27], v[25:26], -v[33:34]
	v_add_f64 v[33:34], v[38:39], -v[31:32]
	v_mov_b32_e32 v25, s9
	v_mul_f64 v[31:32], v[26:27], v[26:27]
	v_fma_f64 v[59:60], v[33:34], 0, -v[26:27]
	v_fma_f64 v[26:27], v[26:27], 0, v[33:34]
	v_fma_f64 v[38:39], v[33:34], v[33:34], v[31:32]
	v_lshlrev_b64 v[31:32], 4, v[29:30]
	v_add_u32_e32 v29, s28, v71
	v_add_co_u32_e32 v57, vcc, s8, v31
	v_lshlrev_b64 v[45:46], 4, v[29:30]
	v_addc_co_u32_e32 v58, vcc, v25, v32, vcc
	v_div_scale_f64 v[49:50], s[4:5], v[38:39], v[38:39], 1.0
	v_add_co_u32_e32 v31, vcc, s8, v45
	v_addc_co_u32_e32 v32, vcc, v36, v46, vcc
	global_load_dwordx4 v[41:44], v[57:58], off
	global_load_dwordx4 v[45:48], v[31:32], off
	v_mov_b32_e32 v25, v30
	v_lshlrev_b64 v[24:25], 4, v[24:25]
	v_mov_b32_e32 v29, s9
	v_add_co_u32_e64 v81, s[4:5], s8, v24
	v_addc_co_u32_e64 v82, s[4:5], v29, v25, s[4:5]
	v_add_u32_e32 v29, s29, v71
	v_rcp_f64_e32 v[51:52], v[49:50]
	v_fma_f64 v[53:54], -v[49:50], v[51:52], 1.0
	v_fma_f64 v[51:52], v[51:52], v[53:54], v[51:52]
	v_div_scale_f64 v[53:54], vcc, 1.0, v[38:39], 1.0
	v_fma_f64 v[55:56], -v[49:50], v[51:52], 1.0
	v_fma_f64 v[51:52], v[51:52], v[55:56], v[51:52]
	v_mul_f64 v[55:56], v[53:54], v[51:52]
	v_fma_f64 v[49:50], -v[49:50], v[55:56], v[53:54]
	v_lshlrev_b64 v[53:54], 4, v[29:30]
	v_add_u32_e32 v29, s30, v71
	v_div_fmas_f64 v[24:25], v[49:50], v[51:52], v[55:56]
	global_load_dwordx4 v[49:52], v[81:82], off
	v_add_co_u32_e32 v83, vcc, s8, v53
	v_addc_co_u32_e32 v84, vcc, v36, v54, vcc
	global_load_dwordx4 v[53:56], v[83:84], off
	v_mov_b32_e32 v36, v30
	v_div_fixup_f64 v[39:40], v[24:25], v[38:39], 1.0
	v_mov_b32_e32 v38, v30
	v_mul_f64 v[24:25], v[59:60], v[39:40]
	v_mul_f64 v[26:27], v[26:27], v[39:40]
	s_waitcnt vmcnt(3)
	v_mul_f64 v[33:34], v[24:25], v[41:42]
	s_waitcnt vmcnt(2)
	v_mul_f64 v[39:40], v[24:25], v[45:46]
	v_mul_f64 v[59:60], v[24:25], -v[43:44]
	v_mul_f64 v[61:62], v[24:25], -v[47:48]
	v_fma_f64 v[33:34], v[43:44], v[26:27], v[33:34]
	v_fma_f64 v[39:40], v[47:48], v[26:27], v[39:40]
	v_lshlrev_b64 v[43:44], 4, v[37:38]
	v_lshlrev_b64 v[47:48], 4, v[35:36]
	v_fma_f64 v[37:38], v[41:42], v[26:27], v[59:60]
	v_fma_f64 v[35:36], v[45:46], v[26:27], v[61:62]
	v_add_co_u32_e32 v85, vcc, s8, v43
	v_mul_f64 v[45:46], v[16:17], v[33:34]
	v_mul_f64 v[59:60], v[39:40], -v[10:11]
	v_mul_f64 v[61:62], v[8:9], v[39:40]
	v_mul_f64 v[41:42], v[33:34], -v[18:19]
	v_add_co_u32_e64 v87, s[4:5], s8, v47
	v_addc_co_u32_e32 v86, vcc, v63, v44, vcc
	v_fma_f64 v[69:70], v[18:19], v[37:38], v[45:46]
	v_fma_f64 v[45:46], v[8:9], v[35:36], v[59:60]
	;; [unrolled: 1-line block ×3, first 2 shown]
	v_addc_co_u32_e64 v88, vcc, v72, v48, s[4:5]
	v_fma_f64 v[63:64], v[16:17], v[37:38], v[41:42]
	v_lshlrev_b64 v[61:62], 4, v[29:30]
	v_add_u32_e32 v29, s31, v71
	global_load_dwordx4 v[41:44], v[85:86], off
	v_lshlrev_b64 v[73:74], 4, v[29:30]
	v_add_f64 v[47:48], v[69:70], -v[59:60]
	global_load_dwordx4 v[69:72], v[87:88], off
	v_add_co_u32_e32 v89, vcc, s8, v61
	v_addc_co_u32_e32 v90, vcc, v75, v62, vcc
	v_add_f64 v[45:46], v[63:64], -v[45:46]
	v_add_co_u32_e32 v91, vcc, s8, v73
	v_addc_co_u32_e32 v92, vcc, v76, v74, vcc
	global_load_dwordx4 v[73:76], v[89:90], off
	global_load_dwordx4 v[77:80], v[91:92], off
	s_nop 0
	global_store_dwordx4 v[57:58], v[45:48], off
	s_waitcnt vmcnt(6)
	v_mul_f64 v[45:46], v[24:25], -v[51:52]
	v_fma_f64 v[57:58], v[49:50], v[26:27], v[45:46]
	v_mul_f64 v[45:46], v[24:25], v[49:50]
	v_fma_f64 v[61:62], v[51:52], v[26:27], v[45:46]
	s_waitcnt vmcnt(5)
	v_mul_f64 v[45:46], v[24:25], -v[55:56]
	v_mul_f64 v[47:48], v[16:17], v[61:62]
	v_fma_f64 v[59:60], v[53:54], v[26:27], v[45:46]
	v_mul_f64 v[45:46], v[24:25], v[53:54]
	v_fma_f64 v[47:48], v[18:19], v[57:58], v[47:48]
	v_fma_f64 v[63:64], v[55:56], v[26:27], v[45:46]
	v_mul_f64 v[45:46], v[61:62], -v[18:19]
	v_mul_f64 v[49:50], v[63:64], -v[10:11]
	v_mul_f64 v[51:52], v[8:9], v[63:64]
	v_fma_f64 v[45:46], v[16:17], v[57:58], v[45:46]
	v_fma_f64 v[49:50], v[8:9], v[59:60], v[49:50]
	;; [unrolled: 1-line block ×3, first 2 shown]
	v_add_f64 v[45:46], v[45:46], -v[49:50]
	v_add_f64 v[47:48], v[47:48], -v[51:52]
	s_waitcnt vmcnt(3)
	v_mul_f64 v[51:52], v[24:25], v[69:70]
	v_mul_f64 v[49:50], v[24:25], -v[71:72]
	global_store_dwordx4 v[81:82], v[45:48], off
	v_fma_f64 v[51:52], v[71:72], v[26:27], v[51:52]
	v_mul_f64 v[45:46], v[24:25], -v[43:44]
	v_mul_f64 v[47:48], v[24:25], v[41:42]
	v_fma_f64 v[49:50], v[69:70], v[26:27], v[49:50]
	s_waitcnt vmcnt(2)
	v_mul_f64 v[55:56], v[24:25], v[77:78]
	v_mul_f64 v[53:54], v[24:25], -v[79:80]
	v_fma_f64 v[41:42], v[41:42], v[26:27], v[45:46]
	v_fma_f64 v[45:46], v[43:44], v[26:27], v[47:48]
	v_mul_f64 v[43:44], v[24:25], -v[75:76]
	v_mul_f64 v[47:48], v[24:25], v[73:74]
	v_fma_f64 v[55:56], v[79:80], v[26:27], v[55:56]
	v_fma_f64 v[53:54], v[77:78], v[26:27], v[53:54]
	v_mul_f64 v[69:70], v[45:46], -v[18:19]
	v_fma_f64 v[43:44], v[73:74], v[26:27], v[43:44]
	v_mul_f64 v[73:74], v[51:52], -v[18:19]
	v_fma_f64 v[47:48], v[75:76], v[26:27], v[47:48]
	v_mul_f64 v[71:72], v[16:17], v[45:46]
	v_mul_f64 v[77:78], v[55:56], -v[10:11]
	v_fma_f64 v[69:70], v[16:17], v[41:42], v[69:70]
	v_fma_f64 v[73:74], v[16:17], v[49:50], v[73:74]
	v_mul_f64 v[16:17], v[16:17], v[51:52]
	v_fma_f64 v[71:72], v[18:19], v[41:42], v[71:72]
	v_mul_f64 v[75:76], v[8:9], v[47:48]
	v_fma_f64 v[77:78], v[8:9], v[53:54], v[77:78]
	v_fma_f64 v[18:19], v[18:19], v[49:50], v[16:17]
	v_mul_f64 v[16:17], v[47:48], -v[10:11]
	v_fma_f64 v[75:76], v[10:11], v[43:44], v[75:76]
	v_fma_f64 v[16:17], v[8:9], v[43:44], v[16:17]
	v_mul_f64 v[8:9], v[8:9], v[55:56]
	v_fma_f64 v[79:80], v[10:11], v[53:54], v[8:9]
	v_add_f64 v[8:9], v[69:70], -v[16:17]
	v_add_f64 v[10:11], v[71:72], -v[75:76]
	;; [unrolled: 1-line block ×3, first 2 shown]
	v_mul_f64 v[69:70], v[6:7], v[33:34]
	v_mul_f64 v[71:72], v[33:34], -v[4:5]
	v_mul_f64 v[73:74], v[6:7], v[61:62]
	v_mul_f64 v[75:76], v[0:1], v[63:64]
	v_add_f64 v[18:19], v[18:19], -v[79:80]
	v_mul_f64 v[79:80], v[0:1], v[55:56]
	global_store_dwordx4 v[85:86], v[8:11], off
	v_fma_f64 v[69:70], -v[4:5], v[37:38], v[69:70]
	v_mul_f64 v[8:9], v[39:40], -v[2:3]
	v_mul_f64 v[10:11], v[0:1], v[39:40]
	v_fma_f64 v[71:72], -v[6:7], v[37:38], v[71:72]
	global_store_dwordx4 v[87:88], v[16:19], off
	v_fma_f64 v[73:74], -v[4:5], v[57:58], v[73:74]
	v_mul_f64 v[16:17], v[61:62], -v[4:5]
	v_mul_f64 v[18:19], v[63:64], -v[2:3]
	v_fma_f64 v[79:80], v[2:3], v[53:54], v[79:80]
	v_fma_f64 v[8:9], v[0:1], v[35:36], v[8:9]
	;; [unrolled: 1-line block ×3, first 2 shown]
	v_fma_f64 v[77:78], -v[6:7], v[57:58], v[16:17]
	v_fma_f64 v[16:17], v[0:1], v[59:60], v[18:19]
	v_fma_f64 v[18:19], v[2:3], v[59:60], v[75:76]
	v_add_f64 v[8:9], v[69:70], v[8:9]
	v_add_f64 v[10:11], v[71:72], v[10:11]
	v_mul_f64 v[69:70], v[6:7], v[45:46]
	v_mul_f64 v[71:72], v[45:46], -v[4:5]
	v_mul_f64 v[75:76], v[0:1], v[47:48]
	v_add_f64 v[16:17], v[73:74], v[16:17]
	v_mul_f64 v[73:74], v[47:48], -v[2:3]
	v_add_f64 v[18:19], v[77:78], v[18:19]
	v_mul_f64 v[77:78], v[55:56], -v[2:3]
	v_fma_f64 v[69:70], -v[4:5], v[41:42], v[69:70]
	v_fma_f64 v[71:72], -v[6:7], v[41:42], v[71:72]
	v_fma_f64 v[75:76], v[2:3], v[43:44], v[75:76]
	v_fma_f64 v[73:74], v[0:1], v[43:44], v[73:74]
	;; [unrolled: 1-line block ×3, first 2 shown]
	v_add_f64 v[71:72], v[71:72], v[75:76]
	v_mul_f64 v[75:76], v[51:52], -v[4:5]
	v_add_f64 v[69:70], v[69:70], v[73:74]
	v_mul_f64 v[73:74], v[6:7], v[51:52]
	global_store_dwordx4 v[31:32], v[8:11], off
	global_store_dwordx4 v[83:84], v[16:19], off
	;; [unrolled: 1-line block ×3, first 2 shown]
	v_fma_f64 v[75:76], -v[6:7], v[49:50], v[75:76]
	v_mov_b32_e32 v8, 0
	v_fma_f64 v[73:74], -v[4:5], v[49:50], v[73:74]
	v_mov_b32_e32 v10, 0
	v_mov_b32_e32 v9, 0
	;; [unrolled: 1-line block ×3, first 2 shown]
	v_add_f64 v[75:76], v[75:76], v[79:80]
	v_add_f64 v[73:74], v[73:74], v[77:78]
	global_store_dwordx4 v[91:92], v[73:76], off
	s_and_saveexec_b64 s[4:5], s[2:3]
	s_cbranch_execz .LBB319_16
; %bb.15:                               ;   in Loop: Header=BB319_5 Depth=1
	v_add_u32_e32 v31, v67, v66
	v_add_u32_e32 v29, s28, v31
	v_lshlrev_b64 v[8:9], 4, v[29:30]
	v_add_u32_e32 v29, s29, v31
	v_mov_b32_e32 v10, s9
	v_add_co_u32_e32 v69, vcc, s8, v8
	v_lshlrev_b64 v[16:17], 4, v[29:30]
	v_addc_co_u32_e32 v70, vcc, v10, v9, vcc
	v_mov_b32_e32 v18, s9
	v_add_co_u32_e32 v71, vcc, s8, v16
	global_load_dwordx4 v[8:11], v[69:70], off
	v_addc_co_u32_e32 v72, vcc, v18, v17, vcc
	global_load_dwordx4 v[16:19], v[71:72], off
	v_mul_f64 v[73:74], v[22:23], -v[4:5]
	v_mul_f64 v[75:76], v[6:7], v[22:23]
	v_mul_f64 v[77:78], v[0:1], v[22:23]
	v_mul_f64 v[79:80], v[22:23], -v[2:3]
	v_add_u32_e32 v29, s30, v31
	v_mov_b32_e32 v85, s9
	v_fma_f64 v[73:74], -v[6:7], v[20:21], v[73:74]
	v_fma_f64 v[75:76], -v[4:5], v[20:21], v[75:76]
	v_fma_f64 v[77:78], v[2:3], v[20:21], v[77:78]
	v_fma_f64 v[79:80], v[0:1], v[20:21], v[79:80]
	v_mul_f64 v[4:5], v[73:74], v[33:34]
	v_mul_f64 v[6:7], v[33:34], -v[75:76]
	v_mul_f64 v[32:33], v[39:40], -v[77:78]
	v_mul_f64 v[39:40], v[79:80], v[39:40]
	v_mul_f64 v[81:82], v[73:74], v[61:62]
	v_mul_f64 v[61:62], v[61:62], -v[75:76]
	v_mul_f64 v[83:84], v[63:64], -v[77:78]
	v_mul_f64 v[63:64], v[79:80], v[63:64]
	v_fma_f64 v[4:5], -v[75:76], v[37:38], v[4:5]
	v_fma_f64 v[6:7], -v[73:74], v[37:38], v[6:7]
	v_fma_f64 v[33:34], v[79:80], v[35:36], v[32:33]
	v_fma_f64 v[35:36], v[77:78], v[35:36], v[39:40]
	v_fma_f64 v[37:38], -v[75:76], v[57:58], v[81:82]
	v_fma_f64 v[39:40], -v[73:74], v[57:58], v[61:62]
	v_fma_f64 v[57:58], v[79:80], v[59:60], v[83:84]
	v_fma_f64 v[59:60], v[77:78], v[59:60], v[63:64]
	v_ashrrev_i32_e32 v32, 31, v31
	v_lshlrev_b64 v[61:62], 4, v[31:32]
	v_add_f64 v[4:5], v[4:5], -v[33:34]
	v_add_f64 v[6:7], v[6:7], -v[35:36]
	v_mov_b32_e32 v63, s9
	v_mov_b32_e32 v64, s15
	v_add_f64 v[32:33], v[37:38], -v[57:58]
	v_add_f64 v[34:35], v[39:40], -v[59:60]
	v_lshlrev_b64 v[36:37], 4, v[29:30]
	v_add_u32_e32 v29, s31, v31
	v_lshlrev_b64 v[38:39], 4, v[29:30]
	v_add_co_u32_e32 v31, vcc, s8, v36
	s_waitcnt vmcnt(1)
	v_add_f64 v[4:5], v[4:5], v[8:9]
	v_add_f64 v[6:7], v[6:7], v[10:11]
	s_waitcnt vmcnt(0)
	v_add_f64 v[8:9], v[32:33], v[16:17]
	v_add_f64 v[10:11], v[34:35], v[18:19]
	v_addc_co_u32_e32 v32, vcc, v85, v37, vcc
	v_add_co_u32_e32 v33, vcc, s8, v38
	v_addc_co_u32_e32 v34, vcc, v63, v39, vcc
	v_add_co_u32_e32 v16, vcc, s14, v61
	global_store_dwordx4 v[69:70], v[4:7], off
	global_store_dwordx4 v[71:72], v[8:11], off
	v_addc_co_u32_e32 v17, vcc, v64, v62, vcc
	global_load_dwordx4 v[4:7], v[31:32], off
	global_load_dwordx4 v[8:11], v[33:34], off
	v_mul_f64 v[35:36], v[2:3], -v[22:23]
	global_load_dwordx4 v[16:19], v[16:17], off
	v_mul_f64 v[2:3], v[2:3], v[20:21]
	v_mul_f64 v[37:38], v[79:80], v[47:48]
	v_fma_f64 v[20:21], v[20:21], v[0:1], v[35:36]
	v_mul_f64 v[35:36], v[47:48], -v[77:78]
	v_fma_f64 v[0:1], v[22:23], v[0:1], v[2:3]
	v_mul_f64 v[2:3], v[73:74], v[45:46]
	v_mul_f64 v[22:23], v[45:46], -v[75:76]
	v_mul_f64 v[45:46], v[73:74], v[51:52]
	v_mul_f64 v[47:48], v[51:52], -v[75:76]
	v_mul_f64 v[51:52], v[55:56], -v[77:78]
	v_mul_f64 v[39:40], v[14:15], v[20:21]
	v_mul_f64 v[55:56], v[79:80], v[55:56]
	v_mul_f64 v[14:15], v[14:15], -v[0:1]
	v_fma_f64 v[2:3], -v[75:76], v[41:42], v[2:3]
	v_fma_f64 v[22:23], -v[73:74], v[41:42], v[22:23]
	v_fma_f64 v[0:1], v[0:1], v[12:13], v[39:40]
	v_fma_f64 v[39:40], v[79:80], v[53:54], v[51:52]
	;; [unrolled: 1-line block ×5, first 2 shown]
	v_fma_f64 v[35:36], -v[75:76], v[49:50], v[45:46]
	v_fma_f64 v[37:38], -v[73:74], v[49:50], v[47:48]
	v_fma_f64 v[41:42], v[77:78], v[53:54], v[55:56]
	v_mul_f64 v[43:44], v[24:25], -v[0:1]
	v_mul_f64 v[24:25], v[24:25], v[12:13]
	v_add_f64 v[2:3], v[2:3], -v[14:15]
	v_add_f64 v[14:15], v[22:23], -v[20:21]
	;; [unrolled: 1-line block ×4, first 2 shown]
	v_fma_f64 v[12:13], v[12:13], v[26:27], v[43:44]
	v_fma_f64 v[24:25], v[0:1], v[26:27], v[24:25]
	s_waitcnt vmcnt(2)
	v_add_f64 v[0:1], v[2:3], v[4:5]
	v_add_f64 v[2:3], v[14:15], v[6:7]
	s_waitcnt vmcnt(1)
	v_add_f64 v[4:5], v[20:21], v[8:9]
	v_add_f64 v[6:7], v[22:23], v[10:11]
	s_waitcnt vmcnt(0)
	v_add_f64 v[10:11], v[16:17], -v[12:13]
	v_add_f64 v[8:9], v[18:19], -v[24:25]
	global_store_dwordx4 v[31:32], v[0:3], off
	global_store_dwordx4 v[33:34], v[4:7], off
.LBB319_16:                             ;   in Loop: Header=BB319_5 Depth=1
	s_or_b64 exec, exec, s[4:5]
	v_mov_b32_e32 v2, v8
	v_mov_b32_e32 v0, v10
	;; [unrolled: 1-line block ×4, first 2 shown]
                                        ; implicit-def: $vgpr4_vgpr5
                                        ; implicit-def: $vgpr16_vgpr17
                                        ; implicit-def: $vgpr8_vgpr9
                                        ; implicit-def: $vgpr31_vgpr32
                                        ; implicit-def: $vgpr33_vgpr34
                                        ; implicit-def: $vgpr24
                                        ; implicit-def: $vgpr37
                                        ; implicit-def: $vgpr35
.LBB319_17:                             ;   in Loop: Header=BB319_5 Depth=1
	s_or_saveexec_b64 s[2:3], s[20:21]
	v_mov_b32_e32 v10, s27
	s_xor_b64 exec, exec, s[2:3]
	s_cbranch_execz .LBB319_4
; %bb.18:                               ;   in Loop: Header=BB319_5 Depth=1
	v_mul_f64 v[10:11], v[2:3], v[2:3]
	v_mov_b32_e32 v25, v30
	v_lshlrev_b64 v[12:13], 4, v[24:25]
	v_mov_b32_e32 v22, s9
	v_mov_b32_e32 v38, v30
	;; [unrolled: 1-line block ×3, first 2 shown]
	v_lshlrev_b64 v[20:21], 4, v[37:38]
	v_mov_b32_e32 v36, v30
	v_fma_f64 v[14:15], v[0:1], v[0:1], v[10:11]
	v_lshlrev_b64 v[10:11], 4, v[29:30]
	v_mov_b32_e32 v29, s9
	v_add_co_u32_e32 v45, vcc, s8, v10
	v_addc_co_u32_e32 v46, vcc, v22, v11, vcc
	v_add_co_u32_e32 v47, vcc, s8, v12
	v_div_scale_f64 v[26:27], s[4:5], v[14:15], v[14:15], 1.0
	v_addc_co_u32_e32 v48, vcc, v23, v13, vcc
	v_lshlrev_b64 v[35:36], 4, v[35:36]
	v_add_co_u32_e32 v49, vcc, s8, v20
	v_addc_co_u32_e32 v50, vcc, v29, v21, vcc
	v_mov_b32_e32 v41, s9
	v_add_co_u32_e32 v53, vcc, s8, v35
	v_addc_co_u32_e32 v54, vcc, v41, v36, vcc
	global_load_dwordx4 v[10:13], v[45:46], off
	global_load_dwordx4 v[20:23], v[47:48], off
	;; [unrolled: 1-line block ×4, first 2 shown]
	v_rcp_f64_e32 v[24:25], v[26:27]
	v_div_scale_f64 v[35:36], vcc, 1.0, v[14:15], 1.0
	v_fma_f64 v[51:52], -v[26:27], v[24:25], 1.0
	v_fma_f64 v[24:25], v[24:25], v[51:52], v[24:25]
	v_fma_f64 v[51:52], -v[26:27], v[24:25], 1.0
	v_fma_f64 v[24:25], v[24:25], v[51:52], v[24:25]
	v_mul_f64 v[51:52], v[35:36], v[24:25]
	v_fma_f64 v[26:27], -v[26:27], v[51:52], v[35:36]
	v_div_fmas_f64 v[24:25], v[26:27], v[24:25], v[51:52]
	v_fma_f64 v[26:27], v[0:1], 0, -v[2:3]
	v_fma_f64 v[0:1], v[2:3], 0, v[0:1]
	v_div_fixup_f64 v[14:15], v[24:25], v[14:15], 1.0
	v_mul_f64 v[35:36], v[26:27], v[14:15]
	v_mul_f64 v[14:15], v[0:1], v[14:15]
	s_waitcnt vmcnt(3)
	v_mul_f64 v[0:1], v[35:36], -v[12:13]
	v_mul_f64 v[2:3], v[35:36], v[10:11]
	s_waitcnt vmcnt(2)
	v_mul_f64 v[51:52], v[35:36], -v[22:23]
	;; [unrolled: 3-line block ×4, first 2 shown]
	v_mul_f64 v[63:64], v[35:36], v[41:42]
	v_fma_f64 v[24:25], v[10:11], v[14:15], v[0:1]
	v_fma_f64 v[26:27], v[12:13], v[14:15], v[2:3]
	;; [unrolled: 1-line block ×8, first 2 shown]
	global_store_dwordx4 v[45:46], v[24:27], off
	global_store_dwordx4 v[47:48], v[20:23], off
	global_store_dwordx4 v[49:50], v[10:13], off
	global_store_dwordx4 v[53:54], v[0:3], off
	s_and_saveexec_b64 s[4:5], s[0:1]
	s_cbranch_execz .LBB319_3
; %bb.19:                               ;   in Loop: Header=BB319_5 Depth=1
	v_add_u32_e32 v51, v65, v66
	v_add_u32_e32 v29, s28, v51
	v_lshlrev_b64 v[37:38], 4, v[29:30]
	v_mov_b32_e32 v29, s9
	v_add_co_u32_e32 v45, vcc, s8, v37
	v_addc_co_u32_e32 v46, vcc, v29, v38, vcc
	v_add_u32_e32 v29, s29, v51
	v_lshlrev_b64 v[41:42], 4, v[29:30]
	v_mov_b32_e32 v29, s9
	v_add_co_u32_e32 v47, vcc, s8, v41
	global_load_dwordx4 v[37:40], v[45:46], off
	v_addc_co_u32_e32 v48, vcc, v29, v42, vcc
	global_load_dwordx4 v[41:44], v[47:48], off
	v_add_u32_e32 v29, s30, v51
	v_lshlrev_b64 v[49:50], 4, v[29:30]
	v_add_u32_e32 v29, s31, v51
	v_mov_b32_e32 v53, s9
	v_lshlrev_b64 v[51:52], 4, v[29:30]
	v_mov_b32_e32 v54, s9
	s_waitcnt vmcnt(1)
	v_fma_f64 v[37:38], -v[4:5], v[24:25], v[37:38]
	v_fma_f64 v[39:40], -v[6:7], v[24:25], v[39:40]
	s_waitcnt vmcnt(0)
	v_fma_f64 v[41:42], -v[4:5], v[20:21], v[41:42]
	v_fma_f64 v[43:44], -v[6:7], v[20:21], v[43:44]
	v_fma_f64 v[24:25], v[6:7], v[26:27], v[37:38]
	v_fma_f64 v[26:27], -v[4:5], v[26:27], v[39:40]
	v_add_co_u32_e32 v37, vcc, s8, v49
	v_fma_f64 v[20:21], v[6:7], v[22:23], v[41:42]
	v_fma_f64 v[22:23], -v[4:5], v[22:23], v[43:44]
	v_addc_co_u32_e32 v38, vcc, v53, v50, vcc
	v_add_co_u32_e32 v39, vcc, s8, v51
	global_store_dwordx4 v[45:46], v[24:27], off
	v_addc_co_u32_e32 v40, vcc, v54, v52, vcc
	global_load_dwordx4 v[24:27], v[37:38], off
	s_nop 0
	global_store_dwordx4 v[47:48], v[20:23], off
	global_load_dwordx4 v[20:23], v[39:40], off
	s_waitcnt vmcnt(2)
	v_fma_f64 v[24:25], -v[4:5], v[10:11], v[24:25]
	v_fma_f64 v[26:27], -v[6:7], v[10:11], v[26:27]
	s_waitcnt vmcnt(0)
	v_fma_f64 v[20:21], -v[4:5], v[0:1], v[20:21]
	v_fma_f64 v[22:23], -v[6:7], v[0:1], v[22:23]
	v_fma_f64 v[10:11], v[6:7], v[12:13], v[24:25]
	v_fma_f64 v[12:13], -v[4:5], v[12:13], v[26:27]
	v_fma_f64 v[0:1], v[6:7], v[2:3], v[20:21]
	v_fma_f64 v[2:3], -v[4:5], v[2:3], v[22:23]
	global_store_dwordx4 v[37:38], v[10:13], off
	global_store_dwordx4 v[39:40], v[0:3], off
	s_branch .LBB319_3
.LBB319_20:
	s_or_b64 exec, exec, s[18:19]
	s_branch .LBB319_22
.LBB319_21:
	v_mov_b32_e32 v66, 0
.LBB319_22:
	v_subrev_u32_e32 v2, s22, v66
	v_add_u32_e32 v0, v2, v28
	v_ashrrev_i32_e32 v1, 31, v0
	v_lshlrev_b64 v[0:1], 2, v[0:1]
	s_waitcnt lgkmcnt(0)
	v_mov_b32_e32 v3, s17
	v_add_co_u32_e32 v0, vcc, s16, v0
	v_addc_co_u32_e32 v1, vcc, v3, v1, vcc
	s_waitcnt vmcnt(0)
	buffer_wbinvl1_vol
	global_load_dword v0, v[0:1], off
	s_waitcnt vmcnt(0)
	v_mul_lo_u32 v0, v0, s22
	v_sub_u32_e32 v8, v2, v0
	v_cmp_lt_i32_e32 vcc, -1, v8
	s_and_b64 exec, exec, vcc
	s_cbranch_execz .LBB319_29
; %bb.23:
	s_lshl_b32 s4, s24, 2
	s_add_i32 s5, s4, s23
	s_add_i32 s6, s5, s23
	;; [unrolled: 1-line block ×3, first 2 shown]
	s_lshl_b32 s12, s22, 1
	s_mov_b64 s[0:1], 0
	v_mov_b32_e32 v9, s17
	v_mov_b32_e32 v10, s11
	v_mov_b32_e32 v5, 0
	s_branch .LBB319_25
.LBB319_24:                             ;   in Loop: Header=BB319_25 Depth=1
	s_or_b64 exec, exec, s[2:3]
	v_sub_u32_e32 v8, v8, v4
	v_cmp_gt_i32_e32 vcc, 0, v8
	s_or_b64 s[0:1], vcc, s[0:1]
	s_andn2_b64 exec, exec, s[0:1]
	s_cbranch_execz .LBB319_29
.LBB319_25:                             ; =>This Inner Loop Header: Depth=1
	v_add_u32_e32 v6, v8, v28
	v_ashrrev_i32_e32 v7, 31, v6
	s_waitcnt vmcnt(0)
	v_lshlrev_b64 v[0:1], 2, v[6:7]
	v_add_co_u32_e32 v0, vcc, s16, v0
	v_addc_co_u32_e32 v1, vcc, v9, v1, vcc
	global_load_dword v4, v[0:1], off
	v_lshlrev_b64 v[0:1], 4, v[6:7]
	v_add_co_u32_e32 v0, vcc, s10, v0
	v_addc_co_u32_e32 v1, vcc, v10, v1, vcc
	global_load_dwordx4 v[0:3], v[0:1], off
	s_waitcnt vmcnt(1)
	v_cmp_ne_u32_e32 vcc, 1, v4
	s_and_saveexec_b64 s[2:3], vcc
	s_xor_b64 s[2:3], exec, s[2:3]
	s_cbranch_execz .LBB319_27
; %bb.26:                               ;   in Loop: Header=BB319_25 Depth=1
	v_add_u32_e32 v7, v65, v8
	v_add_u32_e32 v4, s4, v7
	v_lshlrev_b64 v[11:12], 4, v[4:5]
	v_mov_b32_e32 v4, s9
	v_add_co_u32_e32 v11, vcc, s8, v11
	v_addc_co_u32_e32 v12, vcc, v4, v12, vcc
	v_add_u32_e32 v4, s5, v7
	v_lshlrev_b64 v[19:20], 4, v[4:5]
	v_add_u32_e32 v4, s6, v7
	v_lshlrev_b64 v[23:24], 4, v[4:5]
	;; [unrolled: 2-line block ×4, first 2 shown]
	v_mov_b32_e32 v4, s9
	v_add_co_u32_e32 v33, vcc, s8, v15
	v_addc_co_u32_e32 v34, vcc, v4, v16, vcc
	global_load_dwordx4 v[11:14], v[11:12], off
	v_add_co_u32_e32 v19, vcc, s8, v19
	global_load_dwordx4 v[15:18], v[33:34], off
	v_addc_co_u32_e32 v20, vcc, v4, v20, vcc
	global_load_dwordx4 v[19:22], v[19:20], off
	v_mov_b32_e32 v7, s9
	v_add_co_u32_e32 v35, vcc, s8, v23
	v_addc_co_u32_e32 v36, vcc, v7, v24, vcc
	v_add_u32_e32 v4, s5, v6
	v_mov_b32_e32 v27, s9
	v_add_co_u32_e32 v37, vcc, s8, v25
	v_lshlrev_b64 v[39:40], 4, v[4:5]
	v_addc_co_u32_e32 v38, vcc, v27, v26, vcc
	v_mov_b32_e32 v41, s9
	global_load_dwordx4 v[23:26], v[35:36], off
	global_load_dwordx4 v[29:32], v[37:38], off
	v_add_co_u32_e32 v35, vcc, s8, v39
	v_addc_co_u32_e32 v36, vcc, v41, v40, vcc
	v_add_u32_e32 v4, s6, v6
	s_waitcnt vmcnt(3)
	v_fma_f64 v[15:16], -v[0:1], v[11:12], v[15:16]
	v_fma_f64 v[17:18], -v[2:3], v[11:12], v[17:18]
	v_fma_f64 v[15:16], v[2:3], v[13:14], v[15:16]
	v_fma_f64 v[17:18], -v[0:1], v[13:14], v[17:18]
	global_store_dwordx4 v[33:34], v[15:18], off
	global_load_dwordx4 v[15:18], v[35:36], off
	v_lshlrev_b64 v[33:34], 4, v[4:5]
	v_add_u32_e32 v4, s7, v6
	v_add_co_u32_e32 v33, vcc, s8, v33
	v_addc_co_u32_e32 v34, vcc, v7, v34, vcc
	v_lshlrev_b64 v[6:7], 4, v[4:5]
	v_subrev_u32_e32 v4, s22, v8
	v_add_co_u32_e32 v6, vcc, s8, v6
	v_addc_co_u32_e32 v7, vcc, v27, v7, vcc
	v_mov_b32_e32 v27, s11
	s_waitcnt vmcnt(0)
	v_fma_f64 v[15:16], -v[0:1], v[19:20], v[15:16]
	v_fma_f64 v[17:18], -v[2:3], v[19:20], v[17:18]
	v_fma_f64 v[15:16], v[2:3], v[21:22], v[15:16]
	v_fma_f64 v[17:18], -v[0:1], v[21:22], v[17:18]
	global_store_dwordx4 v[35:36], v[15:18], off
	global_load_dwordx4 v[15:18], v[33:34], off
	v_mov_b32_e32 v36, s9
	s_waitcnt vmcnt(0)
	v_fma_f64 v[15:16], -v[0:1], v[23:24], v[15:16]
	v_fma_f64 v[17:18], -v[2:3], v[23:24], v[17:18]
	v_fma_f64 v[15:16], v[2:3], v[25:26], v[15:16]
	v_fma_f64 v[17:18], -v[0:1], v[25:26], v[17:18]
	global_store_dwordx4 v[33:34], v[15:18], off
	global_load_dwordx4 v[15:18], v[6:7], off
	v_add_u32_e32 v33, v4, v28
	v_ashrrev_i32_e32 v34, 31, v33
	v_lshlrev_b64 v[34:35], 4, v[33:34]
	v_add_u32_e32 v4, s4, v33
	v_add_co_u32_e32 v34, vcc, s10, v34
	v_addc_co_u32_e32 v35, vcc, v27, v35, vcc
	s_waitcnt vmcnt(0)
	v_fma_f64 v[15:16], -v[0:1], v[29:30], v[15:16]
	v_fma_f64 v[17:18], -v[2:3], v[29:30], v[17:18]
	v_fma_f64 v[15:16], v[2:3], v[31:32], v[15:16]
	v_fma_f64 v[17:18], -v[0:1], v[31:32], v[17:18]
	global_load_dwordx4 v[0:3], v[34:35], off
	v_lshlrev_b64 v[34:35], 4, v[4:5]
	v_add_u32_e32 v4, s5, v33
	v_add_co_u32_e32 v34, vcc, s8, v34
	v_addc_co_u32_e32 v35, vcc, v36, v35, vcc
	global_store_dwordx4 v[6:7], v[15:18], off
	global_load_dwordx4 v[15:18], v[34:35], off
	s_waitcnt vmcnt(0)
	v_fma_f64 v[6:7], -v[0:1], v[11:12], v[15:16]
	v_fma_f64 v[15:16], -v[2:3], v[11:12], v[17:18]
	v_mov_b32_e32 v17, s9
	v_fma_f64 v[11:12], v[2:3], v[13:14], v[6:7]
	v_fma_f64 v[13:14], -v[0:1], v[13:14], v[15:16]
	v_lshlrev_b64 v[6:7], 4, v[4:5]
	v_mov_b32_e32 v15, s9
	v_add_co_u32_e32 v6, vcc, s8, v6
	v_addc_co_u32_e32 v7, vcc, v15, v7, vcc
	v_add_u32_e32 v4, s6, v33
	global_store_dwordx4 v[34:35], v[11:14], off
	global_load_dwordx4 v[11:14], v[6:7], off
	v_lshlrev_b64 v[15:16], 4, v[4:5]
	v_add_u32_e32 v4, s7, v33
	v_add_co_u32_e32 v15, vcc, s8, v15
	v_addc_co_u32_e32 v16, vcc, v17, v16, vcc
	s_waitcnt vmcnt(0)
	v_fma_f64 v[11:12], -v[0:1], v[19:20], v[11:12]
	v_fma_f64 v[13:14], -v[2:3], v[19:20], v[13:14]
	v_fma_f64 v[11:12], v[2:3], v[21:22], v[11:12]
	v_fma_f64 v[13:14], -v[0:1], v[21:22], v[13:14]
	global_store_dwordx4 v[6:7], v[11:14], off
	global_load_dwordx4 v[11:14], v[15:16], off
	s_waitcnt vmcnt(0)
	v_fma_f64 v[6:7], -v[0:1], v[23:24], v[11:12]
	v_fma_f64 v[13:14], -v[2:3], v[23:24], v[13:14]
	v_fma_f64 v[11:12], v[2:3], v[25:26], v[6:7]
	v_fma_f64 v[13:14], -v[0:1], v[25:26], v[13:14]
	v_lshlrev_b64 v[6:7], 4, v[4:5]
	v_add_co_u32_e32 v6, vcc, s8, v6
	v_addc_co_u32_e32 v7, vcc, v17, v7, vcc
	global_store_dwordx4 v[15:16], v[11:14], off
	global_load_dwordx4 v[11:14], v[6:7], off
	s_waitcnt vmcnt(0)
	v_fma_f64 v[11:12], -v[0:1], v[29:30], v[11:12]
	v_fma_f64 v[13:14], -v[2:3], v[29:30], v[13:14]
	v_fma_f64 v[11:12], v[2:3], v[31:32], v[11:12]
	v_fma_f64 v[13:14], -v[0:1], v[31:32], v[13:14]
                                        ; implicit-def: $vgpr0_vgpr1
	global_store_dwordx4 v[6:7], v[11:14], off
                                        ; implicit-def: $vgpr6
.LBB319_27:                             ;   in Loop: Header=BB319_25 Depth=1
	s_or_saveexec_b64 s[2:3], s[2:3]
	v_mov_b32_e32 v4, s12
	s_xor_b64 exec, exec, s[2:3]
	s_cbranch_execz .LBB319_24
; %bb.28:                               ;   in Loop: Header=BB319_25 Depth=1
	v_add_u32_e32 v7, v65, v8
	v_add_u32_e32 v4, s4, v7
	v_lshlrev_b64 v[11:12], 4, v[4:5]
	v_mov_b32_e32 v4, s9
	v_add_co_u32_e32 v19, vcc, s8, v11
	v_addc_co_u32_e32 v20, vcc, v4, v12, vcc
	v_add_u32_e32 v4, s4, v6
	v_lshlrev_b64 v[11:12], 4, v[4:5]
	v_mov_b32_e32 v4, s9
	v_add_co_u32_e32 v21, vcc, s8, v11
	v_addc_co_u32_e32 v22, vcc, v4, v12, vcc
	global_load_dwordx4 v[11:14], v[19:20], off
	global_load_dwordx4 v[15:18], v[21:22], off
	v_add_u32_e32 v4, s5, v7
	v_lshlrev_b64 v[19:20], 4, v[4:5]
	v_add_u32_e32 v4, s5, v6
	v_mov_b32_e32 v25, s9
	v_lshlrev_b64 v[23:24], 4, v[4:5]
	v_add_co_u32_e32 v19, vcc, s8, v19
	v_addc_co_u32_e32 v20, vcc, v25, v20, vcc
	v_mov_b32_e32 v26, s9
	v_add_co_u32_e32 v23, vcc, s8, v23
	v_addc_co_u32_e32 v24, vcc, v26, v24, vcc
	v_add_u32_e32 v4, s6, v7
	s_waitcnt vmcnt(0)
	v_fma_f64 v[15:16], -v[0:1], v[11:12], v[15:16]
	v_fma_f64 v[17:18], -v[2:3], v[11:12], v[17:18]
	v_fma_f64 v[11:12], v[2:3], v[13:14], v[15:16]
	v_fma_f64 v[13:14], -v[0:1], v[13:14], v[17:18]
	global_store_dwordx4 v[21:22], v[11:14], off
	global_load_dwordx4 v[11:14], v[19:20], off
	s_nop 0
	global_load_dwordx4 v[15:18], v[23:24], off
	v_lshlrev_b64 v[19:20], 4, v[4:5]
	v_add_u32_e32 v4, s6, v6
	v_lshlrev_b64 v[21:22], 4, v[4:5]
	v_add_co_u32_e32 v19, vcc, s8, v19
	v_addc_co_u32_e32 v20, vcc, v25, v20, vcc
	v_add_co_u32_e32 v21, vcc, s8, v21
	v_addc_co_u32_e32 v22, vcc, v26, v22, vcc
	v_add_u32_e32 v4, s7, v7
	s_waitcnt vmcnt(0)
	v_fma_f64 v[15:16], -v[0:1], v[11:12], v[15:16]
	v_fma_f64 v[17:18], -v[2:3], v[11:12], v[17:18]
	v_fma_f64 v[11:12], v[2:3], v[13:14], v[15:16]
	v_fma_f64 v[13:14], -v[0:1], v[13:14], v[17:18]
	global_store_dwordx4 v[23:24], v[11:14], off
	global_load_dwordx4 v[11:14], v[19:20], off
	s_nop 0
	global_load_dwordx4 v[15:18], v[21:22], off
	v_lshlrev_b64 v[19:20], 4, v[4:5]
	v_add_u32_e32 v4, s7, v6
	v_mov_b32_e32 v23, s9
	v_lshlrev_b64 v[6:7], 4, v[4:5]
	v_add_co_u32_e32 v19, vcc, s8, v19
	v_addc_co_u32_e32 v20, vcc, v23, v20, vcc
	v_mov_b32_e32 v24, s9
	v_add_co_u32_e32 v6, vcc, s8, v6
	v_addc_co_u32_e32 v7, vcc, v24, v7, vcc
	v_mov_b32_e32 v4, s22
	s_waitcnt vmcnt(0)
	v_fma_f64 v[15:16], -v[0:1], v[11:12], v[15:16]
	v_fma_f64 v[17:18], -v[2:3], v[11:12], v[17:18]
	v_fma_f64 v[11:12], v[2:3], v[13:14], v[15:16]
	v_fma_f64 v[13:14], -v[0:1], v[13:14], v[17:18]
	global_store_dwordx4 v[21:22], v[11:14], off
	global_load_dwordx4 v[11:14], v[19:20], off
	s_nop 0
	global_load_dwordx4 v[15:18], v[6:7], off
	s_waitcnt vmcnt(0)
	v_fma_f64 v[15:16], -v[0:1], v[11:12], v[15:16]
	v_fma_f64 v[17:18], -v[2:3], v[11:12], v[17:18]
	v_fma_f64 v[11:12], v[2:3], v[13:14], v[15:16]
	v_fma_f64 v[13:14], -v[0:1], v[13:14], v[17:18]
	global_store_dwordx4 v[6:7], v[11:14], off
	s_branch .LBB319_24
.LBB319_29:
	s_endpgm
	.section	.rodata,"a",@progbits
	.p2align	6, 0x0
	.amdhsa_kernel _ZN9rocsparseL19gtsv_LBM_rhs_kernelILj256ELj32ELj4E21rocsparse_complex_numIdEEEviiiPKT2_S5_S5_PS3_S5_PKi
		.amdhsa_group_segment_fixed_size 0
		.amdhsa_private_segment_fixed_size 0
		.amdhsa_kernarg_size 64
		.amdhsa_user_sgpr_count 6
		.amdhsa_user_sgpr_private_segment_buffer 1
		.amdhsa_user_sgpr_dispatch_ptr 0
		.amdhsa_user_sgpr_queue_ptr 0
		.amdhsa_user_sgpr_kernarg_segment_ptr 1
		.amdhsa_user_sgpr_dispatch_id 0
		.amdhsa_user_sgpr_flat_scratch_init 0
		.amdhsa_user_sgpr_private_segment_size 0
		.amdhsa_uses_dynamic_stack 0
		.amdhsa_system_sgpr_private_segment_wavefront_offset 0
		.amdhsa_system_sgpr_workgroup_id_x 1
		.amdhsa_system_sgpr_workgroup_id_y 1
		.amdhsa_system_sgpr_workgroup_id_z 0
		.amdhsa_system_sgpr_workgroup_info 0
		.amdhsa_system_vgpr_workitem_id 0
		.amdhsa_next_free_vgpr 93
		.amdhsa_next_free_sgpr 32
		.amdhsa_reserve_vcc 1
		.amdhsa_reserve_flat_scratch 0
		.amdhsa_float_round_mode_32 0
		.amdhsa_float_round_mode_16_64 0
		.amdhsa_float_denorm_mode_32 3
		.amdhsa_float_denorm_mode_16_64 3
		.amdhsa_dx10_clamp 1
		.amdhsa_ieee_mode 1
		.amdhsa_fp16_overflow 0
		.amdhsa_exception_fp_ieee_invalid_op 0
		.amdhsa_exception_fp_denorm_src 0
		.amdhsa_exception_fp_ieee_div_zero 0
		.amdhsa_exception_fp_ieee_overflow 0
		.amdhsa_exception_fp_ieee_underflow 0
		.amdhsa_exception_fp_ieee_inexact 0
		.amdhsa_exception_int_div_zero 0
	.end_amdhsa_kernel
	.section	.text._ZN9rocsparseL19gtsv_LBM_rhs_kernelILj256ELj32ELj4E21rocsparse_complex_numIdEEEviiiPKT2_S5_S5_PS3_S5_PKi,"axG",@progbits,_ZN9rocsparseL19gtsv_LBM_rhs_kernelILj256ELj32ELj4E21rocsparse_complex_numIdEEEviiiPKT2_S5_S5_PS3_S5_PKi,comdat
.Lfunc_end319:
	.size	_ZN9rocsparseL19gtsv_LBM_rhs_kernelILj256ELj32ELj4E21rocsparse_complex_numIdEEEviiiPKT2_S5_S5_PS3_S5_PKi, .Lfunc_end319-_ZN9rocsparseL19gtsv_LBM_rhs_kernelILj256ELj32ELj4E21rocsparse_complex_numIdEEEviiiPKT2_S5_S5_PS3_S5_PKi
                                        ; -- End function
	.set _ZN9rocsparseL19gtsv_LBM_rhs_kernelILj256ELj32ELj4E21rocsparse_complex_numIdEEEviiiPKT2_S5_S5_PS3_S5_PKi.num_vgpr, 93
	.set _ZN9rocsparseL19gtsv_LBM_rhs_kernelILj256ELj32ELj4E21rocsparse_complex_numIdEEEviiiPKT2_S5_S5_PS3_S5_PKi.num_agpr, 0
	.set _ZN9rocsparseL19gtsv_LBM_rhs_kernelILj256ELj32ELj4E21rocsparse_complex_numIdEEEviiiPKT2_S5_S5_PS3_S5_PKi.numbered_sgpr, 32
	.set _ZN9rocsparseL19gtsv_LBM_rhs_kernelILj256ELj32ELj4E21rocsparse_complex_numIdEEEviiiPKT2_S5_S5_PS3_S5_PKi.num_named_barrier, 0
	.set _ZN9rocsparseL19gtsv_LBM_rhs_kernelILj256ELj32ELj4E21rocsparse_complex_numIdEEEviiiPKT2_S5_S5_PS3_S5_PKi.private_seg_size, 0
	.set _ZN9rocsparseL19gtsv_LBM_rhs_kernelILj256ELj32ELj4E21rocsparse_complex_numIdEEEviiiPKT2_S5_S5_PS3_S5_PKi.uses_vcc, 1
	.set _ZN9rocsparseL19gtsv_LBM_rhs_kernelILj256ELj32ELj4E21rocsparse_complex_numIdEEEviiiPKT2_S5_S5_PS3_S5_PKi.uses_flat_scratch, 0
	.set _ZN9rocsparseL19gtsv_LBM_rhs_kernelILj256ELj32ELj4E21rocsparse_complex_numIdEEEviiiPKT2_S5_S5_PS3_S5_PKi.has_dyn_sized_stack, 0
	.set _ZN9rocsparseL19gtsv_LBM_rhs_kernelILj256ELj32ELj4E21rocsparse_complex_numIdEEEviiiPKT2_S5_S5_PS3_S5_PKi.has_recursion, 0
	.set _ZN9rocsparseL19gtsv_LBM_rhs_kernelILj256ELj32ELj4E21rocsparse_complex_numIdEEEviiiPKT2_S5_S5_PS3_S5_PKi.has_indirect_call, 0
	.section	.AMDGPU.csdata,"",@progbits
; Kernel info:
; codeLenInByte = 5184
; TotalNumSgprs: 36
; NumVgprs: 93
; ScratchSize: 0
; MemoryBound: 1
; FloatMode: 240
; IeeeMode: 1
; LDSByteSize: 0 bytes/workgroup (compile time only)
; SGPRBlocks: 4
; VGPRBlocks: 23
; NumSGPRsForWavesPerEU: 36
; NumVGPRsForWavesPerEU: 93
; Occupancy: 2
; WaveLimiterHint : 0
; COMPUTE_PGM_RSRC2:SCRATCH_EN: 0
; COMPUTE_PGM_RSRC2:USER_SGPR: 6
; COMPUTE_PGM_RSRC2:TRAP_HANDLER: 0
; COMPUTE_PGM_RSRC2:TGID_X_EN: 1
; COMPUTE_PGM_RSRC2:TGID_Y_EN: 1
; COMPUTE_PGM_RSRC2:TGID_Z_EN: 0
; COMPUTE_PGM_RSRC2:TIDIG_COMP_CNT: 0
	.section	.text._ZN9rocsparseL19gtsv_LBM_rhs_kernelILj256ELj32ELj2E21rocsparse_complex_numIdEEEviiiPKT2_S5_S5_PS3_S5_PKi,"axG",@progbits,_ZN9rocsparseL19gtsv_LBM_rhs_kernelILj256ELj32ELj2E21rocsparse_complex_numIdEEEviiiPKT2_S5_S5_PS3_S5_PKi,comdat
	.globl	_ZN9rocsparseL19gtsv_LBM_rhs_kernelILj256ELj32ELj2E21rocsparse_complex_numIdEEEviiiPKT2_S5_S5_PS3_S5_PKi ; -- Begin function _ZN9rocsparseL19gtsv_LBM_rhs_kernelILj256ELj32ELj2E21rocsparse_complex_numIdEEEviiiPKT2_S5_S5_PS3_S5_PKi
	.p2align	8
	.type	_ZN9rocsparseL19gtsv_LBM_rhs_kernelILj256ELj32ELj2E21rocsparse_complex_numIdEEEviiiPKT2_S5_S5_PS3_S5_PKi,@function
_ZN9rocsparseL19gtsv_LBM_rhs_kernelILj256ELj32ELj2E21rocsparse_complex_numIdEEEviiiPKT2_S5_S5_PS3_S5_PKi: ; @_ZN9rocsparseL19gtsv_LBM_rhs_kernelILj256ELj32ELj2E21rocsparse_complex_numIdEEEviiiPKT2_S5_S5_PS3_S5_PKi
; %bb.0:
	s_load_dword s25, s[4:5], 0x0
	v_lshl_or_b32 v24, s6, 8, v0
	s_waitcnt lgkmcnt(0)
	s_lshr_b32 s24, s25, 5
	v_cmp_gt_i32_e32 vcc, s24, v24
	s_and_saveexec_b64 s[0:1], vcc
	s_cbranch_execz .LBB320_29
; %bb.1:
	s_load_dwordx4 s[8:11], s[4:5], 0x28
	s_load_dwordx2 s[16:17], s[4:5], 0x38
	s_cmp_lt_i32 s25, 1
	v_add_u32_e32 v47, s24, v24
	s_mul_i32 s26, s7, s25
	s_cbranch_scc1 .LBB320_21
; %bb.2:
	s_load_dwordx4 s[12:15], s[4:5], 0x10
	s_load_dwordx2 s[18:19], s[4:5], 0x20
	v_ashrrev_i32_e32 v25, 31, v24
	v_lshlrev_b64 v[0:1], 4, v[24:25]
	s_lshl_b32 s30, s26, 1
	s_waitcnt lgkmcnt(0)
	v_mov_b32_e32 v2, s15
	v_add_co_u32_e32 v0, vcc, s14, v0
	v_addc_co_u32_e32 v1, vcc, v2, v1, vcc
	global_load_dwordx4 v[4:7], v[0:1], off
	s_mul_i32 s27, s24, 31
	s_mul_i32 s28, s24, 30
	s_lshl_b32 s29, s24, 1
	v_add_u32_e32 v49, s24, v47
	s_add_i32 s31, s30, s25
	v_mov_b32_e32 v26, 0
	s_mov_b64 s[20:21], 0
	v_mov_b32_e32 v50, s19
	v_mov_b32_e32 v48, 0
	s_branch .LBB320_5
.LBB320_3:                              ;   in Loop: Header=BB320_5 Depth=1
	s_or_b64 exec, exec, s[4:5]
	v_fma_f64 v[2:3], v[2:3], v[8:9], v[29:30]
	v_fma_f64 v[0:1], v[0:1], v[8:9], v[27:28]
	v_mul_f64 v[4:5], v[20:21], -v[2:3]
	v_mul_f64 v[6:7], v[20:21], v[0:1]
	v_fma_f64 v[0:1], v[0:1], v[10:11], v[4:5]
	v_fma_f64 v[2:3], v[2:3], v[10:11], v[6:7]
	v_mov_b32_e32 v10, s24
	v_add_f64 v[4:5], v[12:13], -v[0:1]
	v_add_f64 v[6:7], v[14:15], -v[2:3]
.LBB320_4:                              ;   in Loop: Header=BB320_5 Depth=1
	s_or_b64 exec, exec, s[2:3]
	v_add_u32_e32 v48, v10, v48
	v_cmp_le_i32_e32 vcc, s25, v48
	s_or_b64 s[20:21], vcc, s[20:21]
	s_andn2_b64 exec, exec, s[20:21]
	s_cbranch_execz .LBB320_20
.LBB320_5:                              ; =>This Inner Loop Header: Depth=1
	v_add_u32_e32 v31, v48, v24
	v_ashrrev_i32_e32 v32, 31, v31
	v_lshlrev_b64 v[0:1], 4, v[31:32]
	v_mov_b32_e32 v12, 0
	v_add_co_u32_e32 v0, vcc, s18, v0
	v_addc_co_u32_e32 v1, vcc, v50, v1, vcc
	global_load_dwordx4 v[8:11], v[0:1], off
	v_mov_b32_e32 v0, 0
	v_mov_b32_e32 v2, 0
	;; [unrolled: 1-line block ×5, first 2 shown]
	v_cmp_gt_u32_e64 s[0:1], s27, v48
	s_and_saveexec_b64 s[2:3], s[0:1]
	s_cbranch_execz .LBB320_7
; %bb.6:                                ;   in Loop: Header=BB320_5 Depth=1
	v_add_u32_e32 v0, v47, v48
	v_ashrrev_i32_e32 v1, 31, v0
	v_lshlrev_b64 v[0:1], 4, v[0:1]
	v_mov_b32_e32 v2, s13
	v_add_co_u32_e32 v0, vcc, s12, v0
	v_addc_co_u32_e32 v1, vcc, v2, v1, vcc
	global_load_dwordx4 v[0:3], v[0:1], off
.LBB320_7:                              ;   in Loop: Header=BB320_5 Depth=1
	s_or_b64 exec, exec, s[2:3]
	v_mov_b32_e32 v14, 0
	v_mov_b32_e32 v15, 0
	s_and_saveexec_b64 s[2:3], s[0:1]
	s_cbranch_execz .LBB320_9
; %bb.8:                                ;   in Loop: Header=BB320_5 Depth=1
	v_add_u32_e32 v12, v47, v48
	v_ashrrev_i32_e32 v13, 31, v12
	v_lshlrev_b64 v[12:13], 4, v[12:13]
	v_mov_b32_e32 v14, s15
	v_add_co_u32_e32 v12, vcc, s14, v12
	v_addc_co_u32_e32 v13, vcc, v14, v13, vcc
	global_load_dwordx4 v[12:15], v[12:13], off
.LBB320_9:                              ;   in Loop: Header=BB320_5 Depth=1
	s_or_b64 exec, exec, s[2:3]
	v_mov_b32_e32 v20, 0
	v_mov_b32_e32 v16, 0
	;; [unrolled: 1-line block ×6, first 2 shown]
	s_and_saveexec_b64 s[2:3], s[0:1]
	s_cbranch_execz .LBB320_11
; %bb.10:                               ;   in Loop: Header=BB320_5 Depth=1
	v_add_u32_e32 v16, v47, v48
	v_ashrrev_i32_e32 v17, 31, v16
	v_lshlrev_b64 v[16:17], 4, v[16:17]
	v_mov_b32_e32 v18, s19
	v_add_co_u32_e32 v16, vcc, s18, v16
	v_addc_co_u32_e32 v17, vcc, v18, v17, vcc
	global_load_dwordx4 v[16:19], v[16:17], off
.LBB320_11:                             ;   in Loop: Header=BB320_5 Depth=1
	s_or_b64 exec, exec, s[2:3]
	v_mov_b32_e32 v22, 0
	v_mov_b32_e32 v23, 0
	v_cmp_gt_u32_e64 s[2:3], s28, v48
	s_and_saveexec_b64 s[4:5], s[2:3]
	s_cbranch_execz .LBB320_13
; %bb.12:                               ;   in Loop: Header=BB320_5 Depth=1
	v_add_u32_e32 v20, v49, v48
	v_ashrrev_i32_e32 v21, 31, v20
	v_lshlrev_b64 v[20:21], 4, v[20:21]
	v_mov_b32_e32 v22, s13
	v_add_co_u32_e32 v20, vcc, s12, v20
	v_addc_co_u32_e32 v21, vcc, v22, v21, vcc
	global_load_dwordx4 v[20:23], v[20:21], off
.LBB320_13:                             ;   in Loop: Header=BB320_5 Depth=1
	s_or_b64 exec, exec, s[4:5]
	v_lshlrev_b64 v[27:28], 2, v[31:32]
	v_mov_b32_e32 v25, s17
	v_add_co_u32_e32 v27, vcc, s16, v27
	v_addc_co_u32_e32 v28, vcc, v25, v28, vcc
	global_load_dword v32, v[27:28], off
	s_waitcnt vmcnt(1)
	v_mul_f64 v[27:28], v[10:11], -v[2:3]
	v_mul_f64 v[29:30], v[10:11], v[0:1]
	v_cmp_ne_u32_e32 vcc, s27, v48
	v_add_u32_e32 v25, s30, v31
	v_add_u32_e32 v31, s31, v31
	s_waitcnt vmcnt(0)
	v_cmp_ne_u32_e64 s[4:5], 1, v32
	s_and_b64 s[4:5], vcc, s[4:5]
	s_and_saveexec_b64 s[6:7], s[4:5]
	s_xor_b64 s[22:23], exec, s[6:7]
	s_cbranch_execz .LBB320_17
; %bb.14:                               ;   in Loop: Header=BB320_5 Depth=1
	v_mul_f64 v[32:33], v[4:5], v[14:15]
	v_mul_f64 v[34:35], v[14:15], -v[6:7]
	v_fma_f64 v[29:30], v[2:3], v[8:9], v[29:30]
	v_fma_f64 v[27:28], v[0:1], v[8:9], v[27:28]
	v_lshlrev_b64 v[39:40], 4, v[25:26]
	v_mov_b32_e32 v53, s9
	v_add_u32_e32 v54, v47, v48
	v_add_u32_e32 v25, s30, v54
	v_fma_f64 v[32:33], v[6:7], v[12:13], v[32:33]
	v_fma_f64 v[34:35], v[4:5], v[12:13], v[34:35]
	v_mov_b32_e32 v58, s9
	v_mov_b32_e32 v57, s9
	;; [unrolled: 1-line block ×3, first 2 shown]
	v_add_f64 v[29:30], v[32:33], -v[29:30]
	v_add_f64 v[27:28], v[34:35], -v[27:28]
	v_mul_f64 v[32:33], v[29:30], v[29:30]
	v_fma_f64 v[35:36], v[27:28], v[27:28], v[32:33]
	v_mov_b32_e32 v32, v26
	v_lshlrev_b64 v[43:44], 4, v[31:32]
	v_div_scale_f64 v[41:42], s[4:5], v[35:36], v[35:36], 1.0
	v_div_scale_f64 v[45:46], vcc, 1.0, v[35:36], 1.0
	v_add_co_u32_e64 v55, s[4:5], s8, v39
	v_addc_co_u32_e64 v56, s[4:5], v53, v40, s[4:5]
	v_lshlrev_b64 v[39:40], 4, v[25:26]
	v_add_u32_e32 v25, s31, v54
	v_add_co_u32_e64 v61, s[6:7], s8, v39
	v_addc_co_u32_e64 v62, s[6:7], v58, v40, s[6:7]
	v_add_co_u32_e64 v59, s[4:5], s8, v43
	v_rcp_f64_e32 v[33:34], v[41:42]
	v_addc_co_u32_e64 v60, s[4:5], v57, v44, s[4:5]
	v_lshlrev_b64 v[43:44], 4, v[25:26]
	v_add_co_u32_e64 v63, s[4:5], s8, v43
	v_addc_co_u32_e64 v64, s[4:5], v64, v44, s[4:5]
	v_fma_f64 v[37:38], -v[41:42], v[33:34], 1.0
	v_fma_f64 v[37:38], v[33:34], v[37:38], v[33:34]
	global_load_dwordx4 v[31:34], v[55:56], off
	v_fma_f64 v[51:52], -v[41:42], v[37:38], 1.0
	v_fma_f64 v[51:52], v[37:38], v[51:52], v[37:38]
	global_load_dwordx4 v[37:40], v[61:62], off
	v_mul_f64 v[53:54], v[45:46], v[51:52]
	v_fma_f64 v[45:46], -v[41:42], v[53:54], v[45:46]
	global_load_dwordx4 v[41:44], v[59:60], off
	v_div_fmas_f64 v[45:46], v[45:46], v[51:52], v[53:54]
	global_load_dwordx4 v[51:54], v[63:64], off
	v_div_fixup_f64 v[35:36], v[45:46], v[35:36], 1.0
	v_fma_f64 v[45:46], v[27:28], 0, -v[29:30]
	v_fma_f64 v[27:28], v[29:30], 0, v[27:28]
	v_mul_f64 v[29:30], v[45:46], v[35:36]
	v_mul_f64 v[27:28], v[27:28], v[35:36]
	s_waitcnt vmcnt(3)
	v_mul_f64 v[35:36], v[29:30], -v[33:34]
	v_mul_f64 v[45:46], v[29:30], v[31:32]
	v_fma_f64 v[31:32], v[31:32], v[27:28], v[35:36]
	v_fma_f64 v[35:36], v[33:34], v[27:28], v[45:46]
	s_waitcnt vmcnt(2)
	v_mul_f64 v[33:34], v[29:30], -v[39:40]
	v_mul_f64 v[45:46], v[29:30], v[37:38]
	v_fma_f64 v[33:34], v[37:38], v[27:28], v[33:34]
	v_fma_f64 v[37:38], v[39:40], v[27:28], v[45:46]
	;; [unrolled: 5-line block ×3, first 2 shown]
	s_waitcnt vmcnt(0)
	v_mul_f64 v[41:42], v[29:30], -v[53:54]
	v_mul_f64 v[45:46], v[29:30], v[51:52]
	v_mul_f64 v[57:58], v[43:44], -v[14:15]
	v_fma_f64 v[41:42], v[51:52], v[27:28], v[41:42]
	v_mul_f64 v[51:52], v[35:36], -v[14:15]
	v_fma_f64 v[45:46], v[53:54], v[27:28], v[45:46]
	v_mul_f64 v[53:54], v[12:13], v[35:36]
	v_fma_f64 v[57:58], v[12:13], v[39:40], v[57:58]
	v_fma_f64 v[51:52], v[12:13], v[31:32], v[51:52]
	v_mul_f64 v[12:13], v[12:13], v[43:44]
	v_fma_f64 v[53:54], v[14:15], v[31:32], v[53:54]
	v_fma_f64 v[65:66], v[14:15], v[39:40], v[12:13]
	v_mul_f64 v[12:13], v[37:38], -v[10:11]
	v_mul_f64 v[14:15], v[8:9], v[37:38]
	v_fma_f64 v[12:13], v[8:9], v[33:34], v[12:13]
	v_fma_f64 v[14:15], v[10:11], v[33:34], v[14:15]
	v_add_f64 v[12:13], v[51:52], -v[12:13]
	v_mul_f64 v[51:52], v[45:46], -v[10:11]
	v_add_f64 v[14:15], v[53:54], -v[14:15]
	v_mul_f64 v[53:54], v[35:36], -v[0:1]
	v_fma_f64 v[51:52], v[8:9], v[41:42], v[51:52]
	v_mul_f64 v[8:9], v[8:9], v[45:46]
	global_store_dwordx4 v[55:56], v[12:15], off
	v_mul_f64 v[55:56], v[37:38], -v[6:7]
	v_mul_f64 v[14:15], v[2:3], v[35:36]
	v_fma_f64 v[53:54], -v[2:3], v[31:32], v[53:54]
	v_fma_f64 v[8:9], v[10:11], v[41:42], v[8:9]
	v_add_f64 v[10:11], v[57:58], -v[51:52]
	v_fma_f64 v[51:52], v[4:5], v[33:34], v[55:56]
	v_fma_f64 v[14:15], -v[0:1], v[31:32], v[14:15]
	v_mul_f64 v[55:56], v[2:3], v[43:44]
	v_mul_f64 v[57:58], v[4:5], v[45:46]
	v_add_f64 v[12:13], v[65:66], -v[8:9]
	v_mul_f64 v[8:9], v[4:5], v[37:38]
	v_add_f64 v[51:52], v[14:15], v[51:52]
	v_mul_f64 v[14:15], v[45:46], -v[6:7]
	v_fma_f64 v[55:56], -v[0:1], v[39:40], v[55:56]
	v_fma_f64 v[57:58], v[6:7], v[41:42], v[57:58]
	global_store_dwordx4 v[59:60], v[10:13], off
	v_fma_f64 v[8:9], v[6:7], v[33:34], v[8:9]
	v_mov_b32_e32 v10, 0
	v_mov_b32_e32 v11, 0
	v_fma_f64 v[14:15], v[4:5], v[41:42], v[14:15]
	v_add_f64 v[53:54], v[53:54], v[8:9]
	v_mul_f64 v[8:9], v[43:44], -v[0:1]
	v_add_f64 v[55:56], v[55:56], v[14:15]
	v_fma_f64 v[8:9], -v[2:3], v[39:40], v[8:9]
	v_add_f64 v[57:58], v[8:9], v[57:58]
	v_mov_b32_e32 v8, 0
	v_mov_b32_e32 v9, 0
	global_store_dwordx4 v[61:62], v[51:54], off
	global_store_dwordx4 v[63:64], v[55:58], off
	s_and_saveexec_b64 s[4:5], s[2:3]
	s_cbranch_execz .LBB320_16
; %bb.15:                               ;   in Loop: Header=BB320_5 Depth=1
	v_add_u32_e32 v51, v49, v48
	v_add_u32_e32 v25, s30, v51
	v_lshlrev_b64 v[8:9], 4, v[25:26]
	v_mov_b32_e32 v10, s9
	v_add_co_u32_e32 v55, vcc, s8, v8
	v_add_u32_e32 v25, s31, v51
	v_addc_co_u32_e32 v56, vcc, v10, v9, vcc
	v_lshlrev_b64 v[8:9], 4, v[25:26]
	v_ashrrev_i32_e32 v52, 31, v51
	v_add_co_u32_e32 v57, vcc, s8, v8
	v_lshlrev_b64 v[51:52], 4, v[51:52]
	v_addc_co_u32_e32 v58, vcc, v10, v9, vcc
	v_mov_b32_e32 v25, s15
	v_add_co_u32_e32 v51, vcc, s14, v51
	v_addc_co_u32_e32 v52, vcc, v25, v52, vcc
	global_load_dwordx4 v[8:11], v[55:56], off
	global_load_dwordx4 v[12:15], v[57:58], off
	v_mul_f64 v[59:60], v[22:23], -v[0:1]
	global_load_dwordx4 v[51:54], v[51:52], off
	v_mul_f64 v[61:62], v[2:3], v[22:23]
	v_mul_f64 v[63:64], v[4:5], v[22:23]
	v_mul_f64 v[65:66], v[22:23], -v[6:7]
	v_mul_f64 v[67:68], v[6:7], -v[22:23]
	v_mul_f64 v[69:70], v[6:7], v[20:21]
	v_fma_f64 v[2:3], -v[2:3], v[20:21], v[59:60]
	v_fma_f64 v[0:1], -v[0:1], v[20:21], v[61:62]
	v_fma_f64 v[6:7], v[6:7], v[20:21], v[63:64]
	v_fma_f64 v[59:60], v[4:5], v[20:21], v[65:66]
	;; [unrolled: 1-line block ×4, first 2 shown]
	v_mul_f64 v[22:23], v[2:3], v[35:36]
	v_mul_f64 v[65:66], v[2:3], v[43:44]
	v_mul_f64 v[35:36], v[35:36], -v[0:1]
	v_mul_f64 v[61:62], v[37:38], -v[6:7]
	v_mul_f64 v[37:38], v[59:60], v[37:38]
	v_mul_f64 v[63:64], v[18:19], v[20:21]
	v_mul_f64 v[18:19], v[18:19], -v[4:5]
	v_mul_f64 v[43:44], v[43:44], -v[0:1]
	;; [unrolled: 1-line block ×3, first 2 shown]
	v_mul_f64 v[45:46], v[59:60], v[45:46]
	v_fma_f64 v[22:23], -v[0:1], v[31:32], v[22:23]
	v_fma_f64 v[31:32], -v[2:3], v[31:32], v[35:36]
	;; [unrolled: 1-line block ×3, first 2 shown]
	v_fma_f64 v[4:5], v[4:5], v[16:17], v[63:64]
	v_fma_f64 v[16:17], v[20:21], v[16:17], v[18:19]
	;; [unrolled: 1-line block ×4, first 2 shown]
	v_fma_f64 v[2:3], -v[2:3], v[39:40], v[43:44]
	v_fma_f64 v[33:34], v[59:60], v[41:42], v[67:68]
	v_fma_f64 v[6:7], v[6:7], v[41:42], v[45:46]
	v_mul_f64 v[35:36], v[29:30], -v[4:5]
	v_mul_f64 v[29:30], v[29:30], v[16:17]
	v_add_f64 v[18:19], v[22:23], -v[18:19]
	v_add_f64 v[20:21], v[31:32], -v[20:21]
	;; [unrolled: 1-line block ×4, first 2 shown]
	v_fma_f64 v[16:17], v[16:17], v[27:28], v[35:36]
	v_fma_f64 v[27:28], v[4:5], v[27:28], v[29:30]
	s_waitcnt vmcnt(2)
	v_add_f64 v[0:1], v[18:19], v[8:9]
	v_add_f64 v[2:3], v[20:21], v[10:11]
	s_waitcnt vmcnt(1)
	v_add_f64 v[4:5], v[22:23], v[12:13]
	s_waitcnt vmcnt(0)
	v_add_f64 v[10:11], v[51:52], -v[16:17]
	v_add_f64 v[8:9], v[53:54], -v[27:28]
	v_add_f64 v[6:7], v[6:7], v[14:15]
	global_store_dwordx4 v[55:56], v[0:3], off
	global_store_dwordx4 v[57:58], v[4:7], off
.LBB320_16:                             ;   in Loop: Header=BB320_5 Depth=1
	s_or_b64 exec, exec, s[4:5]
	v_mov_b32_e32 v6, v8
	v_mov_b32_e32 v4, v10
	;; [unrolled: 1-line block ×4, first 2 shown]
                                        ; implicit-def: $vgpr0_vgpr1
                                        ; implicit-def: $vgpr12_vgpr13
                                        ; implicit-def: $vgpr8_vgpr9
                                        ; implicit-def: $vgpr27_vgpr28
                                        ; implicit-def: $vgpr29_vgpr30
                                        ; implicit-def: $vgpr31
.LBB320_17:                             ;   in Loop: Header=BB320_5 Depth=1
	s_or_saveexec_b64 s[2:3], s[22:23]
	v_mov_b32_e32 v10, s29
	s_xor_b64 exec, exec, s[2:3]
	s_cbranch_execz .LBB320_4
; %bb.18:                               ;   in Loop: Header=BB320_5 Depth=1
	v_mul_f64 v[10:11], v[6:7], v[6:7]
	v_lshlrev_b64 v[16:17], 4, v[25:26]
	v_mov_b32_e32 v32, v26
	v_mov_b32_e32 v18, s9
	v_lshlrev_b64 v[31:32], 4, v[31:32]
	v_add_co_u32_e32 v35, vcc, s8, v16
	v_addc_co_u32_e32 v36, vcc, v18, v17, vcc
	v_fma_f64 v[10:11], v[4:5], v[4:5], v[10:11]
	v_mov_b32_e32 v25, s9
	v_add_co_u32_e32 v39, vcc, s8, v31
	v_addc_co_u32_e32 v40, vcc, v25, v32, vcc
	global_load_dwordx4 v[16:19], v[35:36], off
	global_load_dwordx4 v[31:34], v[39:40], off
	v_div_scale_f64 v[20:21], s[4:5], v[10:11], v[10:11], 1.0
	v_rcp_f64_e32 v[22:23], v[20:21]
	v_fma_f64 v[37:38], -v[20:21], v[22:23], 1.0
	v_fma_f64 v[22:23], v[22:23], v[37:38], v[22:23]
	v_div_scale_f64 v[37:38], vcc, 1.0, v[10:11], 1.0
	v_fma_f64 v[41:42], -v[20:21], v[22:23], 1.0
	v_fma_f64 v[22:23], v[22:23], v[41:42], v[22:23]
	v_mul_f64 v[41:42], v[37:38], v[22:23]
	v_fma_f64 v[20:21], -v[20:21], v[41:42], v[37:38]
	v_div_fmas_f64 v[20:21], v[20:21], v[22:23], v[41:42]
	v_fma_f64 v[22:23], v[4:5], 0, -v[6:7]
	v_fma_f64 v[4:5], v[6:7], 0, v[4:5]
	v_div_fixup_f64 v[10:11], v[20:21], v[10:11], 1.0
	v_mul_f64 v[20:21], v[22:23], v[10:11]
	v_mul_f64 v[10:11], v[4:5], v[10:11]
	s_waitcnt vmcnt(1)
	v_mul_f64 v[4:5], v[20:21], -v[18:19]
	v_mul_f64 v[6:7], v[20:21], v[16:17]
	s_waitcnt vmcnt(0)
	v_mul_f64 v[22:23], v[20:21], -v[33:34]
	v_mul_f64 v[37:38], v[20:21], v[31:32]
	v_fma_f64 v[16:17], v[16:17], v[10:11], v[4:5]
	v_fma_f64 v[18:19], v[18:19], v[10:11], v[6:7]
	;; [unrolled: 1-line block ×4, first 2 shown]
	global_store_dwordx4 v[35:36], v[16:19], off
	global_store_dwordx4 v[39:40], v[4:7], off
	s_and_saveexec_b64 s[4:5], s[0:1]
	s_cbranch_execz .LBB320_3
; %bb.19:                               ;   in Loop: Header=BB320_5 Depth=1
	v_add_u32_e32 v35, v47, v48
	v_add_u32_e32 v25, s30, v35
	v_lshlrev_b64 v[22:23], 4, v[25:26]
	v_mov_b32_e32 v25, s9
	v_add_co_u32_e32 v22, vcc, s8, v22
	v_addc_co_u32_e32 v23, vcc, v25, v23, vcc
	v_add_u32_e32 v25, s31, v35
	v_lshlrev_b64 v[35:36], 4, v[25:26]
	v_mov_b32_e32 v25, s9
	v_add_co_u32_e32 v39, vcc, s8, v35
	global_load_dwordx4 v[31:34], v[22:23], off
	v_addc_co_u32_e32 v40, vcc, v25, v36, vcc
	global_load_dwordx4 v[35:38], v[39:40], off
	s_waitcnt vmcnt(1)
	v_fma_f64 v[31:32], -v[0:1], v[16:17], v[31:32]
	v_fma_f64 v[33:34], -v[2:3], v[16:17], v[33:34]
	s_waitcnt vmcnt(0)
	v_fma_f64 v[35:36], -v[0:1], v[4:5], v[35:36]
	v_fma_f64 v[37:38], -v[2:3], v[4:5], v[37:38]
	v_fma_f64 v[16:17], v[2:3], v[18:19], v[31:32]
	v_fma_f64 v[18:19], -v[0:1], v[18:19], v[33:34]
	v_fma_f64 v[4:5], v[2:3], v[6:7], v[35:36]
	v_fma_f64 v[6:7], -v[0:1], v[6:7], v[37:38]
	global_store_dwordx4 v[22:23], v[16:19], off
	global_store_dwordx4 v[39:40], v[4:7], off
	s_branch .LBB320_3
.LBB320_20:
	s_or_b64 exec, exec, s[20:21]
	s_branch .LBB320_22
.LBB320_21:
	v_mov_b32_e32 v48, 0
.LBB320_22:
	v_subrev_u32_e32 v2, s24, v48
	v_add_u32_e32 v0, v2, v24
	v_ashrrev_i32_e32 v1, 31, v0
	v_lshlrev_b64 v[0:1], 2, v[0:1]
	s_waitcnt lgkmcnt(0)
	v_mov_b32_e32 v3, s17
	v_add_co_u32_e32 v0, vcc, s16, v0
	v_addc_co_u32_e32 v1, vcc, v3, v1, vcc
	s_waitcnt vmcnt(0)
	buffer_wbinvl1_vol
	global_load_dword v0, v[0:1], off
	s_waitcnt vmcnt(0)
	v_mul_lo_u32 v0, v0, s24
	v_sub_u32_e32 v8, v2, v0
	v_cmp_lt_i32_e32 vcc, -1, v8
	s_and_b64 exec, exec, vcc
	s_cbranch_execz .LBB320_29
; %bb.23:
	s_lshl_b32 s4, s26, 1
	s_add_i32 s5, s4, s25
	s_lshl_b32 s6, s24, 1
	s_mov_b64 s[0:1], 0
	v_mov_b32_e32 v9, s17
	v_mov_b32_e32 v10, s11
	;; [unrolled: 1-line block ×3, first 2 shown]
	s_branch .LBB320_25
.LBB320_24:                             ;   in Loop: Header=BB320_25 Depth=1
	s_or_b64 exec, exec, s[2:3]
	v_sub_u32_e32 v8, v8, v4
	v_cmp_gt_i32_e32 vcc, 0, v8
	s_or_b64 s[0:1], vcc, s[0:1]
	s_andn2_b64 exec, exec, s[0:1]
	s_cbranch_execz .LBB320_29
.LBB320_25:                             ; =>This Inner Loop Header: Depth=1
	v_add_u32_e32 v6, v8, v24
	v_ashrrev_i32_e32 v7, 31, v6
	s_waitcnt vmcnt(0)
	v_lshlrev_b64 v[0:1], 2, v[6:7]
	v_add_co_u32_e32 v0, vcc, s16, v0
	v_addc_co_u32_e32 v1, vcc, v9, v1, vcc
	global_load_dword v4, v[0:1], off
	v_lshlrev_b64 v[0:1], 4, v[6:7]
	v_add_co_u32_e32 v0, vcc, s10, v0
	v_addc_co_u32_e32 v1, vcc, v10, v1, vcc
	global_load_dwordx4 v[0:3], v[0:1], off
	s_waitcnt vmcnt(1)
	v_cmp_ne_u32_e32 vcc, 1, v4
	s_and_saveexec_b64 s[2:3], vcc
	s_xor_b64 s[2:3], exec, s[2:3]
	s_cbranch_execz .LBB320_27
; %bb.26:                               ;   in Loop: Header=BB320_25 Depth=1
	v_add_u32_e32 v7, v47, v8
	v_add_u32_e32 v4, s4, v7
	v_lshlrev_b64 v[11:12], 4, v[4:5]
	v_mov_b32_e32 v4, s9
	v_add_co_u32_e32 v11, vcc, s8, v11
	v_addc_co_u32_e32 v12, vcc, v4, v12, vcc
	v_add_u32_e32 v4, s5, v7
	v_lshlrev_b64 v[19:20], 4, v[4:5]
	v_add_u32_e32 v4, s4, v6
	v_lshlrev_b64 v[15:16], 4, v[4:5]
	v_mov_b32_e32 v4, s9
	v_add_co_u32_e32 v25, vcc, s8, v15
	v_addc_co_u32_e32 v26, vcc, v4, v16, vcc
	global_load_dwordx4 v[11:14], v[11:12], off
	v_add_co_u32_e32 v19, vcc, s8, v19
	global_load_dwordx4 v[15:18], v[25:26], off
	v_addc_co_u32_e32 v20, vcc, v4, v20, vcc
	global_load_dwordx4 v[19:22], v[19:20], off
	v_add_u32_e32 v4, s5, v6
	v_lshlrev_b64 v[6:7], 4, v[4:5]
	v_mov_b32_e32 v23, s9
	v_add_co_u32_e32 v6, vcc, s8, v6
	v_addc_co_u32_e32 v7, vcc, v23, v7, vcc
	v_subrev_u32_e32 v4, s24, v8
	v_mov_b32_e32 v23, s11
	v_mov_b32_e32 v28, s9
	s_waitcnt vmcnt(1)
	v_fma_f64 v[15:16], -v[0:1], v[11:12], v[15:16]
	v_fma_f64 v[17:18], -v[2:3], v[11:12], v[17:18]
	v_fma_f64 v[15:16], v[2:3], v[13:14], v[15:16]
	v_fma_f64 v[17:18], -v[0:1], v[13:14], v[17:18]
	global_store_dwordx4 v[25:26], v[15:18], off
	global_load_dwordx4 v[15:18], v[6:7], off
	v_add_u32_e32 v25, v4, v24
	v_ashrrev_i32_e32 v26, 31, v25
	v_lshlrev_b64 v[26:27], 4, v[25:26]
	v_add_u32_e32 v4, s4, v25
	v_add_co_u32_e32 v26, vcc, s10, v26
	v_addc_co_u32_e32 v27, vcc, v23, v27, vcc
	s_waitcnt vmcnt(0)
	v_fma_f64 v[15:16], -v[0:1], v[19:20], v[15:16]
	v_fma_f64 v[17:18], -v[2:3], v[19:20], v[17:18]
	v_fma_f64 v[15:16], v[2:3], v[21:22], v[15:16]
	v_fma_f64 v[17:18], -v[0:1], v[21:22], v[17:18]
	global_load_dwordx4 v[0:3], v[26:27], off
	v_lshlrev_b64 v[26:27], 4, v[4:5]
	v_add_u32_e32 v4, s5, v25
	v_add_co_u32_e32 v26, vcc, s8, v26
	v_addc_co_u32_e32 v27, vcc, v28, v27, vcc
	global_store_dwordx4 v[6:7], v[15:18], off
	global_load_dwordx4 v[15:18], v[26:27], off
	s_waitcnt vmcnt(0)
	v_fma_f64 v[6:7], -v[0:1], v[11:12], v[15:16]
	v_fma_f64 v[15:16], -v[2:3], v[11:12], v[17:18]
	v_fma_f64 v[11:12], v[2:3], v[13:14], v[6:7]
	v_fma_f64 v[13:14], -v[0:1], v[13:14], v[15:16]
	v_lshlrev_b64 v[6:7], 4, v[4:5]
	v_mov_b32_e32 v15, s9
	v_add_co_u32_e32 v6, vcc, s8, v6
	v_addc_co_u32_e32 v7, vcc, v15, v7, vcc
	global_store_dwordx4 v[26:27], v[11:14], off
	global_load_dwordx4 v[11:14], v[6:7], off
	s_waitcnt vmcnt(0)
	v_fma_f64 v[11:12], -v[0:1], v[19:20], v[11:12]
	v_fma_f64 v[13:14], -v[2:3], v[19:20], v[13:14]
	v_fma_f64 v[11:12], v[2:3], v[21:22], v[11:12]
	v_fma_f64 v[13:14], -v[0:1], v[21:22], v[13:14]
                                        ; implicit-def: $vgpr0_vgpr1
	global_store_dwordx4 v[6:7], v[11:14], off
                                        ; implicit-def: $vgpr6
.LBB320_27:                             ;   in Loop: Header=BB320_25 Depth=1
	s_or_saveexec_b64 s[2:3], s[2:3]
	v_mov_b32_e32 v4, s6
	s_xor_b64 exec, exec, s[2:3]
	s_cbranch_execz .LBB320_24
; %bb.28:                               ;   in Loop: Header=BB320_25 Depth=1
	v_add_u32_e32 v7, v47, v8
	v_add_u32_e32 v4, s4, v7
	v_lshlrev_b64 v[11:12], 4, v[4:5]
	v_mov_b32_e32 v4, s9
	v_add_co_u32_e32 v19, vcc, s8, v11
	v_addc_co_u32_e32 v20, vcc, v4, v12, vcc
	v_add_u32_e32 v4, s4, v6
	v_lshlrev_b64 v[11:12], 4, v[4:5]
	v_mov_b32_e32 v4, s9
	v_add_co_u32_e32 v21, vcc, s8, v11
	v_addc_co_u32_e32 v22, vcc, v4, v12, vcc
	global_load_dwordx4 v[11:14], v[19:20], off
	global_load_dwordx4 v[15:18], v[21:22], off
	v_add_u32_e32 v4, s5, v7
	v_lshlrev_b64 v[19:20], 4, v[4:5]
	v_add_u32_e32 v4, s5, v6
	v_mov_b32_e32 v23, s9
	v_lshlrev_b64 v[6:7], 4, v[4:5]
	v_add_co_u32_e32 v19, vcc, s8, v19
	v_addc_co_u32_e32 v20, vcc, v23, v20, vcc
	v_mov_b32_e32 v25, s9
	v_add_co_u32_e32 v6, vcc, s8, v6
	v_addc_co_u32_e32 v7, vcc, v25, v7, vcc
	v_mov_b32_e32 v4, s24
	s_waitcnt vmcnt(0)
	v_fma_f64 v[15:16], -v[0:1], v[11:12], v[15:16]
	v_fma_f64 v[17:18], -v[2:3], v[11:12], v[17:18]
	v_fma_f64 v[11:12], v[2:3], v[13:14], v[15:16]
	v_fma_f64 v[13:14], -v[0:1], v[13:14], v[17:18]
	global_store_dwordx4 v[21:22], v[11:14], off
	global_load_dwordx4 v[11:14], v[19:20], off
	s_nop 0
	global_load_dwordx4 v[15:18], v[6:7], off
	s_waitcnt vmcnt(0)
	v_fma_f64 v[15:16], -v[0:1], v[11:12], v[15:16]
	v_fma_f64 v[17:18], -v[2:3], v[11:12], v[17:18]
	v_fma_f64 v[11:12], v[2:3], v[13:14], v[15:16]
	v_fma_f64 v[13:14], -v[0:1], v[13:14], v[17:18]
	global_store_dwordx4 v[6:7], v[11:14], off
	s_branch .LBB320_24
.LBB320_29:
	s_endpgm
	.section	.rodata,"a",@progbits
	.p2align	6, 0x0
	.amdhsa_kernel _ZN9rocsparseL19gtsv_LBM_rhs_kernelILj256ELj32ELj2E21rocsparse_complex_numIdEEEviiiPKT2_S5_S5_PS3_S5_PKi
		.amdhsa_group_segment_fixed_size 0
		.amdhsa_private_segment_fixed_size 0
		.amdhsa_kernarg_size 64
		.amdhsa_user_sgpr_count 6
		.amdhsa_user_sgpr_private_segment_buffer 1
		.amdhsa_user_sgpr_dispatch_ptr 0
		.amdhsa_user_sgpr_queue_ptr 0
		.amdhsa_user_sgpr_kernarg_segment_ptr 1
		.amdhsa_user_sgpr_dispatch_id 0
		.amdhsa_user_sgpr_flat_scratch_init 0
		.amdhsa_user_sgpr_private_segment_size 0
		.amdhsa_uses_dynamic_stack 0
		.amdhsa_system_sgpr_private_segment_wavefront_offset 0
		.amdhsa_system_sgpr_workgroup_id_x 1
		.amdhsa_system_sgpr_workgroup_id_y 1
		.amdhsa_system_sgpr_workgroup_id_z 0
		.amdhsa_system_sgpr_workgroup_info 0
		.amdhsa_system_vgpr_workitem_id 0
		.amdhsa_next_free_vgpr 71
		.amdhsa_next_free_sgpr 32
		.amdhsa_reserve_vcc 1
		.amdhsa_reserve_flat_scratch 0
		.amdhsa_float_round_mode_32 0
		.amdhsa_float_round_mode_16_64 0
		.amdhsa_float_denorm_mode_32 3
		.amdhsa_float_denorm_mode_16_64 3
		.amdhsa_dx10_clamp 1
		.amdhsa_ieee_mode 1
		.amdhsa_fp16_overflow 0
		.amdhsa_exception_fp_ieee_invalid_op 0
		.amdhsa_exception_fp_denorm_src 0
		.amdhsa_exception_fp_ieee_div_zero 0
		.amdhsa_exception_fp_ieee_overflow 0
		.amdhsa_exception_fp_ieee_underflow 0
		.amdhsa_exception_fp_ieee_inexact 0
		.amdhsa_exception_int_div_zero 0
	.end_amdhsa_kernel
	.section	.text._ZN9rocsparseL19gtsv_LBM_rhs_kernelILj256ELj32ELj2E21rocsparse_complex_numIdEEEviiiPKT2_S5_S5_PS3_S5_PKi,"axG",@progbits,_ZN9rocsparseL19gtsv_LBM_rhs_kernelILj256ELj32ELj2E21rocsparse_complex_numIdEEEviiiPKT2_S5_S5_PS3_S5_PKi,comdat
.Lfunc_end320:
	.size	_ZN9rocsparseL19gtsv_LBM_rhs_kernelILj256ELj32ELj2E21rocsparse_complex_numIdEEEviiiPKT2_S5_S5_PS3_S5_PKi, .Lfunc_end320-_ZN9rocsparseL19gtsv_LBM_rhs_kernelILj256ELj32ELj2E21rocsparse_complex_numIdEEEviiiPKT2_S5_S5_PS3_S5_PKi
                                        ; -- End function
	.set _ZN9rocsparseL19gtsv_LBM_rhs_kernelILj256ELj32ELj2E21rocsparse_complex_numIdEEEviiiPKT2_S5_S5_PS3_S5_PKi.num_vgpr, 71
	.set _ZN9rocsparseL19gtsv_LBM_rhs_kernelILj256ELj32ELj2E21rocsparse_complex_numIdEEEviiiPKT2_S5_S5_PS3_S5_PKi.num_agpr, 0
	.set _ZN9rocsparseL19gtsv_LBM_rhs_kernelILj256ELj32ELj2E21rocsparse_complex_numIdEEEviiiPKT2_S5_S5_PS3_S5_PKi.numbered_sgpr, 32
	.set _ZN9rocsparseL19gtsv_LBM_rhs_kernelILj256ELj32ELj2E21rocsparse_complex_numIdEEEviiiPKT2_S5_S5_PS3_S5_PKi.num_named_barrier, 0
	.set _ZN9rocsparseL19gtsv_LBM_rhs_kernelILj256ELj32ELj2E21rocsparse_complex_numIdEEEviiiPKT2_S5_S5_PS3_S5_PKi.private_seg_size, 0
	.set _ZN9rocsparseL19gtsv_LBM_rhs_kernelILj256ELj32ELj2E21rocsparse_complex_numIdEEEviiiPKT2_S5_S5_PS3_S5_PKi.uses_vcc, 1
	.set _ZN9rocsparseL19gtsv_LBM_rhs_kernelILj256ELj32ELj2E21rocsparse_complex_numIdEEEviiiPKT2_S5_S5_PS3_S5_PKi.uses_flat_scratch, 0
	.set _ZN9rocsparseL19gtsv_LBM_rhs_kernelILj256ELj32ELj2E21rocsparse_complex_numIdEEEviiiPKT2_S5_S5_PS3_S5_PKi.has_dyn_sized_stack, 0
	.set _ZN9rocsparseL19gtsv_LBM_rhs_kernelILj256ELj32ELj2E21rocsparse_complex_numIdEEEviiiPKT2_S5_S5_PS3_S5_PKi.has_recursion, 0
	.set _ZN9rocsparseL19gtsv_LBM_rhs_kernelILj256ELj32ELj2E21rocsparse_complex_numIdEEEviiiPKT2_S5_S5_PS3_S5_PKi.has_indirect_call, 0
	.section	.AMDGPU.csdata,"",@progbits
; Kernel info:
; codeLenInByte = 3396
; TotalNumSgprs: 36
; NumVgprs: 71
; ScratchSize: 0
; MemoryBound: 1
; FloatMode: 240
; IeeeMode: 1
; LDSByteSize: 0 bytes/workgroup (compile time only)
; SGPRBlocks: 4
; VGPRBlocks: 17
; NumSGPRsForWavesPerEU: 36
; NumVGPRsForWavesPerEU: 71
; Occupancy: 3
; WaveLimiterHint : 0
; COMPUTE_PGM_RSRC2:SCRATCH_EN: 0
; COMPUTE_PGM_RSRC2:USER_SGPR: 6
; COMPUTE_PGM_RSRC2:TRAP_HANDLER: 0
; COMPUTE_PGM_RSRC2:TGID_X_EN: 1
; COMPUTE_PGM_RSRC2:TGID_Y_EN: 1
; COMPUTE_PGM_RSRC2:TGID_Z_EN: 0
; COMPUTE_PGM_RSRC2:TIDIG_COMP_CNT: 0
	.section	.text._ZN9rocsparseL19gtsv_LBM_rhs_kernelILj256ELj32ELj1E21rocsparse_complex_numIdEEEviiiPKT2_S5_S5_PS3_S5_PKi,"axG",@progbits,_ZN9rocsparseL19gtsv_LBM_rhs_kernelILj256ELj32ELj1E21rocsparse_complex_numIdEEEviiiPKT2_S5_S5_PS3_S5_PKi,comdat
	.globl	_ZN9rocsparseL19gtsv_LBM_rhs_kernelILj256ELj32ELj1E21rocsparse_complex_numIdEEEviiiPKT2_S5_S5_PS3_S5_PKi ; -- Begin function _ZN9rocsparseL19gtsv_LBM_rhs_kernelILj256ELj32ELj1E21rocsparse_complex_numIdEEEviiiPKT2_S5_S5_PS3_S5_PKi
	.p2align	8
	.type	_ZN9rocsparseL19gtsv_LBM_rhs_kernelILj256ELj32ELj1E21rocsparse_complex_numIdEEEviiiPKT2_S5_S5_PS3_S5_PKi,@function
_ZN9rocsparseL19gtsv_LBM_rhs_kernelILj256ELj32ELj1E21rocsparse_complex_numIdEEEviiiPKT2_S5_S5_PS3_S5_PKi: ; @_ZN9rocsparseL19gtsv_LBM_rhs_kernelILj256ELj32ELj1E21rocsparse_complex_numIdEEEviiiPKT2_S5_S5_PS3_S5_PKi
; %bb.0:
	s_load_dword s24, s[4:5], 0x0
	v_lshl_or_b32 v24, s6, 8, v0
	s_waitcnt lgkmcnt(0)
	s_lshr_b32 s22, s24, 5
	v_cmp_gt_i32_e32 vcc, s22, v24
	s_and_saveexec_b64 s[0:1], vcc
	s_cbranch_execz .LBB321_29
; %bb.1:
	s_load_dwordx4 s[8:11], s[4:5], 0x28
	s_load_dwordx2 s[16:17], s[4:5], 0x38
	s_cmp_lt_i32 s24, 1
	s_mul_i32 s23, s24, s7
	s_cbranch_scc1 .LBB321_21
; %bb.2:
	s_load_dwordx4 s[12:15], s[4:5], 0x10
	s_load_dwordx2 s[6:7], s[4:5], 0x20
	v_ashrrev_i32_e32 v25, 31, v24
	v_lshlrev_b64 v[0:1], 4, v[24:25]
	v_add_u32_e32 v40, s22, v24
	s_waitcnt lgkmcnt(0)
	v_mov_b32_e32 v2, s15
	v_add_co_u32_e32 v0, vcc, s14, v0
	v_addc_co_u32_e32 v1, vcc, v2, v1, vcc
	global_load_dwordx4 v[0:3], v[0:1], off
	s_mul_i32 s25, s22, 31
	s_mul_i32 s26, s22, 30
	s_lshl_b32 s27, s22, 1
	v_add_u32_e32 v41, s22, v40
	v_add_u32_e32 v42, s23, v40
	v_mov_b32_e32 v26, 0
	s_mov_b64 s[18:19], 0
	v_mov_b32_e32 v43, s7
	v_mov_b32_e32 v39, 0
	s_branch .LBB321_5
.LBB321_3:                              ;   in Loop: Header=BB321_5 Depth=1
	s_or_b64 exec, exec, s[4:5]
	v_fma_f64 v[0:1], v[6:7], v[8:9], v[30:31]
	v_fma_f64 v[2:3], v[4:5], v[8:9], v[28:29]
	v_mul_f64 v[4:5], v[16:17], -v[0:1]
	v_mul_f64 v[6:7], v[16:17], v[2:3]
	v_fma_f64 v[2:3], v[2:3], v[10:11], v[4:5]
	v_fma_f64 v[4:5], v[0:1], v[10:11], v[6:7]
	v_mov_b32_e32 v10, s22
	v_add_f64 v[0:1], v[12:13], -v[2:3]
	v_add_f64 v[2:3], v[14:15], -v[4:5]
.LBB321_4:                              ;   in Loop: Header=BB321_5 Depth=1
	s_or_b64 exec, exec, s[2:3]
	v_add_u32_e32 v39, v10, v39
	v_cmp_le_i32_e32 vcc, s24, v39
	s_or_b64 s[18:19], vcc, s[18:19]
	s_andn2_b64 exec, exec, s[18:19]
	s_cbranch_execz .LBB321_20
.LBB321_5:                              ; =>This Inner Loop Header: Depth=1
	v_add_u32_e32 v27, v39, v24
	v_ashrrev_i32_e32 v28, 31, v27
	v_lshlrev_b64 v[4:5], 4, v[27:28]
	v_mov_b32_e32 v12, 0
	v_add_co_u32_e32 v4, vcc, s6, v4
	v_addc_co_u32_e32 v5, vcc, v43, v5, vcc
	global_load_dwordx4 v[8:11], v[4:5], off
	v_mov_b32_e32 v4, 0
	v_mov_b32_e32 v6, 0
	v_cmp_gt_u32_e64 s[0:1], s25, v39
	v_mov_b32_e32 v13, 0
	v_mov_b32_e32 v5, 0
	;; [unrolled: 1-line block ×3, first 2 shown]
	v_add_u32_e32 v22, v40, v39
	s_and_saveexec_b64 s[2:3], s[0:1]
	s_cbranch_execz .LBB321_7
; %bb.6:                                ;   in Loop: Header=BB321_5 Depth=1
	v_ashrrev_i32_e32 v23, 31, v22
	v_lshlrev_b64 v[4:5], 4, v[22:23]
	v_mov_b32_e32 v6, s13
	v_add_co_u32_e32 v4, vcc, s12, v4
	v_addc_co_u32_e32 v5, vcc, v6, v5, vcc
	global_load_dwordx4 v[4:7], v[4:5], off
.LBB321_7:                              ;   in Loop: Header=BB321_5 Depth=1
	s_or_b64 exec, exec, s[2:3]
	v_mov_b32_e32 v14, 0
	v_mov_b32_e32 v15, 0
	s_and_saveexec_b64 s[2:3], s[0:1]
	s_cbranch_execz .LBB321_9
; %bb.8:                                ;   in Loop: Header=BB321_5 Depth=1
	v_ashrrev_i32_e32 v23, 31, v22
	v_lshlrev_b64 v[12:13], 4, v[22:23]
	v_mov_b32_e32 v14, s15
	v_add_co_u32_e32 v12, vcc, s14, v12
	v_addc_co_u32_e32 v13, vcc, v14, v13, vcc
	global_load_dwordx4 v[12:15], v[12:13], off
.LBB321_9:                              ;   in Loop: Header=BB321_5 Depth=1
	s_or_b64 exec, exec, s[2:3]
	v_mov_b32_e32 v20, 0
	v_mov_b32_e32 v16, 0
	;; [unrolled: 1-line block ×6, first 2 shown]
	s_and_saveexec_b64 s[2:3], s[0:1]
	s_cbranch_execz .LBB321_11
; %bb.10:                               ;   in Loop: Header=BB321_5 Depth=1
	v_ashrrev_i32_e32 v23, 31, v22
	v_lshlrev_b64 v[16:17], 4, v[22:23]
	v_mov_b32_e32 v18, s7
	v_add_co_u32_e32 v16, vcc, s6, v16
	v_addc_co_u32_e32 v17, vcc, v18, v17, vcc
	global_load_dwordx4 v[16:19], v[16:17], off
.LBB321_11:                             ;   in Loop: Header=BB321_5 Depth=1
	s_or_b64 exec, exec, s[2:3]
	v_mov_b32_e32 v22, 0
	v_mov_b32_e32 v23, 0
	v_cmp_gt_u32_e64 s[2:3], s26, v39
	s_and_saveexec_b64 s[4:5], s[2:3]
	s_cbranch_execz .LBB321_13
; %bb.12:                               ;   in Loop: Header=BB321_5 Depth=1
	v_add_u32_e32 v20, v41, v39
	v_ashrrev_i32_e32 v21, 31, v20
	v_lshlrev_b64 v[20:21], 4, v[20:21]
	v_mov_b32_e32 v22, s13
	v_add_co_u32_e32 v20, vcc, s12, v20
	v_addc_co_u32_e32 v21, vcc, v22, v21, vcc
	global_load_dwordx4 v[20:23], v[20:21], off
.LBB321_13:                             ;   in Loop: Header=BB321_5 Depth=1
	s_or_b64 exec, exec, s[4:5]
	v_lshlrev_b64 v[28:29], 2, v[27:28]
	v_mov_b32_e32 v25, s17
	v_add_co_u32_e32 v28, vcc, s16, v28
	v_addc_co_u32_e32 v29, vcc, v25, v29, vcc
	global_load_dword v25, v[28:29], off
	s_waitcnt vmcnt(1)
	v_mul_f64 v[28:29], v[10:11], -v[6:7]
	v_mul_f64 v[30:31], v[10:11], v[4:5]
	v_cmp_ne_u32_e32 vcc, s25, v39
	s_waitcnt vmcnt(0)
	v_cmp_ne_u32_e64 s[4:5], 1, v25
	s_and_b64 s[4:5], vcc, s[4:5]
	v_add_u32_e32 v25, s23, v27
	s_and_saveexec_b64 s[20:21], s[4:5]
	s_xor_b64 s[20:21], exec, s[20:21]
	s_cbranch_execz .LBB321_17
; %bb.14:                               ;   in Loop: Header=BB321_5 Depth=1
	v_mul_f64 v[32:33], v[0:1], v[14:15]
	v_mul_f64 v[34:35], v[14:15], -v[2:3]
	v_fma_f64 v[30:31], v[6:7], v[8:9], v[30:31]
	v_fma_f64 v[27:28], v[4:5], v[8:9], v[28:29]
	v_lshlrev_b64 v[46:47], 4, v[25:26]
	v_add_u32_e32 v25, v42, v39
	v_mov_b32_e32 v51, s9
	v_fma_f64 v[32:33], v[2:3], v[12:13], v[32:33]
	v_fma_f64 v[34:35], v[0:1], v[12:13], v[34:35]
	v_add_f64 v[29:30], v[32:33], -v[30:31]
	v_add_f64 v[27:28], v[34:35], -v[27:28]
	v_mul_f64 v[31:32], v[29:30], v[29:30]
	v_fma_f64 v[31:32], v[27:28], v[27:28], v[31:32]
	v_div_scale_f64 v[37:38], s[4:5], v[31:32], v[31:32], 1.0
	v_div_scale_f64 v[44:45], vcc, 1.0, v[31:32], 1.0
	v_add_co_u32_e64 v50, s[4:5], s8, v46
	v_addc_co_u32_e64 v51, s[4:5], v51, v47, s[4:5]
	v_rcp_f64_e32 v[33:34], v[37:38]
	v_fma_f64 v[35:36], -v[37:38], v[33:34], 1.0
	v_fma_f64 v[33:34], v[33:34], v[35:36], v[33:34]
	v_fma_f64 v[35:36], -v[37:38], v[33:34], 1.0
	v_fma_f64 v[48:49], v[33:34], v[35:36], v[33:34]
	v_lshlrev_b64 v[33:34], 4, v[25:26]
	v_mov_b32_e32 v35, s9
	v_add_co_u32_e64 v54, s[4:5], s8, v33
	v_addc_co_u32_e64 v55, s[4:5], v35, v34, s[4:5]
	global_load_dwordx4 v[33:36], v[50:51], off
	v_mul_f64 v[52:53], v[44:45], v[48:49]
	v_fma_f64 v[37:38], -v[37:38], v[52:53], v[44:45]
	global_load_dwordx4 v[44:47], v[54:55], off
	v_div_fmas_f64 v[37:38], v[37:38], v[48:49], v[52:53]
	v_fma_f64 v[48:49], v[27:28], 0, -v[29:30]
	v_fma_f64 v[29:30], v[29:30], 0, v[27:28]
	v_div_fixup_f64 v[31:32], v[37:38], v[31:32], 1.0
	v_mul_f64 v[27:28], v[48:49], v[31:32]
	v_mul_f64 v[29:30], v[29:30], v[31:32]
	s_waitcnt vmcnt(1)
	v_mul_f64 v[31:32], v[27:28], v[33:34]
	v_mul_f64 v[48:49], v[27:28], -v[35:36]
	v_fma_f64 v[31:32], v[35:36], v[29:30], v[31:32]
	v_fma_f64 v[33:34], v[33:34], v[29:30], v[48:49]
	s_waitcnt vmcnt(0)
	v_mul_f64 v[37:38], v[27:28], v[44:45]
	v_mul_f64 v[52:53], v[27:28], -v[46:47]
	v_mul_f64 v[48:49], v[12:13], v[31:32]
	v_fma_f64 v[35:36], v[46:47], v[29:30], v[37:38]
	v_mul_f64 v[46:47], v[31:32], -v[14:15]
	v_fma_f64 v[37:38], v[44:45], v[29:30], v[52:53]
	v_fma_f64 v[14:15], v[14:15], v[33:34], v[48:49]
	v_mul_f64 v[48:49], v[31:32], -v[4:5]
	v_mul_f64 v[44:45], v[35:36], -v[10:11]
	v_mul_f64 v[52:53], v[8:9], v[35:36]
	v_fma_f64 v[12:13], v[12:13], v[33:34], v[46:47]
	v_mul_f64 v[46:47], v[6:7], v[31:32]
	v_fma_f64 v[48:49], -v[6:7], v[33:34], v[48:49]
	v_fma_f64 v[8:9], v[8:9], v[37:38], v[44:45]
	v_fma_f64 v[10:11], v[10:11], v[37:38], v[52:53]
	v_mul_f64 v[44:45], v[35:36], -v[2:3]
	v_mul_f64 v[52:53], v[0:1], v[35:36]
	v_fma_f64 v[46:47], -v[4:5], v[33:34], v[46:47]
	v_add_f64 v[12:13], v[12:13], -v[8:9]
	v_add_f64 v[14:15], v[14:15], -v[10:11]
	v_fma_f64 v[44:45], v[0:1], v[37:38], v[44:45]
	v_fma_f64 v[52:53], v[2:3], v[37:38], v[52:53]
	v_mov_b32_e32 v10, 0
	v_mov_b32_e32 v8, 0
	;; [unrolled: 1-line block ×4, first 2 shown]
	v_add_f64 v[44:45], v[46:47], v[44:45]
	v_add_f64 v[46:47], v[48:49], v[52:53]
	global_store_dwordx4 v[50:51], v[12:15], off
	global_store_dwordx4 v[54:55], v[44:47], off
	s_and_saveexec_b64 s[4:5], s[2:3]
	s_cbranch_execz .LBB321_16
; %bb.15:                               ;   in Loop: Header=BB321_5 Depth=1
	v_add_u32_e32 v12, v41, v39
	v_add_u32_e32 v25, s23, v12
	v_lshlrev_b64 v[8:9], 4, v[25:26]
	v_ashrrev_i32_e32 v13, 31, v12
	v_mov_b32_e32 v10, s9
	v_add_co_u32_e32 v44, vcc, s8, v8
	v_lshlrev_b64 v[12:13], 4, v[12:13]
	v_addc_co_u32_e32 v45, vcc, v10, v9, vcc
	v_mov_b32_e32 v14, s15
	v_add_co_u32_e32 v12, vcc, s14, v12
	v_addc_co_u32_e32 v13, vcc, v14, v13, vcc
	global_load_dwordx4 v[8:11], v[44:45], off
	v_mul_f64 v[46:47], v[2:3], -v[22:23]
	global_load_dwordx4 v[12:15], v[12:13], off
	v_mul_f64 v[48:49], v[2:3], v[20:21]
	v_mul_f64 v[50:51], v[22:23], -v[4:5]
	v_mul_f64 v[52:53], v[6:7], v[22:23]
	v_mul_f64 v[54:55], v[0:1], v[22:23]
	v_mul_f64 v[56:57], v[22:23], -v[2:3]
	v_fma_f64 v[46:47], v[20:21], v[0:1], v[46:47]
	v_fma_f64 v[22:23], v[22:23], v[0:1], v[48:49]
	v_fma_f64 v[6:7], -v[6:7], v[20:21], v[50:51]
	v_fma_f64 v[4:5], -v[4:5], v[20:21], v[52:53]
	v_fma_f64 v[2:3], v[2:3], v[20:21], v[54:55]
	v_fma_f64 v[0:1], v[0:1], v[20:21], v[56:57]
	v_mul_f64 v[20:21], v[18:19], v[46:47]
	v_mul_f64 v[18:19], v[18:19], -v[22:23]
	v_mul_f64 v[48:49], v[6:7], v[31:32]
	v_mul_f64 v[31:32], v[31:32], -v[4:5]
	v_mul_f64 v[50:51], v[35:36], -v[2:3]
	v_mul_f64 v[35:36], v[0:1], v[35:36]
	v_fma_f64 v[20:21], v[22:23], v[16:17], v[20:21]
	v_fma_f64 v[16:17], v[46:47], v[16:17], v[18:19]
	v_fma_f64 v[4:5], -v[4:5], v[33:34], v[48:49]
	v_fma_f64 v[6:7], -v[6:7], v[33:34], v[31:32]
	v_fma_f64 v[0:1], v[0:1], v[37:38], v[50:51]
	v_fma_f64 v[2:3], v[2:3], v[37:38], v[35:36]
	v_mul_f64 v[18:19], v[27:28], -v[20:21]
	v_mul_f64 v[22:23], v[27:28], v[16:17]
	v_add_f64 v[0:1], v[4:5], -v[0:1]
	v_add_f64 v[2:3], v[6:7], -v[2:3]
	v_fma_f64 v[4:5], v[16:17], v[29:30], v[18:19]
	v_fma_f64 v[6:7], v[20:21], v[29:30], v[22:23]
	s_waitcnt vmcnt(1)
	v_add_f64 v[0:1], v[0:1], v[8:9]
	v_add_f64 v[2:3], v[2:3], v[10:11]
	s_waitcnt vmcnt(0)
	v_add_f64 v[8:9], v[12:13], -v[4:5]
	v_add_f64 v[10:11], v[14:15], -v[6:7]
	global_store_dwordx4 v[44:45], v[0:3], off
.LBB321_16:                             ;   in Loop: Header=BB321_5 Depth=1
	s_or_b64 exec, exec, s[4:5]
	v_mov_b32_e32 v2, v10
	v_mov_b32_e32 v0, v8
	;; [unrolled: 1-line block ×4, first 2 shown]
                                        ; implicit-def: $vgpr4_vgpr5
                                        ; implicit-def: $vgpr12_vgpr13
                                        ; implicit-def: $vgpr8_vgpr9
                                        ; implicit-def: $vgpr28_vgpr29
                                        ; implicit-def: $vgpr30_vgpr31
.LBB321_17:                             ;   in Loop: Header=BB321_5 Depth=1
	s_or_saveexec_b64 s[2:3], s[20:21]
	v_mov_b32_e32 v10, s27
	s_xor_b64 exec, exec, s[2:3]
	s_cbranch_execz .LBB321_4
; %bb.18:                               ;   in Loop: Header=BB321_5 Depth=1
	v_mul_f64 v[10:11], v[2:3], v[2:3]
	v_lshlrev_b64 v[18:19], 4, v[25:26]
	v_mov_b32_e32 v20, s9
	v_add_co_u32_e32 v32, vcc, s8, v18
	v_addc_co_u32_e32 v33, vcc, v20, v19, vcc
	global_load_dwordx4 v[18:21], v[32:33], off
	v_fma_f64 v[10:11], v[0:1], v[0:1], v[10:11]
	v_div_scale_f64 v[16:17], s[4:5], v[10:11], v[10:11], 1.0
	v_rcp_f64_e32 v[22:23], v[16:17]
	v_fma_f64 v[34:35], -v[16:17], v[22:23], 1.0
	v_fma_f64 v[22:23], v[22:23], v[34:35], v[22:23]
	v_div_scale_f64 v[34:35], vcc, 1.0, v[10:11], 1.0
	v_fma_f64 v[36:37], -v[16:17], v[22:23], 1.0
	v_fma_f64 v[22:23], v[22:23], v[36:37], v[22:23]
	v_mul_f64 v[36:37], v[34:35], v[22:23]
	v_fma_f64 v[16:17], -v[16:17], v[36:37], v[34:35]
	v_div_fmas_f64 v[16:17], v[16:17], v[22:23], v[36:37]
	v_fma_f64 v[22:23], v[0:1], 0, -v[2:3]
	v_fma_f64 v[0:1], v[2:3], 0, v[0:1]
	v_div_fixup_f64 v[10:11], v[16:17], v[10:11], 1.0
	v_mul_f64 v[16:17], v[22:23], v[10:11]
	v_mul_f64 v[10:11], v[0:1], v[10:11]
	s_waitcnt vmcnt(0)
	v_mul_f64 v[0:1], v[16:17], -v[20:21]
	v_mul_f64 v[2:3], v[16:17], v[18:19]
	v_fma_f64 v[0:1], v[18:19], v[10:11], v[0:1]
	v_fma_f64 v[2:3], v[20:21], v[10:11], v[2:3]
	global_store_dwordx4 v[32:33], v[0:3], off
	s_and_saveexec_b64 s[4:5], s[0:1]
	s_cbranch_execz .LBB321_3
; %bb.19:                               ;   in Loop: Header=BB321_5 Depth=1
	v_add_u32_e32 v25, v42, v39
	v_lshlrev_b64 v[18:19], 4, v[25:26]
	v_mov_b32_e32 v20, s9
	v_add_co_u32_e32 v22, vcc, s8, v18
	v_addc_co_u32_e32 v23, vcc, v20, v19, vcc
	global_load_dwordx4 v[18:21], v[22:23], off
	s_waitcnt vmcnt(0)
	v_fma_f64 v[18:19], -v[4:5], v[0:1], v[18:19]
	v_fma_f64 v[20:21], -v[6:7], v[0:1], v[20:21]
	v_fma_f64 v[0:1], v[6:7], v[2:3], v[18:19]
	v_fma_f64 v[2:3], -v[4:5], v[2:3], v[20:21]
	global_store_dwordx4 v[22:23], v[0:3], off
	s_branch .LBB321_3
.LBB321_20:
	s_or_b64 exec, exec, s[18:19]
	s_branch .LBB321_22
.LBB321_21:
	v_mov_b32_e32 v39, 0
.LBB321_22:
	v_subrev_u32_e32 v2, s22, v39
	v_add_u32_e32 v0, v2, v24
	v_ashrrev_i32_e32 v1, 31, v0
	v_lshlrev_b64 v[0:1], 2, v[0:1]
	s_waitcnt lgkmcnt(0)
	v_mov_b32_e32 v3, s17
	v_add_co_u32_e32 v0, vcc, s16, v0
	v_addc_co_u32_e32 v1, vcc, v3, v1, vcc
	s_waitcnt vmcnt(0)
	buffer_wbinvl1_vol
	global_load_dword v0, v[0:1], off
	s_waitcnt vmcnt(0)
	v_mul_lo_u32 v0, v0, s22
	v_sub_u32_e32 v8, v2, v0
	v_cmp_lt_i32_e32 vcc, -1, v8
	s_and_b64 exec, exec, vcc
	s_cbranch_execz .LBB321_29
; %bb.23:
	s_add_i32 s0, s23, s22
	v_add_u32_e32 v9, s0, v24
	s_lshl_b32 s4, s22, 1
	s_mov_b64 s[0:1], 0
	v_mov_b32_e32 v10, s17
	v_mov_b32_e32 v11, s11
	;; [unrolled: 1-line block ×3, first 2 shown]
	s_branch .LBB321_25
.LBB321_24:                             ;   in Loop: Header=BB321_25 Depth=1
	s_or_b64 exec, exec, s[2:3]
	v_sub_u32_e32 v8, v8, v4
	v_cmp_gt_i32_e32 vcc, 0, v8
	s_or_b64 s[0:1], vcc, s[0:1]
	s_andn2_b64 exec, exec, s[0:1]
	s_cbranch_execz .LBB321_29
.LBB321_25:                             ; =>This Inner Loop Header: Depth=1
	v_add_u32_e32 v6, v8, v24
	v_ashrrev_i32_e32 v7, 31, v6
	s_waitcnt vmcnt(0)
	v_lshlrev_b64 v[0:1], 2, v[6:7]
	v_add_co_u32_e32 v0, vcc, s16, v0
	v_addc_co_u32_e32 v1, vcc, v10, v1, vcc
	global_load_dword v4, v[0:1], off
	v_lshlrev_b64 v[0:1], 4, v[6:7]
	v_add_co_u32_e32 v0, vcc, s10, v0
	v_addc_co_u32_e32 v1, vcc, v11, v1, vcc
	global_load_dwordx4 v[0:3], v[0:1], off
	s_waitcnt vmcnt(1)
	v_cmp_ne_u32_e32 vcc, 1, v4
	s_and_saveexec_b64 s[2:3], vcc
	s_xor_b64 s[2:3], exec, s[2:3]
	s_cbranch_execz .LBB321_27
; %bb.26:                               ;   in Loop: Header=BB321_25 Depth=1
	v_add_u32_e32 v4, v9, v8
	v_lshlrev_b64 v[12:13], 4, v[4:5]
	v_mov_b32_e32 v4, s9
	v_add_co_u32_e32 v20, vcc, s8, v12
	v_addc_co_u32_e32 v21, vcc, v4, v13, vcc
	v_add_u32_e32 v4, s23, v6
	v_lshlrev_b64 v[6:7], 4, v[4:5]
	v_mov_b32_e32 v4, s9
	v_add_co_u32_e32 v6, vcc, s8, v6
	v_addc_co_u32_e32 v7, vcc, v4, v7, vcc
	global_load_dwordx4 v[12:15], v[20:21], off
	global_load_dwordx4 v[16:19], v[6:7], off
	v_subrev_u32_e32 v4, s22, v8
	v_add_u32_e32 v20, v4, v24
	v_ashrrev_i32_e32 v21, 31, v20
	v_add_u32_e32 v4, s23, v20
	v_lshlrev_b64 v[20:21], 4, v[20:21]
	v_mov_b32_e32 v25, s11
	v_lshlrev_b64 v[22:23], 4, v[4:5]
	v_mov_b32_e32 v26, s9
	s_waitcnt vmcnt(0)
	v_fma_f64 v[16:17], -v[0:1], v[12:13], v[16:17]
	v_fma_f64 v[18:19], -v[2:3], v[12:13], v[18:19]
	v_fma_f64 v[16:17], v[2:3], v[14:15], v[16:17]
	v_fma_f64 v[18:19], -v[0:1], v[14:15], v[18:19]
	v_add_co_u32_e32 v0, vcc, s10, v20
	v_addc_co_u32_e32 v1, vcc, v25, v21, vcc
	v_add_co_u32_e32 v20, vcc, s8, v22
	v_addc_co_u32_e32 v21, vcc, v26, v23, vcc
	global_store_dwordx4 v[6:7], v[16:19], off
	global_load_dwordx4 v[0:3], v[0:1], off
	s_nop 0
	global_load_dwordx4 v[16:19], v[20:21], off
	s_waitcnt vmcnt(0)
	v_fma_f64 v[6:7], -v[0:1], v[12:13], v[16:17]
	v_fma_f64 v[16:17], -v[2:3], v[12:13], v[18:19]
	v_fma_f64 v[12:13], v[2:3], v[14:15], v[6:7]
	v_fma_f64 v[14:15], -v[0:1], v[14:15], v[16:17]
                                        ; implicit-def: $vgpr6
                                        ; implicit-def: $vgpr0_vgpr1
	global_store_dwordx4 v[20:21], v[12:15], off
.LBB321_27:                             ;   in Loop: Header=BB321_25 Depth=1
	s_or_saveexec_b64 s[2:3], s[2:3]
	v_mov_b32_e32 v4, s4
	s_xor_b64 exec, exec, s[2:3]
	s_cbranch_execz .LBB321_24
; %bb.28:                               ;   in Loop: Header=BB321_25 Depth=1
	v_add_u32_e32 v4, v9, v8
	v_lshlrev_b64 v[12:13], 4, v[4:5]
	v_mov_b32_e32 v4, s9
	v_add_co_u32_e32 v20, vcc, s8, v12
	v_addc_co_u32_e32 v21, vcc, v4, v13, vcc
	v_add_u32_e32 v4, s23, v6
	v_lshlrev_b64 v[6:7], 4, v[4:5]
	v_mov_b32_e32 v4, s9
	v_add_co_u32_e32 v6, vcc, s8, v6
	v_addc_co_u32_e32 v7, vcc, v4, v7, vcc
	global_load_dwordx4 v[12:15], v[20:21], off
	global_load_dwordx4 v[16:19], v[6:7], off
	v_mov_b32_e32 v4, s22
	s_waitcnt vmcnt(0)
	v_fma_f64 v[16:17], -v[0:1], v[12:13], v[16:17]
	v_fma_f64 v[18:19], -v[2:3], v[12:13], v[18:19]
	v_fma_f64 v[12:13], v[2:3], v[14:15], v[16:17]
	v_fma_f64 v[14:15], -v[0:1], v[14:15], v[18:19]
	global_store_dwordx4 v[6:7], v[12:15], off
	s_branch .LBB321_24
.LBB321_29:
	s_endpgm
	.section	.rodata,"a",@progbits
	.p2align	6, 0x0
	.amdhsa_kernel _ZN9rocsparseL19gtsv_LBM_rhs_kernelILj256ELj32ELj1E21rocsparse_complex_numIdEEEviiiPKT2_S5_S5_PS3_S5_PKi
		.amdhsa_group_segment_fixed_size 0
		.amdhsa_private_segment_fixed_size 0
		.amdhsa_kernarg_size 64
		.amdhsa_user_sgpr_count 6
		.amdhsa_user_sgpr_private_segment_buffer 1
		.amdhsa_user_sgpr_dispatch_ptr 0
		.amdhsa_user_sgpr_queue_ptr 0
		.amdhsa_user_sgpr_kernarg_segment_ptr 1
		.amdhsa_user_sgpr_dispatch_id 0
		.amdhsa_user_sgpr_flat_scratch_init 0
		.amdhsa_user_sgpr_private_segment_size 0
		.amdhsa_uses_dynamic_stack 0
		.amdhsa_system_sgpr_private_segment_wavefront_offset 0
		.amdhsa_system_sgpr_workgroup_id_x 1
		.amdhsa_system_sgpr_workgroup_id_y 1
		.amdhsa_system_sgpr_workgroup_id_z 0
		.amdhsa_system_sgpr_workgroup_info 0
		.amdhsa_system_vgpr_workitem_id 0
		.amdhsa_next_free_vgpr 58
		.amdhsa_next_free_sgpr 28
		.amdhsa_reserve_vcc 1
		.amdhsa_reserve_flat_scratch 0
		.amdhsa_float_round_mode_32 0
		.amdhsa_float_round_mode_16_64 0
		.amdhsa_float_denorm_mode_32 3
		.amdhsa_float_denorm_mode_16_64 3
		.amdhsa_dx10_clamp 1
		.amdhsa_ieee_mode 1
		.amdhsa_fp16_overflow 0
		.amdhsa_exception_fp_ieee_invalid_op 0
		.amdhsa_exception_fp_denorm_src 0
		.amdhsa_exception_fp_ieee_div_zero 0
		.amdhsa_exception_fp_ieee_overflow 0
		.amdhsa_exception_fp_ieee_underflow 0
		.amdhsa_exception_fp_ieee_inexact 0
		.amdhsa_exception_int_div_zero 0
	.end_amdhsa_kernel
	.section	.text._ZN9rocsparseL19gtsv_LBM_rhs_kernelILj256ELj32ELj1E21rocsparse_complex_numIdEEEviiiPKT2_S5_S5_PS3_S5_PKi,"axG",@progbits,_ZN9rocsparseL19gtsv_LBM_rhs_kernelILj256ELj32ELj1E21rocsparse_complex_numIdEEEviiiPKT2_S5_S5_PS3_S5_PKi,comdat
.Lfunc_end321:
	.size	_ZN9rocsparseL19gtsv_LBM_rhs_kernelILj256ELj32ELj1E21rocsparse_complex_numIdEEEviiiPKT2_S5_S5_PS3_S5_PKi, .Lfunc_end321-_ZN9rocsparseL19gtsv_LBM_rhs_kernelILj256ELj32ELj1E21rocsparse_complex_numIdEEEviiiPKT2_S5_S5_PS3_S5_PKi
                                        ; -- End function
	.set _ZN9rocsparseL19gtsv_LBM_rhs_kernelILj256ELj32ELj1E21rocsparse_complex_numIdEEEviiiPKT2_S5_S5_PS3_S5_PKi.num_vgpr, 58
	.set _ZN9rocsparseL19gtsv_LBM_rhs_kernelILj256ELj32ELj1E21rocsparse_complex_numIdEEEviiiPKT2_S5_S5_PS3_S5_PKi.num_agpr, 0
	.set _ZN9rocsparseL19gtsv_LBM_rhs_kernelILj256ELj32ELj1E21rocsparse_complex_numIdEEEviiiPKT2_S5_S5_PS3_S5_PKi.numbered_sgpr, 28
	.set _ZN9rocsparseL19gtsv_LBM_rhs_kernelILj256ELj32ELj1E21rocsparse_complex_numIdEEEviiiPKT2_S5_S5_PS3_S5_PKi.num_named_barrier, 0
	.set _ZN9rocsparseL19gtsv_LBM_rhs_kernelILj256ELj32ELj1E21rocsparse_complex_numIdEEEviiiPKT2_S5_S5_PS3_S5_PKi.private_seg_size, 0
	.set _ZN9rocsparseL19gtsv_LBM_rhs_kernelILj256ELj32ELj1E21rocsparse_complex_numIdEEEviiiPKT2_S5_S5_PS3_S5_PKi.uses_vcc, 1
	.set _ZN9rocsparseL19gtsv_LBM_rhs_kernelILj256ELj32ELj1E21rocsparse_complex_numIdEEEviiiPKT2_S5_S5_PS3_S5_PKi.uses_flat_scratch, 0
	.set _ZN9rocsparseL19gtsv_LBM_rhs_kernelILj256ELj32ELj1E21rocsparse_complex_numIdEEEviiiPKT2_S5_S5_PS3_S5_PKi.has_dyn_sized_stack, 0
	.set _ZN9rocsparseL19gtsv_LBM_rhs_kernelILj256ELj32ELj1E21rocsparse_complex_numIdEEEviiiPKT2_S5_S5_PS3_S5_PKi.has_recursion, 0
	.set _ZN9rocsparseL19gtsv_LBM_rhs_kernelILj256ELj32ELj1E21rocsparse_complex_numIdEEEviiiPKT2_S5_S5_PS3_S5_PKi.has_indirect_call, 0
	.section	.AMDGPU.csdata,"",@progbits
; Kernel info:
; codeLenInByte = 2460
; TotalNumSgprs: 32
; NumVgprs: 58
; ScratchSize: 0
; MemoryBound: 1
; FloatMode: 240
; IeeeMode: 1
; LDSByteSize: 0 bytes/workgroup (compile time only)
; SGPRBlocks: 3
; VGPRBlocks: 14
; NumSGPRsForWavesPerEU: 32
; NumVGPRsForWavesPerEU: 58
; Occupancy: 4
; WaveLimiterHint : 0
; COMPUTE_PGM_RSRC2:SCRATCH_EN: 0
; COMPUTE_PGM_RSRC2:USER_SGPR: 6
; COMPUTE_PGM_RSRC2:TRAP_HANDLER: 0
; COMPUTE_PGM_RSRC2:TGID_X_EN: 1
; COMPUTE_PGM_RSRC2:TGID_Y_EN: 1
; COMPUTE_PGM_RSRC2:TGID_Z_EN: 0
; COMPUTE_PGM_RSRC2:TIDIG_COMP_CNT: 0
	.section	.text._ZN9rocsparseL29gtsv_spike_block_level_kernelILj256ELj32E21rocsparse_complex_numIdEEEviiiPT1_PKS3_S6_S4_S4_S4_S4_S4_,"axG",@progbits,_ZN9rocsparseL29gtsv_spike_block_level_kernelILj256ELj32E21rocsparse_complex_numIdEEEviiiPT1_PKS3_S6_S4_S4_S4_S4_S4_,comdat
	.globl	_ZN9rocsparseL29gtsv_spike_block_level_kernelILj256ELj32E21rocsparse_complex_numIdEEEviiiPT1_PKS3_S6_S4_S4_S4_S4_S4_ ; -- Begin function _ZN9rocsparseL29gtsv_spike_block_level_kernelILj256ELj32E21rocsparse_complex_numIdEEEviiiPT1_PKS3_S6_S4_S4_S4_S4_S4_
	.p2align	8
	.type	_ZN9rocsparseL29gtsv_spike_block_level_kernelILj256ELj32E21rocsparse_complex_numIdEEEviiiPT1_PKS3_S6_S4_S4_S4_S4_S4_,@function
_ZN9rocsparseL29gtsv_spike_block_level_kernelILj256ELj32E21rocsparse_complex_numIdEEEviiiPT1_PKS3_S6_S4_S4_S4_S4_S4_: ; @_ZN9rocsparseL29gtsv_spike_block_level_kernelILj256ELj32E21rocsparse_complex_numIdEEEviiiPT1_PKS3_S6_S4_S4_S4_S4_S4_
; %bb.0:
	s_load_dword s12, s[4:5], 0x0
	s_load_dwordx2 s[8:9], s[4:5], 0x18
	v_lshl_or_b32 v13, s6, 8, v0
	v_mov_b32_e32 v1, 0
	v_mov_b32_e32 v5, 0
	s_waitcnt lgkmcnt(0)
	s_lshr_b32 s20, s12, 5
	v_mov_b32_e32 v7, 0
	v_mov_b32_e32 v2, 0
	;; [unrolled: 1-line block ×4, first 2 shown]
	v_cmp_gt_i32_e64 s[0:1], s20, v13
	s_and_saveexec_b64 s[2:3], s[0:1]
	s_cbranch_execz .LBB322_2
; %bb.1:
	v_ashrrev_i32_e32 v14, 31, v13
	v_lshlrev_b64 v[3:4], 4, v[13:14]
	v_mov_b32_e32 v5, s9
	v_add_co_u32_e32 v3, vcc, s8, v3
	v_addc_co_u32_e32 v4, vcc, v5, v4, vcc
	global_load_dwordx4 v[5:8], v[3:4], off
.LBB322_2:
	s_or_b64 exec, exec, s[2:3]
	s_load_dwordx2 s[2:3], s[4:5], 0x20
	v_lshlrev_b32_e32 v15, 4, v0
	v_mov_b32_e32 v3, 0
	v_or_b32_e32 v16, 0x2000, v15
	v_mov_b32_e32 v4, 0
	s_waitcnt vmcnt(0)
	ds_write_b128 v15, v[5:8] offset:8192
	s_and_saveexec_b64 s[10:11], s[0:1]
	s_cbranch_execz .LBB322_4
; %bb.3:
	v_mad_u64_u32 v[1:2], s[14:15], s20, 31, v[13:14]
	v_mov_b32_e32 v2, 0
	v_mov_b32_e32 v3, s9
	v_lshlrev_b64 v[1:2], 4, v[1:2]
	v_add_co_u32_e32 v1, vcc, s8, v1
	v_addc_co_u32_e32 v2, vcc, v3, v2, vcc
	global_load_dwordx4 v[1:4], v[1:2], off
.LBB322_4:
	s_or_b64 exec, exec, s[10:11]
	v_mov_b32_e32 v5, 0
	v_mov_b32_e32 v9, 0
	;; [unrolled: 1-line block ×6, first 2 shown]
	s_waitcnt vmcnt(0)
	ds_write_b128 v16, v[1:4] offset:4096
	s_and_saveexec_b64 s[8:9], s[0:1]
	s_cbranch_execz .LBB322_6
; %bb.5:
	v_ashrrev_i32_e32 v14, 31, v13
	v_lshlrev_b64 v[1:2], 4, v[13:14]
	s_waitcnt lgkmcnt(0)
	v_mov_b32_e32 v3, s3
	v_add_co_u32_e32 v1, vcc, s2, v1
	v_addc_co_u32_e32 v2, vcc, v3, v2, vcc
	global_load_dwordx4 v[9:12], v[1:2], off
.LBB322_6:
	s_or_b64 exec, exec, s[8:9]
	s_load_dwordx2 s[16:17], s[4:5], 0x10
	v_mov_b32_e32 v7, 0
	v_mov_b32_e32 v8, 0
	s_waitcnt vmcnt(0)
	ds_write_b128 v15, v[9:12]
	s_and_saveexec_b64 s[8:9], s[0:1]
	s_cbranch_execz .LBB322_8
; %bb.7:
	v_mad_u64_u32 v[1:2], s[10:11], s20, 31, v[13:14]
	v_mov_b32_e32 v2, 0
	s_waitcnt lgkmcnt(0)
	v_mov_b32_e32 v3, s3
	v_lshlrev_b64 v[1:2], 4, v[1:2]
	v_add_co_u32_e32 v1, vcc, s2, v1
	v_addc_co_u32_e32 v2, vcc, v3, v2, vcc
	global_load_dwordx4 v[5:8], v[1:2], off
.LBB322_8:
	s_or_b64 exec, exec, s[8:9]
	s_waitcnt vmcnt(0)
	ds_write_b128 v15, v[5:8] offset:4096
	v_mov_b32_e32 v1, 0
	s_mul_i32 s22, s12, s7
	v_mov_b32_e32 v3, 0
	v_mov_b32_e32 v5, 0
	;; [unrolled: 1-line block ×5, first 2 shown]
	v_add_u32_e32 v7, s22, v13
	s_waitcnt lgkmcnt(0)
	s_and_saveexec_b64 s[2:3], s[0:1]
	s_cbranch_execz .LBB322_10
; %bb.9:
	v_ashrrev_i32_e32 v8, 31, v7
	v_lshlrev_b64 v[3:4], 4, v[7:8]
	v_mov_b32_e32 v5, s17
	v_add_co_u32_e32 v3, vcc, s16, v3
	v_addc_co_u32_e32 v4, vcc, v5, v4, vcc
	global_load_dwordx4 v[3:6], v[3:4], off
.LBB322_10:
	s_or_b64 exec, exec, s[2:3]
	s_load_dwordx2 s[2:3], s[4:5], 0x48
	s_load_dwordx8 s[8:15], s[4:5], 0x28
	s_waitcnt vmcnt(0)
	ds_write_b128 v15, v[3:6] offset:16384
	v_mov_b32_e32 v3, 0
	v_or_b32_e32 v9, 0x4000, v15
	v_mov_b32_e32 v4, 0
	s_mul_i32 s21, s20, 31
	s_and_saveexec_b64 s[18:19], s[0:1]
	s_cbranch_execz .LBB322_12
; %bb.11:
	s_mul_i32 s23, s20, 31
	s_add_i32 s23, s23, s22
	v_add_u32_e32 v1, s23, v13
	v_mov_b32_e32 v2, 0
	v_lshlrev_b64 v[1:2], 4, v[1:2]
	v_mov_b32_e32 v3, s17
	v_add_co_u32_e32 v1, vcc, s16, v1
	v_addc_co_u32_e32 v2, vcc, v3, v2, vcc
	global_load_dwordx4 v[1:4], v[1:2], off
.LBB322_12:
	s_or_b64 exec, exec, s[18:19]
	v_add_u32_e32 v8, 0x1000, v16
	v_or_b32_e32 v6, 0x1000, v15
	v_add_u32_e32 v5, 0x1000, v9
	s_mov_b32 s22, 2
	s_waitcnt vmcnt(0)
	ds_write_b128 v9, v[1:4] offset:4096
	s_waitcnt lgkmcnt(0)
	s_barrier
	s_branch .LBB322_14
.LBB322_13:                             ;   in Loop: Header=BB322_14 Depth=1
	s_or_b64 exec, exec, s[18:19]
	s_lshl_b32 s18, s22, 1
	s_cmpk_lt_u32 s22, 0x81
	s_mov_b32 s22, s18
	s_waitcnt lgkmcnt(0)
	s_barrier
	s_cbranch_scc0 .LBB322_16
.LBB322_14:                             ; =>This Inner Loop Header: Depth=1
	s_ff1_i32_b32 s18, s22
	s_lshr_b32 s18, 0x100, s18
	v_cmp_gt_u32_e32 vcc, s18, v0
	s_and_saveexec_b64 s[18:19], vcc
	s_cbranch_execz .LBB322_13
; %bb.15:                               ;   in Loop: Header=BB322_14 Depth=1
	v_mul_lo_u32 v12, s22, v0
	s_lshr_b32 s23, s22, 1
	v_add_u32_e32 v14, s23, v12
	v_lshlrev_b32_e32 v63, 4, v14
	ds_read_b128 v[1:4], v63 offset:8192
	ds_read_b128 v[17:20], v63 offset:4080
	ds_read_b128 v[21:24], v63
	ds_read_b128 v[25:28], v63 offset:12272
	v_add_lshl_u32 v14, v14, s23, 4
	v_lshlrev_b32_e32 v12, 4, v12
	s_waitcnt lgkmcnt(2)
	v_mul_f64 v[10:11], v[19:20], v[1:2]
	v_mul_f64 v[29:30], v[19:20], -v[3:4]
	s_waitcnt lgkmcnt(1)
	v_mul_f64 v[55:56], v[23:24], -v[19:20]
	v_mul_f64 v[57:58], v[17:18], v[23:24]
	s_waitcnt lgkmcnt(0)
	v_mul_f64 v[59:60], v[3:4], -v[27:28]
	v_fma_f64 v[10:11], v[3:4], v[17:18], v[10:11]
	v_fma_f64 v[29:30], v[1:2], v[17:18], v[29:30]
	v_add_f64 v[10:11], -v[10:11], 0
	v_add_f64 v[41:42], -v[29:30], 1.0
	v_mul_f64 v[29:30], v[10:11], v[10:11]
	v_fma_f64 v[61:62], v[41:42], 0, -v[10:11]
	v_fma_f64 v[10:11], v[10:11], 0, v[41:42]
	v_fma_f64 v[43:44], v[41:42], v[41:42], v[29:30]
	;; [unrolled: 1-line block ×3, first 2 shown]
	v_div_scale_f64 v[29:30], s[24:25], v[43:44], v[43:44], 1.0
	v_rcp_f64_e32 v[31:32], v[29:30]
	v_fma_f64 v[33:34], -v[29:30], v[31:32], 1.0
	v_fma_f64 v[31:32], v[31:32], v[33:34], v[31:32]
	v_div_scale_f64 v[33:34], vcc, 1.0, v[43:44], 1.0
	v_fma_f64 v[35:36], -v[29:30], v[31:32], 1.0
	v_fma_f64 v[31:32], v[31:32], v[35:36], v[31:32]
	v_mul_f64 v[35:36], v[33:34], v[31:32]
	v_fma_f64 v[29:30], -v[29:30], v[35:36], v[33:34]
	v_div_fmas_f64 v[45:46], v[29:30], v[31:32], v[35:36]
	ds_read_b128 v[29:32], v63 offset:16384
	ds_read_b128 v[33:36], v63 offset:20464
	ds_read_b128 v[37:40], v14 offset:12272
	s_waitcnt lgkmcnt(2)
	v_mul_f64 v[47:48], v[17:18], v[31:32]
	v_mul_f64 v[49:50], v[31:32], -v[19:20]
	s_waitcnt lgkmcnt(1)
	v_mul_f64 v[51:52], v[3:4], -v[35:36]
	v_mul_f64 v[53:54], v[3:4], v[33:34]
	v_mul_f64 v[3:4], v[3:4], v[25:26]
	v_fma_f64 v[47:48], v[19:20], v[29:30], v[47:48]
	v_fma_f64 v[19:20], v[19:20], v[21:22], v[57:58]
	;; [unrolled: 1-line block ×3, first 2 shown]
	v_div_fixup_f64 v[43:44], v[45:46], v[43:44], 1.0
	v_fma_f64 v[45:46], v[17:18], v[29:30], v[49:50]
	v_fma_f64 v[49:50], v[35:36], v[1:2], v[53:54]
	;; [unrolled: 1-line block ×3, first 2 shown]
	v_add_f64 v[17:18], v[35:36], -v[47:48]
	v_add_f64 v[47:48], v[29:30], -v[51:52]
	v_mul_f64 v[35:36], v[61:62], v[43:44]
	v_add_f64 v[33:34], v[33:34], -v[45:46]
	v_mul_f64 v[10:11], v[10:11], v[43:44]
	v_add_f64 v[45:46], v[31:32], -v[49:50]
	v_fma_f64 v[29:30], v[25:26], v[1:2], v[59:60]
	v_mul_f64 v[51:52], v[35:36], v[19:20]
	v_mul_f64 v[31:32], v[35:36], v[33:34]
	v_mul_f64 v[53:54], v[19:20], -v[10:11]
	v_mul_f64 v[19:20], v[35:36], v[3:4]
	v_mul_f64 v[55:56], v[3:4], -v[10:11]
	v_mul_f64 v[57:58], v[27:28], -v[35:36]
	v_mul_f64 v[27:28], v[10:11], v[27:28]
	v_mul_f64 v[1:2], v[35:36], -v[17:18]
	;; [unrolled: 3-line block ×3, first 2 shown]
	v_mul_f64 v[49:50], v[47:48], v[35:36]
	v_fma_f64 v[3:4], v[17:18], v[10:11], v[31:32]
	v_fma_f64 v[17:18], -v[10:11], v[29:30], v[19:20]
	v_fma_f64 v[19:20], -v[35:36], v[29:30], v[55:56]
	v_fma_f64 v[23:24], v[10:11], v[25:26], v[57:58]
	v_fma_f64 v[25:26], v[35:36], v[25:26], v[27:28]
	v_fma_f64 v[27:28], -v[10:11], v[41:42], v[51:52]
	v_fma_f64 v[29:30], -v[35:36], v[41:42], v[53:54]
	v_fma_f64 v[1:2], v[33:34], v[10:11], v[1:2]
	v_fma_f64 v[31:32], v[10:11], v[21:22], v[59:60]
	;; [unrolled: 1-line block ×5, first 2 shown]
	ds_write_b128 v63, v[17:20] offset:8192
	ds_write_b128 v63, v[23:26] offset:12272
	ds_read_b128 v[21:24], v12
	ds_read_b128 v[45:48], v12 offset:8192
	ds_write_b128 v63, v[27:30] offset:4080
	ds_write_b128 v63, v[31:34]
	ds_read_b128 v[25:28], v12
	ds_write_b128 v63, v[1:4] offset:20464
	ds_write_b128 v63, v[41:44] offset:16384
	s_waitcnt lgkmcnt(6)
	v_mul_f64 v[10:11], v[43:44], -v[23:24]
	v_mul_f64 v[29:30], v[43:44], v[21:22]
	ds_read_b128 v[1:4], v12 offset:16384
	s_waitcnt lgkmcnt(3)
	v_mul_f64 v[35:36], v[19:20], -v[27:28]
	v_mul_f64 v[19:20], v[19:20], v[25:26]
	v_mul_f64 v[43:44], v[33:34], v[27:28]
	v_mul_f64 v[33:34], v[33:34], -v[25:26]
	v_fma_f64 v[10:11], v[21:22], v[41:42], v[10:11]
	v_fma_f64 v[21:22], v[23:24], v[41:42], v[29:30]
	;; [unrolled: 1-line block ×4, first 2 shown]
	v_fma_f64 v[17:18], -v[25:26], v[31:32], v[43:44]
	v_fma_f64 v[19:20], -v[27:28], v[31:32], v[33:34]
	s_waitcnt lgkmcnt(0)
	v_add_f64 v[1:2], v[1:2], -v[10:11]
	v_add_f64 v[3:4], v[3:4], -v[21:22]
	ds_write_b128 v12, v[17:20]
	ds_write_b128 v12, v[1:4] offset:16384
	v_add_f64 v[21:22], v[45:46], -v[23:24]
	v_add_f64 v[23:24], v[47:48], -v[29:30]
	ds_read_b128 v[1:4], v63 offset:20464
	ds_read_b128 v[17:20], v63 offset:4080
	s_waitcnt lgkmcnt(1)
	v_mul_f64 v[10:11], v[3:4], -v[39:40]
	v_mul_f64 v[3:4], v[3:4], v[37:38]
	ds_write_b128 v12, v[21:24] offset:8192
	ds_read_b128 v[21:24], v14 offset:12272
	ds_read_b128 v[25:28], v14 offset:4080
	;; [unrolled: 1-line block ×4, first 2 shown]
	s_waitcnt lgkmcnt(3)
	v_mul_f64 v[41:42], v[23:24], -v[19:20]
	v_mul_f64 v[43:44], v[23:24], v[17:18]
	v_fma_f64 v[10:11], v[37:38], v[1:2], v[10:11]
	v_fma_f64 v[3:4], v[39:40], v[1:2], v[3:4]
	s_waitcnt lgkmcnt(1)
	v_mul_f64 v[45:46], v[23:24], v[31:32]
	v_mul_f64 v[31:32], v[31:32], -v[21:22]
	v_fma_f64 v[37:38], v[17:18], v[21:22], v[41:42]
	v_fma_f64 v[39:40], v[19:20], v[21:22], v[43:44]
	s_waitcnt lgkmcnt(0)
	v_add_f64 v[17:18], v[33:34], -v[10:11]
	v_add_f64 v[19:20], v[35:36], -v[3:4]
	v_fma_f64 v[1:2], -v[21:22], v[29:30], v[45:46]
	v_fma_f64 v[3:4], -v[23:24], v[29:30], v[31:32]
	v_add_f64 v[25:26], v[25:26], -v[37:38]
	v_add_f64 v[27:28], v[27:28], -v[39:40]
	ds_write_b128 v14, v[17:20] offset:20464
	ds_write_b128 v14, v[25:28] offset:4080
	ds_write_b128 v14, v[1:4] offset:12272
	s_branch .LBB322_13
.LBB322_16:
	s_and_saveexec_b64 s[18:19], s[0:1]
	s_cbranch_execnz .LBB322_19
; %bb.17:
	s_or_b64 exec, exec, s[18:19]
	v_cmp_eq_u32_e32 vcc, 0, v0
	s_and_saveexec_b64 s[0:1], vcc
	s_cbranch_execnz .LBB322_23
.LBB322_18:
	s_endpgm
.LBB322_19:
	s_cmp_eq_u32 s7, 0
	s_cbranch_scc1 .LBB322_27
; %bb.20:
	s_mul_i32 s20, s20, 31
	s_cbranch_execnz .LBB322_22
.LBB322_21:
	v_ashrrev_i32_e32 v14, 31, v13
	ds_read2_b64 v[1:4], v16 offset1:1
	v_lshlrev_b64 v[10:11], 4, v[13:14]
	v_mov_b32_e32 v12, s9
	v_add_co_u32_e32 v20, vcc, s8, v10
	v_addc_co_u32_e32 v21, vcc, v12, v11, vcc
	ds_read2_b64 v[16:19], v8 offset1:1
	s_waitcnt lgkmcnt(1)
	global_store_dwordx4 v[20:21], v[1:4], off
	v_mov_b32_e32 v8, s11
	v_add_u32_e32 v1, s21, v13
	v_mov_b32_e32 v2, 0
	v_lshlrev_b64 v[20:21], 4, v[1:2]
	v_mov_b32_e32 v2, s9
	v_add_co_u32_e32 v1, vcc, s8, v20
	v_addc_co_u32_e32 v2, vcc, v2, v21, vcc
	s_waitcnt lgkmcnt(0)
	global_store_dwordx4 v[1:2], v[16:19], off
	ds_read2_b64 v[1:4], v15 offset1:1
	v_add_co_u32_e32 v14, vcc, s10, v10
	v_addc_co_u32_e32 v15, vcc, v8, v11, vcc
	ds_read2_b64 v[10:13], v6 offset1:1
	s_waitcnt lgkmcnt(1)
	global_store_dwordx4 v[14:15], v[1:4], off
	s_mov_b32 s20, s21
	v_mov_b32_e32 v2, s11
	v_add_co_u32_e32 v1, vcc, s10, v20
	v_addc_co_u32_e32 v2, vcc, v2, v21, vcc
	s_waitcnt lgkmcnt(0)
	global_store_dwordx4 v[1:2], v[10:13], off
.LBB322_22:
	v_ashrrev_i32_e32 v8, 31, v7
	ds_read2_b64 v[1:4], v9 offset1:1
	v_lshlrev_b64 v[10:11], 4, v[7:8]
	v_mov_b32_e32 v6, s17
	v_add_co_u32_e32 v12, vcc, s16, v10
	v_addc_co_u32_e32 v13, vcc, v6, v11, vcc
	ds_read2_b64 v[8:11], v5 offset1:1
	s_waitcnt lgkmcnt(1)
	global_store_dwordx4 v[12:13], v[1:4], off
	s_nop 0
	v_add_u32_e32 v1, s20, v7
	v_mov_b32_e32 v2, 0
	v_lshlrev_b64 v[1:2], 4, v[1:2]
	v_mov_b32_e32 v3, s17
	v_add_co_u32_e32 v1, vcc, s16, v1
	v_addc_co_u32_e32 v2, vcc, v3, v2, vcc
	s_waitcnt lgkmcnt(0)
	global_store_dwordx4 v[1:2], v[8:11], off
	s_or_b64 exec, exec, s[18:19]
	v_cmp_eq_u32_e32 vcc, 0, v0
	s_and_saveexec_b64 s[0:1], vcc
	s_cbranch_execz .LBB322_18
.LBB322_23:
	s_cmp_eq_u32 s7, 0
	s_cbranch_scc1 .LBB322_28
; %bb.24:
	s_load_dword s8, s[4:5], 0x50
	s_cbranch_execnz .LBB322_26
.LBB322_25:
	v_mov_b32_e32 v8, 0
	ds_read_b128 v[0:3], v8 offset:8192
	ds_read_b128 v[4:7], v8 offset:16368
	s_waitcnt lgkmcnt(0)
	s_load_dword s8, s[4:5], 0x50
	s_mov_b32 s0, s7
	s_ashr_i32 s7, s6, 31
	s_lshl_b64 s[10:11], s[6:7], 4
	s_mov_b32 s7, s0
	s_add_u32 s0, s14, s10
	s_addc_u32 s1, s15, s11
	global_store_dwordx4 v8, v[0:3], s[0:1]
	s_waitcnt lgkmcnt(0)
	s_add_i32 s0, s8, s6
	s_mov_b32 s1, 0
	s_lshl_b64 s[0:1], s[0:1], 4
	s_add_u32 s4, s14, s0
	s_addc_u32 s5, s15, s1
	ds_read_b128 v[0:3], v8
	global_store_dwordx4 v8, v[4:7], s[4:5]
	ds_read_b128 v[4:7], v8 offset:8176
	s_add_u32 s4, s2, s10
	s_addc_u32 s5, s3, s11
	s_add_u32 s0, s2, s0
	s_addc_u32 s1, s3, s1
	s_waitcnt lgkmcnt(1)
	global_store_dwordx4 v8, v[0:3], s[4:5]
	s_waitcnt lgkmcnt(0)
	global_store_dwordx4 v8, v[4:7], s[0:1]
.LBB322_26:
	s_waitcnt lgkmcnt(0)
	s_mul_i32 s0, s8, s7
	s_lshl_b32 s0, s0, 1
	s_add_i32 s0, s0, s6
	s_mov_b32 s1, 0
	v_mov_b32_e32 v8, 0
	s_lshl_b64 s[2:3], s[0:1], 4
	ds_read_b128 v[0:3], v8 offset:16384
	ds_read_b128 v[4:7], v8 offset:24560
	s_add_u32 s2, s12, s2
	s_addc_u32 s3, s13, s3
	s_add_i32 s0, s0, s8
	s_lshl_b64 s[0:1], s[0:1], 4
	s_add_u32 s0, s12, s0
	s_addc_u32 s1, s13, s1
	s_waitcnt lgkmcnt(1)
	global_store_dwordx4 v8, v[0:3], s[2:3]
	s_waitcnt lgkmcnt(0)
	global_store_dwordx4 v8, v[4:7], s[0:1]
	s_endpgm
.LBB322_27:
                                        ; implicit-def: $sgpr20
	s_branch .LBB322_21
.LBB322_28:
                                        ; implicit-def: $sgpr8
	s_branch .LBB322_25
	.section	.rodata,"a",@progbits
	.p2align	6, 0x0
	.amdhsa_kernel _ZN9rocsparseL29gtsv_spike_block_level_kernelILj256ELj32E21rocsparse_complex_numIdEEEviiiPT1_PKS3_S6_S4_S4_S4_S4_S4_
		.amdhsa_group_segment_fixed_size 24576
		.amdhsa_private_segment_fixed_size 0
		.amdhsa_kernarg_size 336
		.amdhsa_user_sgpr_count 6
		.amdhsa_user_sgpr_private_segment_buffer 1
		.amdhsa_user_sgpr_dispatch_ptr 0
		.amdhsa_user_sgpr_queue_ptr 0
		.amdhsa_user_sgpr_kernarg_segment_ptr 1
		.amdhsa_user_sgpr_dispatch_id 0
		.amdhsa_user_sgpr_flat_scratch_init 0
		.amdhsa_user_sgpr_private_segment_size 0
		.amdhsa_uses_dynamic_stack 0
		.amdhsa_system_sgpr_private_segment_wavefront_offset 0
		.amdhsa_system_sgpr_workgroup_id_x 1
		.amdhsa_system_sgpr_workgroup_id_y 1
		.amdhsa_system_sgpr_workgroup_id_z 0
		.amdhsa_system_sgpr_workgroup_info 0
		.amdhsa_system_vgpr_workitem_id 0
		.amdhsa_next_free_vgpr 85
		.amdhsa_next_free_sgpr 98
		.amdhsa_reserve_vcc 1
		.amdhsa_reserve_flat_scratch 0
		.amdhsa_float_round_mode_32 0
		.amdhsa_float_round_mode_16_64 0
		.amdhsa_float_denorm_mode_32 3
		.amdhsa_float_denorm_mode_16_64 3
		.amdhsa_dx10_clamp 1
		.amdhsa_ieee_mode 1
		.amdhsa_fp16_overflow 0
		.amdhsa_exception_fp_ieee_invalid_op 0
		.amdhsa_exception_fp_denorm_src 0
		.amdhsa_exception_fp_ieee_div_zero 0
		.amdhsa_exception_fp_ieee_overflow 0
		.amdhsa_exception_fp_ieee_underflow 0
		.amdhsa_exception_fp_ieee_inexact 0
		.amdhsa_exception_int_div_zero 0
	.end_amdhsa_kernel
	.section	.text._ZN9rocsparseL29gtsv_spike_block_level_kernelILj256ELj32E21rocsparse_complex_numIdEEEviiiPT1_PKS3_S6_S4_S4_S4_S4_S4_,"axG",@progbits,_ZN9rocsparseL29gtsv_spike_block_level_kernelILj256ELj32E21rocsparse_complex_numIdEEEviiiPT1_PKS3_S6_S4_S4_S4_S4_S4_,comdat
.Lfunc_end322:
	.size	_ZN9rocsparseL29gtsv_spike_block_level_kernelILj256ELj32E21rocsparse_complex_numIdEEEviiiPT1_PKS3_S6_S4_S4_S4_S4_S4_, .Lfunc_end322-_ZN9rocsparseL29gtsv_spike_block_level_kernelILj256ELj32E21rocsparse_complex_numIdEEEviiiPT1_PKS3_S6_S4_S4_S4_S4_S4_
                                        ; -- End function
	.set _ZN9rocsparseL29gtsv_spike_block_level_kernelILj256ELj32E21rocsparse_complex_numIdEEEviiiPT1_PKS3_S6_S4_S4_S4_S4_S4_.num_vgpr, 64
	.set _ZN9rocsparseL29gtsv_spike_block_level_kernelILj256ELj32E21rocsparse_complex_numIdEEEviiiPT1_PKS3_S6_S4_S4_S4_S4_S4_.num_agpr, 0
	.set _ZN9rocsparseL29gtsv_spike_block_level_kernelILj256ELj32E21rocsparse_complex_numIdEEEviiiPT1_PKS3_S6_S4_S4_S4_S4_S4_.numbered_sgpr, 26
	.set _ZN9rocsparseL29gtsv_spike_block_level_kernelILj256ELj32E21rocsparse_complex_numIdEEEviiiPT1_PKS3_S6_S4_S4_S4_S4_S4_.num_named_barrier, 0
	.set _ZN9rocsparseL29gtsv_spike_block_level_kernelILj256ELj32E21rocsparse_complex_numIdEEEviiiPT1_PKS3_S6_S4_S4_S4_S4_S4_.private_seg_size, 0
	.set _ZN9rocsparseL29gtsv_spike_block_level_kernelILj256ELj32E21rocsparse_complex_numIdEEEviiiPT1_PKS3_S6_S4_S4_S4_S4_S4_.uses_vcc, 1
	.set _ZN9rocsparseL29gtsv_spike_block_level_kernelILj256ELj32E21rocsparse_complex_numIdEEEviiiPT1_PKS3_S6_S4_S4_S4_S4_S4_.uses_flat_scratch, 0
	.set _ZN9rocsparseL29gtsv_spike_block_level_kernelILj256ELj32E21rocsparse_complex_numIdEEEviiiPT1_PKS3_S6_S4_S4_S4_S4_S4_.has_dyn_sized_stack, 0
	.set _ZN9rocsparseL29gtsv_spike_block_level_kernelILj256ELj32E21rocsparse_complex_numIdEEEviiiPT1_PKS3_S6_S4_S4_S4_S4_S4_.has_recursion, 0
	.set _ZN9rocsparseL29gtsv_spike_block_level_kernelILj256ELj32E21rocsparse_complex_numIdEEEviiiPT1_PKS3_S6_S4_S4_S4_S4_S4_.has_indirect_call, 0
	.section	.AMDGPU.csdata,"",@progbits
; Kernel info:
; codeLenInByte = 2364
; TotalNumSgprs: 30
; NumVgprs: 64
; ScratchSize: 0
; MemoryBound: 1
; FloatMode: 240
; IeeeMode: 1
; LDSByteSize: 24576 bytes/workgroup (compile time only)
; SGPRBlocks: 12
; VGPRBlocks: 21
; NumSGPRsForWavesPerEU: 102
; NumVGPRsForWavesPerEU: 85
; Occupancy: 2
; WaveLimiterHint : 0
; COMPUTE_PGM_RSRC2:SCRATCH_EN: 0
; COMPUTE_PGM_RSRC2:USER_SGPR: 6
; COMPUTE_PGM_RSRC2:TRAP_HANDLER: 0
; COMPUTE_PGM_RSRC2:TGID_X_EN: 1
; COMPUTE_PGM_RSRC2:TGID_Y_EN: 1
; COMPUTE_PGM_RSRC2:TGID_Z_EN: 0
; COMPUTE_PGM_RSRC2:TIDIG_COMP_CNT: 0
	.section	.text._ZN9rocsparseL33gtsv_solve_spike_propagate_kernelILj256ELj32E21rocsparse_complex_numIdEEEviiiPT1_PKS3_S6_S6_,"axG",@progbits,_ZN9rocsparseL33gtsv_solve_spike_propagate_kernelILj256ELj32E21rocsparse_complex_numIdEEEviiiPT1_PKS3_S6_S6_,comdat
	.globl	_ZN9rocsparseL33gtsv_solve_spike_propagate_kernelILj256ELj32E21rocsparse_complex_numIdEEEviiiPT1_PKS3_S6_S6_ ; -- Begin function _ZN9rocsparseL33gtsv_solve_spike_propagate_kernelILj256ELj32E21rocsparse_complex_numIdEEEviiiPT1_PKS3_S6_S6_
	.p2align	8
	.type	_ZN9rocsparseL33gtsv_solve_spike_propagate_kernelILj256ELj32E21rocsparse_complex_numIdEEEviiiPT1_PKS3_S6_S6_,@function
_ZN9rocsparseL33gtsv_solve_spike_propagate_kernelILj256ELj32E21rocsparse_complex_numIdEEEviiiPT1_PKS3_S6_S6_: ; @_ZN9rocsparseL33gtsv_solve_spike_propagate_kernelILj256ELj32E21rocsparse_complex_numIdEEEviiiPT1_PKS3_S6_S6_
; %bb.0:
	s_load_dword s10, s[4:5], 0x0
	v_lshl_or_b32 v9, s6, 8, v0
	v_lshlrev_b32_e32 v11, 4, v0
	s_waitcnt lgkmcnt(0)
	s_lshr_b32 s20, s10, 5
	v_cmp_gt_i32_e32 vcc, s20, v9
	v_cmp_le_i32_e64 s[0:1], s20, v9
	s_and_saveexec_b64 s[2:3], s[0:1]
	s_xor_b64 s[2:3], exec, s[2:3]
; %bb.1:
	v_mov_b32_e32 v1, 0
	v_mov_b32_e32 v2, v1
	;; [unrolled: 1-line block ×4, first 2 shown]
	ds_write_b128 v11, v[1:4] offset:16416
; %bb.2:
	s_or_saveexec_b64 s[8:9], s[2:3]
	v_mov_b32_e32 v1, 0
	v_mov_b32_e32 v3, 0
	;; [unrolled: 1-line block ×4, first 2 shown]
	v_ashrrev_i32_e32 v10, 31, v9
	s_xor_b64 exec, exec, s[8:9]
	s_cbranch_execz .LBB323_4
; %bb.3:
	s_load_dwordx2 s[12:13], s[4:5], 0x18
	v_lshlrev_b64 v[1:2], 4, v[9:10]
	v_mad_u64_u32 v[3:4], s[2:3], s20, 31, v[9:10]
	s_waitcnt lgkmcnt(0)
	v_mov_b32_e32 v4, s13
	v_add_co_u32_e64 v12, s[2:3], s12, v1
	v_addc_co_u32_e64 v13, s[2:3], v4, v2, s[2:3]
	v_mov_b32_e32 v4, 0
	v_lshlrev_b64 v[1:2], 4, v[3:4]
	v_mov_b32_e32 v3, s13
	v_add_co_u32_e64 v14, s[2:3], s12, v1
	v_addc_co_u32_e64 v15, s[2:3], v3, v2, s[2:3]
	global_load_dwordx4 v[5:8], v[12:13], off
	global_load_dwordx4 v[1:4], v[14:15], off
	s_waitcnt vmcnt(1)
	ds_write_b128 v11, v[5:8] offset:16416
.LBB323_4:
	s_or_b64 exec, exec, s[8:9]
	s_waitcnt vmcnt(0)
	ds_write_b128 v11, v[1:4] offset:20512
	s_and_saveexec_b64 s[2:3], s[0:1]
	s_xor_b64 s[0:1], exec, s[2:3]
; %bb.5:
	v_mov_b32_e32 v1, 0
	v_mov_b32_e32 v2, v1
	;; [unrolled: 1-line block ×4, first 2 shown]
	ds_write_b128 v11, v[1:4] offset:8224
; %bb.6:
	s_or_saveexec_b64 s[8:9], s[0:1]
	s_load_dwordx2 s[2:3], s[4:5], 0x10
	v_mov_b32_e32 v3, 0
	v_mov_b32_e32 v5, 0
	;; [unrolled: 1-line block ×6, first 2 shown]
	s_xor_b64 exec, exec, s[8:9]
	s_cbranch_execz .LBB323_8
; %bb.7:
	s_load_dwordx2 s[12:13], s[4:5], 0x20
	v_lshlrev_b64 v[1:2], 4, v[9:10]
	v_mad_u64_u32 v[5:6], s[0:1], s20, 31, v[9:10]
	s_waitcnt lgkmcnt(0)
	v_mov_b32_e32 v6, s13
	v_add_co_u32_e64 v1, s[0:1], s12, v1
	v_addc_co_u32_e64 v2, s[0:1], v6, v2, s[0:1]
	v_mov_b32_e32 v6, 0
	v_lshlrev_b64 v[5:6], 4, v[5:6]
	v_mov_b32_e32 v7, s13
	v_add_co_u32_e64 v16, s[0:1], s12, v5
	v_addc_co_u32_e64 v17, s[0:1], v7, v6, s[0:1]
	global_load_dwordx4 v[12:15], v[1:2], off
	global_load_dwordx4 v[5:8], v[16:17], off
	s_waitcnt vmcnt(1)
	ds_write_b128 v11, v[12:15] offset:8224
.LBB323_8:
	s_or_b64 exec, exec, s[8:9]
	v_mov_b32_e32 v1, 0
	v_mov_b32_e32 v2, 0
	s_mul_i32 s10, s10, s7
	s_waitcnt vmcnt(0)
	ds_write_b128 v11, v[5:8] offset:12320
	s_and_saveexec_b64 s[8:9], vcc
	s_cbranch_execz .LBB323_10
; %bb.9:
	s_mul_i32 s0, s20, 31
	s_add_i32 s0, s0, s10
	v_add_u32_e32 v1, s0, v9
	v_mov_b32_e32 v2, 0
	v_lshlrev_b64 v[1:2], 4, v[1:2]
	s_waitcnt lgkmcnt(0)
	v_mov_b32_e32 v3, s3
	v_add_co_u32_e64 v1, s[0:1], s2, v1
	v_addc_co_u32_e64 v2, s[0:1], v3, v2, s[0:1]
	global_load_dwordx4 v[1:4], v[1:2], off
.LBB323_10:
	s_or_b64 exec, exec, s[8:9]
	s_waitcnt vmcnt(0)
	ds_write_b128 v11, v[1:4] offset:16
	v_mov_b32_e32 v3, 0
	v_mov_b32_e32 v1, 0
	v_mov_b32_e32 v4, 0
	v_mov_b32_e32 v2, 0
	v_add_u32_e32 v5, s10, v9
	s_and_saveexec_b64 s[8:9], vcc
	s_cbranch_execz .LBB323_12
; %bb.11:
	v_ashrrev_i32_e32 v6, 31, v5
	v_lshlrev_b64 v[1:2], 4, v[5:6]
	s_waitcnt lgkmcnt(0)
	v_mov_b32_e32 v3, s3
	v_add_co_u32_e64 v1, s[0:1], s2, v1
	v_addc_co_u32_e64 v2, s[0:1], v3, v2, s[0:1]
	global_load_dwordx4 v[1:4], v[1:2], off
.LBB323_12:
	s_or_b64 exec, exec, s[8:9]
	v_cmp_eq_u32_e64 s[0:1], 0, v0
	s_waitcnt vmcnt(0)
	ds_write_b128 v11, v[1:4] offset:4112
	s_waitcnt lgkmcnt(0)
	s_barrier
	s_and_saveexec_b64 s[16:17], s[0:1]
	s_cbranch_execz .LBB323_18
; %bb.13:
	s_load_dword s21, s[4:5], 0x30
	s_load_dwordx2 s[18:19], s[4:5], 0x28
	s_cmp_lt_i32 s6, 1
	s_mov_b64 s[10:11], 0
	s_mov_b64 s[14:15], 0
	s_waitcnt lgkmcnt(0)
	s_mul_i32 s7, s7, s21
	s_mov_b64 s[12:13], 0
	s_cbranch_scc1 .LBB323_15
; %bb.14:
	s_lshl_b32 s4, s7, 1
	s_add_i32 s5, s6, s21
	s_add_i32 s4, s5, s4
	s_add_i32 s4, s4, -1
	s_mov_b32 s5, 0
	s_lshl_b64 s[4:5], s[4:5], 4
	s_add_u32 s4, s18, s4
	s_addc_u32 s5, s19, s5
	s_load_dwordx4 s[12:15], s[4:5], 0x0
.LBB323_15:
	s_add_i32 s4, s21, -1
	s_waitcnt lgkmcnt(0)
	v_mov_b32_e32 v6, s12
	v_mov_b32_e32 v7, s13
	;; [unrolled: 1-line block ×5, first 2 shown]
	s_cmp_ge_u32 s6, s4
	s_mov_b64 s[8:9], 0
	ds_write_b128 v1, v[6:9]
	s_cbranch_scc1 .LBB323_17
; %bb.16:
	s_lshl_b32 s4, s7, 1
	s_add_i32 s4, s6, s4
	s_add_i32 s4, s4, 1
	s_mov_b32 s5, 0
	s_lshl_b64 s[4:5], s[4:5], 4
	s_add_u32 s4, s18, s4
	s_addc_u32 s5, s19, s5
	s_load_dwordx4 s[8:11], s[4:5], 0x0
.LBB323_17:
	s_lshl_b32 s4, s7, 1
	s_add_i32 s4, s4, s6
	s_mov_b32 s5, 0
	s_lshl_b64 s[6:7], s[4:5], 4
	s_add_u32 s6, s18, s6
	s_addc_u32 s7, s19, s7
	s_add_i32 s4, s4, s21
	s_lshl_b64 s[4:5], s[4:5], 4
	s_add_u32 s4, s18, s4
	s_addc_u32 s5, s19, s5
	global_load_dwordx4 v[6:9], v1, s[6:7]
	global_load_dwordx4 v[12:15], v1, s[4:5]
	s_waitcnt lgkmcnt(0)
	v_mov_b32_e32 v16, s8
	v_mov_b32_e32 v17, s9
	;; [unrolled: 1-line block ×4, first 2 shown]
	ds_write_b128 v1, v[16:19] offset:8208
	s_waitcnt vmcnt(1)
	ds_write_b128 v1, v[6:9] offset:4112
	s_waitcnt vmcnt(0)
	ds_write_b128 v1, v[12:15] offset:4096
.LBB323_18:
	s_or_b64 exec, exec, s[16:17]
	v_add_u32_e32 v1, 16, v11
	v_add_u32_e32 v2, 0x1010, v11
	s_waitcnt lgkmcnt(0)
	s_barrier
	s_and_saveexec_b64 s[4:5], s[0:1]
	s_cbranch_execz .LBB323_20
; %bb.19:
	v_mov_b32_e32 v42, 0
	ds_read_b128 v[6:9], v42 offset:8208
	ds_read_b128 v[10:13], v42 offset:14352
	;; [unrolled: 1-line block ×5, first 2 shown]
	ds_read_b128 v[26:29], v42
	ds_read_b128 v[30:33], v42 offset:22544
	ds_read_b128 v[34:37], v42 offset:18464
	s_waitcnt lgkmcnt(6)
	v_mul_f64 v[3:4], v[8:9], -v[12:13]
	v_mul_f64 v[38:39], v[8:9], v[10:11]
	s_waitcnt lgkmcnt(5)
	v_mul_f64 v[40:41], v[8:9], -v[16:17]
	v_mul_f64 v[8:9], v[8:9], v[14:15]
	v_fma_f64 v[3:4], v[10:11], v[6:7], v[3:4]
	v_fma_f64 v[10:11], v[12:13], v[6:7], v[38:39]
	s_waitcnt lgkmcnt(1)
	v_mul_f64 v[12:13], v[28:29], -v[32:33]
	v_mul_f64 v[38:39], v[28:29], v[30:31]
	v_fma_f64 v[14:15], v[14:15], v[6:7], v[40:41]
	s_waitcnt lgkmcnt(0)
	v_mul_f64 v[40:41], v[28:29], -v[36:37]
	v_mul_f64 v[28:29], v[28:29], v[34:35]
	v_fma_f64 v[6:7], v[16:17], v[6:7], v[8:9]
	v_add_f64 v[3:4], v[22:23], -v[3:4]
	v_add_f64 v[8:9], v[24:25], -v[10:11]
	v_fma_f64 v[10:11], v[30:31], v[26:27], v[12:13]
	v_fma_f64 v[12:13], v[32:33], v[26:27], v[38:39]
	v_add_f64 v[14:15], v[18:19], -v[14:15]
	v_fma_f64 v[16:17], v[34:35], v[26:27], v[40:41]
	v_fma_f64 v[18:19], v[36:37], v[26:27], v[28:29]
	v_add_f64 v[20:21], v[20:21], -v[6:7]
	v_add_f64 v[6:7], v[3:4], -v[10:11]
	;; [unrolled: 1-line block ×5, first 2 shown]
	ds_write_b128 v42, v[6:9] offset:2048
	ds_write_b128 v42, v[10:13] offset:6160
.LBB323_20:
	s_or_b64 exec, exec, s[4:5]
	v_cmp_gt_u32_e64 s[0:1], 2, v0
	s_waitcnt lgkmcnt(0)
	s_barrier
	s_and_saveexec_b64 s[4:5], s[0:1]
	s_cbranch_execz .LBB323_22
; %bb.21:
	v_lshlrev_b32_e32 v42, 11, v0
	ds_read_b128 v[6:9], v42 offset:6160
	ds_read_b128 v[10:13], v42 offset:13328
	ds_read_b128 v[14:17], v42 offset:9248
	ds_read_b128 v[18:21], v42 offset:5136
	ds_read_b128 v[22:25], v42 offset:1024
	ds_read_b128 v[26:29], v42
	ds_read_b128 v[30:33], v42 offset:21520
	ds_read_b128 v[34:37], v42 offset:17440
	s_waitcnt lgkmcnt(6)
	v_mul_f64 v[3:4], v[8:9], -v[12:13]
	v_mul_f64 v[38:39], v[8:9], v[10:11]
	s_waitcnt lgkmcnt(5)
	v_mul_f64 v[40:41], v[8:9], -v[16:17]
	v_mul_f64 v[8:9], v[8:9], v[14:15]
	v_fma_f64 v[3:4], v[10:11], v[6:7], v[3:4]
	v_fma_f64 v[10:11], v[12:13], v[6:7], v[38:39]
	s_waitcnt lgkmcnt(1)
	v_mul_f64 v[12:13], v[28:29], -v[32:33]
	v_mul_f64 v[38:39], v[28:29], v[30:31]
	v_fma_f64 v[14:15], v[14:15], v[6:7], v[40:41]
	s_waitcnt lgkmcnt(0)
	v_mul_f64 v[40:41], v[28:29], -v[36:37]
	v_mul_f64 v[28:29], v[28:29], v[34:35]
	v_fma_f64 v[6:7], v[16:17], v[6:7], v[8:9]
	v_add_f64 v[3:4], v[22:23], -v[3:4]
	v_add_f64 v[8:9], v[24:25], -v[10:11]
	v_fma_f64 v[10:11], v[30:31], v[26:27], v[12:13]
	v_fma_f64 v[12:13], v[32:33], v[26:27], v[38:39]
	v_add_f64 v[14:15], v[18:19], -v[14:15]
	v_fma_f64 v[16:17], v[34:35], v[26:27], v[40:41]
	v_fma_f64 v[18:19], v[36:37], v[26:27], v[28:29]
	v_add_f64 v[20:21], v[20:21], -v[6:7]
	v_add_f64 v[6:7], v[3:4], -v[10:11]
	v_add_f64 v[8:9], v[8:9], -v[12:13]
	v_add_f64 v[10:11], v[14:15], -v[16:17]
	v_add_f64 v[12:13], v[20:21], -v[18:19]
	ds_write_b128 v42, v[6:9] offset:1024
	ds_write_b128 v42, v[10:13] offset:5136
.LBB323_22:
	s_or_b64 exec, exec, s[4:5]
	v_cmp_gt_u32_e64 s[0:1], 4, v0
	s_waitcnt lgkmcnt(0)
	s_barrier
	s_and_saveexec_b64 s[4:5], s[0:1]
	s_cbranch_execz .LBB323_24
; %bb.23:
	v_lshlrev_b32_e32 v42, 10, v0
	ds_read_b128 v[6:9], v42 offset:5136
	ds_read_b128 v[10:13], v42 offset:12816
	ds_read_b128 v[14:17], v42 offset:8736
	ds_read_b128 v[18:21], v42 offset:4624
	ds_read_b128 v[22:25], v42 offset:512
	ds_read_b128 v[26:29], v42
	ds_read_b128 v[30:33], v42 offset:21008
	ds_read_b128 v[34:37], v42 offset:16928
	s_waitcnt lgkmcnt(6)
	v_mul_f64 v[3:4], v[8:9], -v[12:13]
	v_mul_f64 v[38:39], v[8:9], v[10:11]
	s_waitcnt lgkmcnt(5)
	v_mul_f64 v[40:41], v[8:9], -v[16:17]
	v_mul_f64 v[8:9], v[8:9], v[14:15]
	v_fma_f64 v[3:4], v[10:11], v[6:7], v[3:4]
	v_fma_f64 v[10:11], v[12:13], v[6:7], v[38:39]
	s_waitcnt lgkmcnt(1)
	v_mul_f64 v[12:13], v[28:29], -v[32:33]
	v_mul_f64 v[38:39], v[28:29], v[30:31]
	v_fma_f64 v[14:15], v[14:15], v[6:7], v[40:41]
	s_waitcnt lgkmcnt(0)
	v_mul_f64 v[40:41], v[28:29], -v[36:37]
	v_mul_f64 v[28:29], v[28:29], v[34:35]
	v_fma_f64 v[6:7], v[16:17], v[6:7], v[8:9]
	v_add_f64 v[3:4], v[22:23], -v[3:4]
	v_add_f64 v[8:9], v[24:25], -v[10:11]
	v_fma_f64 v[10:11], v[30:31], v[26:27], v[12:13]
	v_fma_f64 v[12:13], v[32:33], v[26:27], v[38:39]
	v_add_f64 v[14:15], v[18:19], -v[14:15]
	v_fma_f64 v[16:17], v[34:35], v[26:27], v[40:41]
	v_fma_f64 v[18:19], v[36:37], v[26:27], v[28:29]
	v_add_f64 v[20:21], v[20:21], -v[6:7]
	v_add_f64 v[6:7], v[3:4], -v[10:11]
	v_add_f64 v[8:9], v[8:9], -v[12:13]
	v_add_f64 v[10:11], v[14:15], -v[16:17]
	v_add_f64 v[12:13], v[20:21], -v[18:19]
	ds_write_b128 v42, v[6:9] offset:512
	ds_write_b128 v42, v[10:13] offset:4624
.LBB323_24:
	s_or_b64 exec, exec, s[4:5]
	v_cmp_gt_u32_e64 s[0:1], 8, v0
	s_waitcnt lgkmcnt(0)
	s_barrier
	s_and_saveexec_b64 s[4:5], s[0:1]
	s_cbranch_execz .LBB323_26
; %bb.25:
	v_lshlrev_b32_e32 v42, 9, v0
	ds_read_b128 v[6:9], v42 offset:4624
	ds_read_b128 v[10:13], v42 offset:12560
	ds_read_b128 v[14:17], v42 offset:8480
	ds_read_b128 v[18:21], v42 offset:4368
	ds_read_b128 v[22:25], v42 offset:256
	ds_read_b128 v[26:29], v42
	ds_read_b128 v[30:33], v42 offset:20752
	ds_read_b128 v[34:37], v42 offset:16672
	s_waitcnt lgkmcnt(6)
	v_mul_f64 v[3:4], v[8:9], -v[12:13]
	v_mul_f64 v[38:39], v[8:9], v[10:11]
	s_waitcnt lgkmcnt(5)
	v_mul_f64 v[40:41], v[8:9], -v[16:17]
	v_mul_f64 v[8:9], v[8:9], v[14:15]
	v_fma_f64 v[3:4], v[10:11], v[6:7], v[3:4]
	v_fma_f64 v[10:11], v[12:13], v[6:7], v[38:39]
	s_waitcnt lgkmcnt(1)
	v_mul_f64 v[12:13], v[28:29], -v[32:33]
	v_mul_f64 v[38:39], v[28:29], v[30:31]
	v_fma_f64 v[14:15], v[14:15], v[6:7], v[40:41]
	s_waitcnt lgkmcnt(0)
	v_mul_f64 v[40:41], v[28:29], -v[36:37]
	v_mul_f64 v[28:29], v[28:29], v[34:35]
	v_fma_f64 v[6:7], v[16:17], v[6:7], v[8:9]
	v_add_f64 v[3:4], v[22:23], -v[3:4]
	v_add_f64 v[8:9], v[24:25], -v[10:11]
	v_fma_f64 v[10:11], v[30:31], v[26:27], v[12:13]
	v_fma_f64 v[12:13], v[32:33], v[26:27], v[38:39]
	v_add_f64 v[14:15], v[18:19], -v[14:15]
	v_fma_f64 v[16:17], v[34:35], v[26:27], v[40:41]
	v_fma_f64 v[18:19], v[36:37], v[26:27], v[28:29]
	v_add_f64 v[20:21], v[20:21], -v[6:7]
	v_add_f64 v[6:7], v[3:4], -v[10:11]
	v_add_f64 v[8:9], v[8:9], -v[12:13]
	v_add_f64 v[10:11], v[14:15], -v[16:17]
	v_add_f64 v[12:13], v[20:21], -v[18:19]
	ds_write_b128 v42, v[6:9] offset:256
	ds_write_b128 v42, v[10:13] offset:4368
.LBB323_26:
	s_or_b64 exec, exec, s[4:5]
	v_cmp_gt_u32_e64 s[0:1], 16, v0
	s_waitcnt lgkmcnt(0)
	s_barrier
	s_and_saveexec_b64 s[4:5], s[0:1]
	s_cbranch_execz .LBB323_28
; %bb.27:
	v_lshlrev_b32_e32 v42, 8, v0
	ds_read_b128 v[6:9], v42 offset:4368
	ds_read_b128 v[10:13], v42 offset:12432
	ds_read_b128 v[14:17], v42 offset:8352
	ds_read_b128 v[18:21], v42 offset:4240
	ds_read_b128 v[22:25], v42 offset:128
	ds_read_b128 v[26:29], v42
	ds_read_b128 v[30:33], v42 offset:20624
	ds_read_b128 v[34:37], v42 offset:16544
	s_waitcnt lgkmcnt(6)
	v_mul_f64 v[3:4], v[8:9], -v[12:13]
	v_mul_f64 v[38:39], v[8:9], v[10:11]
	s_waitcnt lgkmcnt(5)
	v_mul_f64 v[40:41], v[8:9], -v[16:17]
	v_mul_f64 v[8:9], v[8:9], v[14:15]
	v_fma_f64 v[3:4], v[10:11], v[6:7], v[3:4]
	v_fma_f64 v[10:11], v[12:13], v[6:7], v[38:39]
	s_waitcnt lgkmcnt(1)
	v_mul_f64 v[12:13], v[28:29], -v[32:33]
	v_mul_f64 v[38:39], v[28:29], v[30:31]
	v_fma_f64 v[14:15], v[14:15], v[6:7], v[40:41]
	s_waitcnt lgkmcnt(0)
	v_mul_f64 v[40:41], v[28:29], -v[36:37]
	v_mul_f64 v[28:29], v[28:29], v[34:35]
	v_fma_f64 v[6:7], v[16:17], v[6:7], v[8:9]
	v_add_f64 v[3:4], v[22:23], -v[3:4]
	v_add_f64 v[8:9], v[24:25], -v[10:11]
	v_fma_f64 v[10:11], v[30:31], v[26:27], v[12:13]
	v_fma_f64 v[12:13], v[32:33], v[26:27], v[38:39]
	v_add_f64 v[14:15], v[18:19], -v[14:15]
	v_fma_f64 v[16:17], v[34:35], v[26:27], v[40:41]
	v_fma_f64 v[18:19], v[36:37], v[26:27], v[28:29]
	v_add_f64 v[20:21], v[20:21], -v[6:7]
	v_add_f64 v[6:7], v[3:4], -v[10:11]
	v_add_f64 v[8:9], v[8:9], -v[12:13]
	v_add_f64 v[10:11], v[14:15], -v[16:17]
	v_add_f64 v[12:13], v[20:21], -v[18:19]
	ds_write_b128 v42, v[6:9] offset:128
	ds_write_b128 v42, v[10:13] offset:4240
.LBB323_28:
	s_or_b64 exec, exec, s[4:5]
	v_cmp_gt_u32_e64 s[0:1], 32, v0
	s_waitcnt lgkmcnt(0)
	s_barrier
	s_and_saveexec_b64 s[4:5], s[0:1]
	s_cbranch_execz .LBB323_30
; %bb.29:
	v_lshlrev_b32_e32 v42, 7, v0
	ds_read_b128 v[6:9], v42 offset:4240
	ds_read_b128 v[10:13], v42 offset:12368
	ds_read_b128 v[14:17], v42 offset:8288
	ds_read_b128 v[18:21], v42 offset:4176
	ds_read_b128 v[22:25], v42 offset:64
	ds_read_b128 v[26:29], v42
	ds_read_b128 v[30:33], v42 offset:20560
	ds_read_b128 v[34:37], v42 offset:16480
	s_waitcnt lgkmcnt(6)
	v_mul_f64 v[3:4], v[8:9], -v[12:13]
	v_mul_f64 v[38:39], v[8:9], v[10:11]
	s_waitcnt lgkmcnt(5)
	v_mul_f64 v[40:41], v[8:9], -v[16:17]
	v_mul_f64 v[8:9], v[8:9], v[14:15]
	v_fma_f64 v[3:4], v[10:11], v[6:7], v[3:4]
	v_fma_f64 v[10:11], v[12:13], v[6:7], v[38:39]
	s_waitcnt lgkmcnt(1)
	v_mul_f64 v[12:13], v[28:29], -v[32:33]
	v_mul_f64 v[38:39], v[28:29], v[30:31]
	v_fma_f64 v[14:15], v[14:15], v[6:7], v[40:41]
	s_waitcnt lgkmcnt(0)
	v_mul_f64 v[40:41], v[28:29], -v[36:37]
	v_mul_f64 v[28:29], v[28:29], v[34:35]
	v_fma_f64 v[6:7], v[16:17], v[6:7], v[8:9]
	v_add_f64 v[3:4], v[22:23], -v[3:4]
	v_add_f64 v[8:9], v[24:25], -v[10:11]
	v_fma_f64 v[10:11], v[30:31], v[26:27], v[12:13]
	v_fma_f64 v[12:13], v[32:33], v[26:27], v[38:39]
	v_add_f64 v[14:15], v[18:19], -v[14:15]
	v_fma_f64 v[16:17], v[34:35], v[26:27], v[40:41]
	v_fma_f64 v[18:19], v[36:37], v[26:27], v[28:29]
	v_add_f64 v[20:21], v[20:21], -v[6:7]
	v_add_f64 v[6:7], v[3:4], -v[10:11]
	v_add_f64 v[8:9], v[8:9], -v[12:13]
	v_add_f64 v[10:11], v[14:15], -v[16:17]
	v_add_f64 v[12:13], v[20:21], -v[18:19]
	ds_write_b128 v42, v[6:9] offset:64
	ds_write_b128 v42, v[10:13] offset:4176
.LBB323_30:
	s_or_b64 exec, exec, s[4:5]
	v_cmp_gt_u32_e64 s[0:1], 64, v0
	s_waitcnt lgkmcnt(0)
	s_barrier
	s_and_saveexec_b64 s[4:5], s[0:1]
	s_cbranch_execz .LBB323_32
; %bb.31:
	v_lshlrev_b32_e32 v42, 6, v0
	ds_read_b128 v[6:9], v42 offset:4176
	ds_read_b128 v[10:13], v42 offset:12336
	;; [unrolled: 1-line block ×4, first 2 shown]
	ds_read_b128 v[22:25], v42
	ds_read_b128 v[26:29], v42 offset:32
	ds_read_b128 v[30:33], v42 offset:20528
	;; [unrolled: 1-line block ×3, first 2 shown]
	s_waitcnt lgkmcnt(6)
	v_mul_f64 v[3:4], v[8:9], -v[12:13]
	v_mul_f64 v[38:39], v[8:9], v[10:11]
	s_waitcnt lgkmcnt(5)
	v_mul_f64 v[40:41], v[8:9], -v[16:17]
	v_mul_f64 v[8:9], v[8:9], v[14:15]
	v_fma_f64 v[3:4], v[10:11], v[6:7], v[3:4]
	v_fma_f64 v[10:11], v[12:13], v[6:7], v[38:39]
	s_waitcnt lgkmcnt(1)
	v_mul_f64 v[12:13], v[24:25], -v[32:33]
	v_mul_f64 v[38:39], v[24:25], v[30:31]
	v_fma_f64 v[14:15], v[14:15], v[6:7], v[40:41]
	s_waitcnt lgkmcnt(0)
	v_mul_f64 v[40:41], v[24:25], -v[36:37]
	v_mul_f64 v[24:25], v[24:25], v[34:35]
	v_fma_f64 v[6:7], v[16:17], v[6:7], v[8:9]
	v_add_f64 v[3:4], v[26:27], -v[3:4]
	v_add_f64 v[8:9], v[28:29], -v[10:11]
	v_fma_f64 v[10:11], v[30:31], v[22:23], v[12:13]
	v_fma_f64 v[12:13], v[32:33], v[22:23], v[38:39]
	v_add_f64 v[14:15], v[18:19], -v[14:15]
	v_fma_f64 v[16:17], v[34:35], v[22:23], v[40:41]
	v_fma_f64 v[18:19], v[36:37], v[22:23], v[24:25]
	v_add_f64 v[20:21], v[20:21], -v[6:7]
	v_add_f64 v[6:7], v[3:4], -v[10:11]
	;; [unrolled: 1-line block ×5, first 2 shown]
	ds_write_b128 v42, v[6:9] offset:32
	ds_write_b128 v42, v[10:13] offset:4144
.LBB323_32:
	s_or_b64 exec, exec, s[4:5]
	s_movk_i32 s0, 0x80
	v_cmp_gt_u32_e64 s[0:1], s0, v0
	s_waitcnt lgkmcnt(0)
	s_barrier
	s_and_saveexec_b64 s[4:5], s[0:1]
	s_cbranch_execz .LBB323_34
; %bb.33:
	v_lshlrev_b32_e32 v0, 5, v0
	ds_read_b128 v[6:9], v0 offset:4144
	ds_read_b128 v[10:13], v0 offset:12320
	;; [unrolled: 1-line block ×4, first 2 shown]
	ds_read_b128 v[22:25], v0
	ds_read_b128 v[26:29], v0 offset:16
	ds_read_b128 v[30:33], v0 offset:20512
	;; [unrolled: 1-line block ×3, first 2 shown]
	s_waitcnt lgkmcnt(6)
	v_mul_f64 v[3:4], v[8:9], -v[12:13]
	v_mul_f64 v[38:39], v[8:9], v[10:11]
	s_waitcnt lgkmcnt(5)
	v_mul_f64 v[40:41], v[8:9], -v[16:17]
	v_mul_f64 v[8:9], v[8:9], v[14:15]
	v_fma_f64 v[3:4], v[10:11], v[6:7], v[3:4]
	v_fma_f64 v[10:11], v[12:13], v[6:7], v[38:39]
	s_waitcnt lgkmcnt(1)
	v_mul_f64 v[12:13], v[24:25], -v[32:33]
	v_mul_f64 v[38:39], v[24:25], v[30:31]
	v_fma_f64 v[14:15], v[14:15], v[6:7], v[40:41]
	s_waitcnt lgkmcnt(0)
	v_mul_f64 v[40:41], v[24:25], -v[36:37]
	v_mul_f64 v[24:25], v[24:25], v[34:35]
	v_fma_f64 v[6:7], v[16:17], v[6:7], v[8:9]
	v_add_f64 v[3:4], v[26:27], -v[3:4]
	v_add_f64 v[8:9], v[28:29], -v[10:11]
	v_fma_f64 v[10:11], v[30:31], v[22:23], v[12:13]
	v_fma_f64 v[12:13], v[32:33], v[22:23], v[38:39]
	v_add_f64 v[14:15], v[18:19], -v[14:15]
	v_fma_f64 v[16:17], v[34:35], v[22:23], v[40:41]
	v_fma_f64 v[18:19], v[36:37], v[22:23], v[24:25]
	v_add_f64 v[20:21], v[20:21], -v[6:7]
	v_add_f64 v[6:7], v[3:4], -v[10:11]
	;; [unrolled: 1-line block ×5, first 2 shown]
	ds_write_b128 v0, v[6:9] offset:16
	ds_write_b128 v0, v[10:13] offset:4128
.LBB323_34:
	s_or_b64 exec, exec, s[4:5]
	s_waitcnt lgkmcnt(0)
	s_barrier
	s_and_saveexec_b64 s[0:1], vcc
	s_cbranch_execz .LBB323_36
; %bb.35:
	v_ashrrev_i32_e32 v6, 31, v5
	v_lshlrev_b64 v[3:4], 4, v[5:6]
	ds_read2_b64 v[6:9], v2 offset1:1
	v_mov_b32_e32 v0, s3
	v_add_co_u32_e32 v10, vcc, s2, v3
	v_addc_co_u32_e32 v11, vcc, v0, v4, vcc
	s_waitcnt lgkmcnt(0)
	v_mad_u64_u32 v[4:5], s[0:1], s20, 31, v[5:6]
	ds_read2_b64 v[0:3], v1 offset1:1
	v_mov_b32_e32 v5, 0
	v_lshlrev_b64 v[4:5], 4, v[4:5]
	global_store_dwordx4 v[10:11], v[6:9], off
	v_add_co_u32_e32 v4, vcc, s2, v4
	v_mov_b32_e32 v6, s3
	v_addc_co_u32_e32 v5, vcc, v6, v5, vcc
	s_waitcnt lgkmcnt(0)
	global_store_dwordx4 v[4:5], v[0:3], off
.LBB323_36:
	s_endpgm
	.section	.rodata,"a",@progbits
	.p2align	6, 0x0
	.amdhsa_kernel _ZN9rocsparseL33gtsv_solve_spike_propagate_kernelILj256ELj32E21rocsparse_complex_numIdEEEviiiPT1_PKS3_S6_S6_
		.amdhsa_group_segment_fixed_size 24608
		.amdhsa_private_segment_fixed_size 0
		.amdhsa_kernarg_size 304
		.amdhsa_user_sgpr_count 6
		.amdhsa_user_sgpr_private_segment_buffer 1
		.amdhsa_user_sgpr_dispatch_ptr 0
		.amdhsa_user_sgpr_queue_ptr 0
		.amdhsa_user_sgpr_kernarg_segment_ptr 1
		.amdhsa_user_sgpr_dispatch_id 0
		.amdhsa_user_sgpr_flat_scratch_init 0
		.amdhsa_user_sgpr_private_segment_size 0
		.amdhsa_uses_dynamic_stack 0
		.amdhsa_system_sgpr_private_segment_wavefront_offset 0
		.amdhsa_system_sgpr_workgroup_id_x 1
		.amdhsa_system_sgpr_workgroup_id_y 1
		.amdhsa_system_sgpr_workgroup_id_z 0
		.amdhsa_system_sgpr_workgroup_info 0
		.amdhsa_system_vgpr_workitem_id 0
		.amdhsa_next_free_vgpr 85
		.amdhsa_next_free_sgpr 98
		.amdhsa_reserve_vcc 1
		.amdhsa_reserve_flat_scratch 0
		.amdhsa_float_round_mode_32 0
		.amdhsa_float_round_mode_16_64 0
		.amdhsa_float_denorm_mode_32 3
		.amdhsa_float_denorm_mode_16_64 3
		.amdhsa_dx10_clamp 1
		.amdhsa_ieee_mode 1
		.amdhsa_fp16_overflow 0
		.amdhsa_exception_fp_ieee_invalid_op 0
		.amdhsa_exception_fp_denorm_src 0
		.amdhsa_exception_fp_ieee_div_zero 0
		.amdhsa_exception_fp_ieee_overflow 0
		.amdhsa_exception_fp_ieee_underflow 0
		.amdhsa_exception_fp_ieee_inexact 0
		.amdhsa_exception_int_div_zero 0
	.end_amdhsa_kernel
	.section	.text._ZN9rocsparseL33gtsv_solve_spike_propagate_kernelILj256ELj32E21rocsparse_complex_numIdEEEviiiPT1_PKS3_S6_S6_,"axG",@progbits,_ZN9rocsparseL33gtsv_solve_spike_propagate_kernelILj256ELj32E21rocsparse_complex_numIdEEEviiiPT1_PKS3_S6_S6_,comdat
.Lfunc_end323:
	.size	_ZN9rocsparseL33gtsv_solve_spike_propagate_kernelILj256ELj32E21rocsparse_complex_numIdEEEviiiPT1_PKS3_S6_S6_, .Lfunc_end323-_ZN9rocsparseL33gtsv_solve_spike_propagate_kernelILj256ELj32E21rocsparse_complex_numIdEEEviiiPT1_PKS3_S6_S6_
                                        ; -- End function
	.set _ZN9rocsparseL33gtsv_solve_spike_propagate_kernelILj256ELj32E21rocsparse_complex_numIdEEEviiiPT1_PKS3_S6_S6_.num_vgpr, 43
	.set _ZN9rocsparseL33gtsv_solve_spike_propagate_kernelILj256ELj32E21rocsparse_complex_numIdEEEviiiPT1_PKS3_S6_S6_.num_agpr, 0
	.set _ZN9rocsparseL33gtsv_solve_spike_propagate_kernelILj256ELj32E21rocsparse_complex_numIdEEEviiiPT1_PKS3_S6_S6_.numbered_sgpr, 22
	.set _ZN9rocsparseL33gtsv_solve_spike_propagate_kernelILj256ELj32E21rocsparse_complex_numIdEEEviiiPT1_PKS3_S6_S6_.num_named_barrier, 0
	.set _ZN9rocsparseL33gtsv_solve_spike_propagate_kernelILj256ELj32E21rocsparse_complex_numIdEEEviiiPT1_PKS3_S6_S6_.private_seg_size, 0
	.set _ZN9rocsparseL33gtsv_solve_spike_propagate_kernelILj256ELj32E21rocsparse_complex_numIdEEEviiiPT1_PKS3_S6_S6_.uses_vcc, 1
	.set _ZN9rocsparseL33gtsv_solve_spike_propagate_kernelILj256ELj32E21rocsparse_complex_numIdEEEviiiPT1_PKS3_S6_S6_.uses_flat_scratch, 0
	.set _ZN9rocsparseL33gtsv_solve_spike_propagate_kernelILj256ELj32E21rocsparse_complex_numIdEEEviiiPT1_PKS3_S6_S6_.has_dyn_sized_stack, 0
	.set _ZN9rocsparseL33gtsv_solve_spike_propagate_kernelILj256ELj32E21rocsparse_complex_numIdEEEviiiPT1_PKS3_S6_S6_.has_recursion, 0
	.set _ZN9rocsparseL33gtsv_solve_spike_propagate_kernelILj256ELj32E21rocsparse_complex_numIdEEEviiiPT1_PKS3_S6_S6_.has_indirect_call, 0
	.section	.AMDGPU.csdata,"",@progbits
; Kernel info:
; codeLenInByte = 3596
; TotalNumSgprs: 26
; NumVgprs: 43
; ScratchSize: 0
; MemoryBound: 0
; FloatMode: 240
; IeeeMode: 1
; LDSByteSize: 24608 bytes/workgroup (compile time only)
; SGPRBlocks: 12
; VGPRBlocks: 21
; NumSGPRsForWavesPerEU: 102
; NumVGPRsForWavesPerEU: 85
; Occupancy: 2
; WaveLimiterHint : 0
; COMPUTE_PGM_RSRC2:SCRATCH_EN: 0
; COMPUTE_PGM_RSRC2:USER_SGPR: 6
; COMPUTE_PGM_RSRC2:TRAP_HANDLER: 0
; COMPUTE_PGM_RSRC2:TGID_X_EN: 1
; COMPUTE_PGM_RSRC2:TGID_Y_EN: 1
; COMPUTE_PGM_RSRC2:TGID_Z_EN: 0
; COMPUTE_PGM_RSRC2:TIDIG_COMP_CNT: 0
	.section	.text._ZN9rocsparseL39gtsv_spike_backward_substitution_kernelILj256ELj32E21rocsparse_complex_numIdEEEviiiPT1_PKS3_S6_,"axG",@progbits,_ZN9rocsparseL39gtsv_spike_backward_substitution_kernelILj256ELj32E21rocsparse_complex_numIdEEEviiiPT1_PKS3_S6_,comdat
	.globl	_ZN9rocsparseL39gtsv_spike_backward_substitution_kernelILj256ELj32E21rocsparse_complex_numIdEEEviiiPT1_PKS3_S6_ ; -- Begin function _ZN9rocsparseL39gtsv_spike_backward_substitution_kernelILj256ELj32E21rocsparse_complex_numIdEEEviiiPT1_PKS3_S6_
	.p2align	8
	.type	_ZN9rocsparseL39gtsv_spike_backward_substitution_kernelILj256ELj32E21rocsparse_complex_numIdEEEviiiPT1_PKS3_S6_,@function
_ZN9rocsparseL39gtsv_spike_backward_substitution_kernelILj256ELj32E21rocsparse_complex_numIdEEEviiiPT1_PKS3_S6_: ; @_ZN9rocsparseL39gtsv_spike_backward_substitution_kernelILj256ELj32E21rocsparse_complex_numIdEEEviiiPT1_PKS3_S6_
; %bb.0:
	s_load_dword s12, s[4:5], 0x0
	s_lshl_b32 s6, s6, 8
	v_or_b32_e32 v9, s6, v0
	s_waitcnt lgkmcnt(0)
	s_lshr_b32 s10, s12, 5
	v_cmp_gt_i32_e32 vcc, s10, v9
	s_and_saveexec_b64 s[0:1], vcc
	s_cbranch_execz .LBB324_9
; %bb.1:
	s_load_dwordx2 s[8:9], s[4:5], 0x10
	v_mov_b32_e32 v1, 0
	v_mov_b32_e32 v3, 0
	v_cmp_lt_i32_e32 vcc, 0, v9
	v_mov_b32_e32 v2, 0
	v_mov_b32_e32 v4, 0
	s_mul_i32 s11, s12, s7
	s_and_saveexec_b64 s[0:1], vcc
	s_cbranch_execz .LBB324_3
; %bb.2:
	s_mul_i32 s2, s10, 31
	s_mul_i32 s3, s12, s7
	s_add_i32 s2, s2, s3
	v_add3_u32 v1, v9, s2, -1
	v_mov_b32_e32 v2, 0
	v_lshlrev_b64 v[1:2], 4, v[1:2]
	s_waitcnt lgkmcnt(0)
	v_mov_b32_e32 v3, s9
	v_add_co_u32_e32 v1, vcc, s8, v1
	v_addc_co_u32_e32 v2, vcc, v3, v2, vcc
	global_load_dwordx4 v[1:4], v[1:2], off
.LBB324_3:
	s_or_b64 exec, exec, s[0:1]
	s_load_dwordx4 s[0:3], s[4:5], 0x18
	v_add_u32_e32 v5, 32, v9
	v_cmp_le_u32_e32 vcc, s12, v5
	s_and_saveexec_b64 s[4:5], vcc
	s_xor_b64 s[4:5], exec, s[4:5]
; %bb.4:
                                        ; implicit-def: $vgpr9
; %bb.5:
	s_or_saveexec_b64 s[4:5], s[4:5]
	v_mov_b32_e32 v5, 0
	v_mov_b32_e32 v7, 0
	;; [unrolled: 1-line block ×5, first 2 shown]
	s_xor_b64 exec, exec, s[4:5]
	s_cbranch_execz .LBB324_7
; %bb.6:
	s_ashr_i32 s7, s11, 31
	v_ashrrev_i32_e32 v6, 31, v9
	v_mov_b32_e32 v7, s7
	v_add_co_u32_e32 v5, vcc, s11, v9
	v_addc_co_u32_e32 v6, vcc, v6, v7, vcc
	v_lshlrev_b64 v[5:6], 4, v[5:6]
	s_waitcnt lgkmcnt(0)
	v_mov_b32_e32 v7, s9
	v_add_co_u32_e32 v5, vcc, s8, v5
	v_addc_co_u32_e32 v6, vcc, v7, v6, vcc
	global_load_dwordx4 v[5:8], v[5:6], off offset:16
	v_mov_b32_e32 v13, s11
.LBB324_7:
	s_or_b64 exec, exec, s[4:5]
	s_lshl_b32 s5, s10, 1
	s_mul_i32 s4, s10, 3
	v_add_u32_e32 v11, v0, v13
	v_add_u32_e32 v10, s5, v0
	;; [unrolled: 1-line block ×7, first 2 shown]
	s_mov_b32 s5, 30
	s_waitcnt lgkmcnt(0)
	v_mov_b32_e32 v14, s9
	v_mov_b32_e32 v15, s1
	;; [unrolled: 1-line block ×3, first 2 shown]
.LBB324_8:                              ; =>This Inner Loop Header: Depth=1
	v_add_u32_e32 v18, s6, v13
	v_ashrrev_i32_e32 v19, 31, v18
	v_lshlrev_b64 v[18:19], 4, v[18:19]
	v_add_u32_e32 v17, s6, v0
	v_add_co_u32_e32 v21, vcc, s8, v18
	v_ashrrev_i32_e32 v18, 31, v17
	v_lshlrev_b64 v[23:24], 4, v[17:18]
	v_addc_co_u32_e32 v22, vcc, v14, v19, vcc
	v_add_co_u32_e32 v17, vcc, s0, v23
	v_addc_co_u32_e32 v18, vcc, v15, v24, vcc
	global_load_dwordx4 v[17:20], v[17:18], off
	s_add_i32 s5, s5, -3
	v_add_u32_e32 v0, s4, v0
	v_add_u32_e32 v13, s4, v13
	s_cmp_lg_u32 s5, 0
	s_waitcnt vmcnt(0)
	v_mul_f64 v[25:26], v[3:4], -v[19:20]
	v_fma_f64 v[25:26], v[17:18], v[1:2], v[25:26]
	v_mul_f64 v[17:18], v[3:4], v[17:18]
	v_fma_f64 v[27:28], v[19:20], v[1:2], v[17:18]
	global_load_dwordx4 v[17:20], v[21:22], off
	s_waitcnt vmcnt(0)
	v_add_f64 v[25:26], v[17:18], -v[25:26]
	v_add_co_u32_e32 v17, vcc, s2, v23
	v_addc_co_u32_e32 v18, vcc, v16, v24, vcc
	v_add_f64 v[27:28], v[19:20], -v[27:28]
	global_load_dwordx4 v[17:20], v[17:18], off
	s_waitcnt vmcnt(0)
	v_mul_f64 v[23:24], v[7:8], -v[19:20]
	v_fma_f64 v[23:24], v[17:18], v[5:6], v[23:24]
	v_mul_f64 v[17:18], v[7:8], v[17:18]
	v_fma_f64 v[19:20], v[19:20], v[5:6], v[17:18]
	v_add_f64 v[17:18], v[25:26], -v[23:24]
	v_add_f64 v[19:20], v[27:28], -v[19:20]
	global_store_dwordx4 v[21:22], v[17:20], off
	s_nop 0
	v_add_u32_e32 v18, s6, v9
	v_ashrrev_i32_e32 v19, 31, v18
	v_lshlrev_b64 v[18:19], 4, v[18:19]
	v_add_u32_e32 v17, s6, v10
	v_add_co_u32_e32 v21, vcc, s8, v18
	v_ashrrev_i32_e32 v18, 31, v17
	v_lshlrev_b64 v[23:24], 4, v[17:18]
	v_addc_co_u32_e32 v22, vcc, v14, v19, vcc
	v_add_co_u32_e32 v17, vcc, s0, v23
	v_addc_co_u32_e32 v18, vcc, v15, v24, vcc
	global_load_dwordx4 v[17:20], v[17:18], off
	v_add_u32_e32 v9, s4, v9
	v_add_u32_e32 v10, s4, v10
	s_waitcnt vmcnt(0)
	v_mul_f64 v[25:26], v[3:4], -v[19:20]
	v_fma_f64 v[25:26], v[17:18], v[1:2], v[25:26]
	v_mul_f64 v[17:18], v[3:4], v[17:18]
	v_fma_f64 v[27:28], v[19:20], v[1:2], v[17:18]
	global_load_dwordx4 v[17:20], v[21:22], off
	s_waitcnt vmcnt(0)
	v_add_f64 v[25:26], v[17:18], -v[25:26]
	v_add_co_u32_e32 v17, vcc, s2, v23
	v_addc_co_u32_e32 v18, vcc, v16, v24, vcc
	v_add_f64 v[27:28], v[19:20], -v[27:28]
	global_load_dwordx4 v[17:20], v[17:18], off
	s_waitcnt vmcnt(0)
	v_mul_f64 v[23:24], v[7:8], -v[19:20]
	v_fma_f64 v[23:24], v[17:18], v[5:6], v[23:24]
	v_mul_f64 v[17:18], v[7:8], v[17:18]
	v_fma_f64 v[19:20], v[19:20], v[5:6], v[17:18]
	v_add_f64 v[17:18], v[25:26], -v[23:24]
	v_add_f64 v[19:20], v[27:28], -v[19:20]
	global_store_dwordx4 v[21:22], v[17:20], off
	s_nop 0
	v_add_u32_e32 v18, s6, v11
	v_ashrrev_i32_e32 v19, 31, v18
	v_lshlrev_b64 v[18:19], 4, v[18:19]
	v_add_u32_e32 v17, s6, v12
	v_add_co_u32_e32 v21, vcc, s8, v18
	v_ashrrev_i32_e32 v18, 31, v17
	v_lshlrev_b64 v[23:24], 4, v[17:18]
	v_addc_co_u32_e32 v22, vcc, v14, v19, vcc
	v_add_co_u32_e32 v17, vcc, s0, v23
	v_addc_co_u32_e32 v18, vcc, v15, v24, vcc
	global_load_dwordx4 v[17:20], v[17:18], off
	v_add_u32_e32 v11, s4, v11
	v_add_u32_e32 v12, s4, v12
	s_waitcnt vmcnt(0)
	v_mul_f64 v[25:26], v[3:4], -v[19:20]
	v_fma_f64 v[25:26], v[17:18], v[1:2], v[25:26]
	v_mul_f64 v[17:18], v[3:4], v[17:18]
	v_fma_f64 v[27:28], v[19:20], v[1:2], v[17:18]
	global_load_dwordx4 v[17:20], v[21:22], off
	s_waitcnt vmcnt(0)
	v_add_f64 v[25:26], v[17:18], -v[25:26]
	v_add_co_u32_e32 v17, vcc, s2, v23
	v_addc_co_u32_e32 v18, vcc, v16, v24, vcc
	v_add_f64 v[27:28], v[19:20], -v[27:28]
	global_load_dwordx4 v[17:20], v[17:18], off
	s_waitcnt vmcnt(0)
	v_mul_f64 v[23:24], v[7:8], -v[19:20]
	v_fma_f64 v[23:24], v[17:18], v[5:6], v[23:24]
	v_mul_f64 v[17:18], v[7:8], v[17:18]
	v_fma_f64 v[19:20], v[19:20], v[5:6], v[17:18]
	v_add_f64 v[17:18], v[25:26], -v[23:24]
	v_add_f64 v[19:20], v[27:28], -v[19:20]
	global_store_dwordx4 v[21:22], v[17:20], off
	s_cbranch_scc1 .LBB324_8
.LBB324_9:
	s_endpgm
	.section	.rodata,"a",@progbits
	.p2align	6, 0x0
	.amdhsa_kernel _ZN9rocsparseL39gtsv_spike_backward_substitution_kernelILj256ELj32E21rocsparse_complex_numIdEEEviiiPT1_PKS3_S6_
		.amdhsa_group_segment_fixed_size 0
		.amdhsa_private_segment_fixed_size 0
		.amdhsa_kernarg_size 40
		.amdhsa_user_sgpr_count 6
		.amdhsa_user_sgpr_private_segment_buffer 1
		.amdhsa_user_sgpr_dispatch_ptr 0
		.amdhsa_user_sgpr_queue_ptr 0
		.amdhsa_user_sgpr_kernarg_segment_ptr 1
		.amdhsa_user_sgpr_dispatch_id 0
		.amdhsa_user_sgpr_flat_scratch_init 0
		.amdhsa_user_sgpr_private_segment_size 0
		.amdhsa_uses_dynamic_stack 0
		.amdhsa_system_sgpr_private_segment_wavefront_offset 0
		.amdhsa_system_sgpr_workgroup_id_x 1
		.amdhsa_system_sgpr_workgroup_id_y 1
		.amdhsa_system_sgpr_workgroup_id_z 0
		.amdhsa_system_sgpr_workgroup_info 0
		.amdhsa_system_vgpr_workitem_id 0
		.amdhsa_next_free_vgpr 29
		.amdhsa_next_free_sgpr 13
		.amdhsa_reserve_vcc 1
		.amdhsa_reserve_flat_scratch 0
		.amdhsa_float_round_mode_32 0
		.amdhsa_float_round_mode_16_64 0
		.amdhsa_float_denorm_mode_32 3
		.amdhsa_float_denorm_mode_16_64 3
		.amdhsa_dx10_clamp 1
		.amdhsa_ieee_mode 1
		.amdhsa_fp16_overflow 0
		.amdhsa_exception_fp_ieee_invalid_op 0
		.amdhsa_exception_fp_denorm_src 0
		.amdhsa_exception_fp_ieee_div_zero 0
		.amdhsa_exception_fp_ieee_overflow 0
		.amdhsa_exception_fp_ieee_underflow 0
		.amdhsa_exception_fp_ieee_inexact 0
		.amdhsa_exception_int_div_zero 0
	.end_amdhsa_kernel
	.section	.text._ZN9rocsparseL39gtsv_spike_backward_substitution_kernelILj256ELj32E21rocsparse_complex_numIdEEEviiiPT1_PKS3_S6_,"axG",@progbits,_ZN9rocsparseL39gtsv_spike_backward_substitution_kernelILj256ELj32E21rocsparse_complex_numIdEEEviiiPT1_PKS3_S6_,comdat
.Lfunc_end324:
	.size	_ZN9rocsparseL39gtsv_spike_backward_substitution_kernelILj256ELj32E21rocsparse_complex_numIdEEEviiiPT1_PKS3_S6_, .Lfunc_end324-_ZN9rocsparseL39gtsv_spike_backward_substitution_kernelILj256ELj32E21rocsparse_complex_numIdEEEviiiPT1_PKS3_S6_
                                        ; -- End function
	.set _ZN9rocsparseL39gtsv_spike_backward_substitution_kernelILj256ELj32E21rocsparse_complex_numIdEEEviiiPT1_PKS3_S6_.num_vgpr, 29
	.set _ZN9rocsparseL39gtsv_spike_backward_substitution_kernelILj256ELj32E21rocsparse_complex_numIdEEEviiiPT1_PKS3_S6_.num_agpr, 0
	.set _ZN9rocsparseL39gtsv_spike_backward_substitution_kernelILj256ELj32E21rocsparse_complex_numIdEEEviiiPT1_PKS3_S6_.numbered_sgpr, 13
	.set _ZN9rocsparseL39gtsv_spike_backward_substitution_kernelILj256ELj32E21rocsparse_complex_numIdEEEviiiPT1_PKS3_S6_.num_named_barrier, 0
	.set _ZN9rocsparseL39gtsv_spike_backward_substitution_kernelILj256ELj32E21rocsparse_complex_numIdEEEviiiPT1_PKS3_S6_.private_seg_size, 0
	.set _ZN9rocsparseL39gtsv_spike_backward_substitution_kernelILj256ELj32E21rocsparse_complex_numIdEEEviiiPT1_PKS3_S6_.uses_vcc, 1
	.set _ZN9rocsparseL39gtsv_spike_backward_substitution_kernelILj256ELj32E21rocsparse_complex_numIdEEEviiiPT1_PKS3_S6_.uses_flat_scratch, 0
	.set _ZN9rocsparseL39gtsv_spike_backward_substitution_kernelILj256ELj32E21rocsparse_complex_numIdEEEviiiPT1_PKS3_S6_.has_dyn_sized_stack, 0
	.set _ZN9rocsparseL39gtsv_spike_backward_substitution_kernelILj256ELj32E21rocsparse_complex_numIdEEEviiiPT1_PKS3_S6_.has_recursion, 0
	.set _ZN9rocsparseL39gtsv_spike_backward_substitution_kernelILj256ELj32E21rocsparse_complex_numIdEEEviiiPT1_PKS3_S6_.has_indirect_call, 0
	.section	.AMDGPU.csdata,"",@progbits
; Kernel info:
; codeLenInByte = 944
; TotalNumSgprs: 17
; NumVgprs: 29
; ScratchSize: 0
; MemoryBound: 0
; FloatMode: 240
; IeeeMode: 1
; LDSByteSize: 0 bytes/workgroup (compile time only)
; SGPRBlocks: 2
; VGPRBlocks: 7
; NumSGPRsForWavesPerEU: 17
; NumVGPRsForWavesPerEU: 29
; Occupancy: 8
; WaveLimiterHint : 0
; COMPUTE_PGM_RSRC2:SCRATCH_EN: 0
; COMPUTE_PGM_RSRC2:USER_SGPR: 6
; COMPUTE_PGM_RSRC2:TRAP_HANDLER: 0
; COMPUTE_PGM_RSRC2:TGID_X_EN: 1
; COMPUTE_PGM_RSRC2:TGID_Y_EN: 1
; COMPUTE_PGM_RSRC2:TGID_Z_EN: 0
; COMPUTE_PGM_RSRC2:TIDIG_COMP_CNT: 0
	.section	.text._ZN9rocsparseL32gtsv_transpose_back_array_kernelILj256ELj32E21rocsparse_complex_numIdEEEviiiPKT1_PS3_,"axG",@progbits,_ZN9rocsparseL32gtsv_transpose_back_array_kernelILj256ELj32E21rocsparse_complex_numIdEEEviiiPKT1_PS3_,comdat
	.globl	_ZN9rocsparseL32gtsv_transpose_back_array_kernelILj256ELj32E21rocsparse_complex_numIdEEEviiiPKT1_PS3_ ; -- Begin function _ZN9rocsparseL32gtsv_transpose_back_array_kernelILj256ELj32E21rocsparse_complex_numIdEEEviiiPKT1_PS3_
	.p2align	8
	.type	_ZN9rocsparseL32gtsv_transpose_back_array_kernelILj256ELj32E21rocsparse_complex_numIdEEEviiiPKT1_PS3_,@function
_ZN9rocsparseL32gtsv_transpose_back_array_kernelILj256ELj32E21rocsparse_complex_numIdEEEviiiPKT1_PS3_: ; @_ZN9rocsparseL32gtsv_transpose_back_array_kernelILj256ELj32E21rocsparse_complex_numIdEEEviiiPKT1_PS3_
; %bb.0:
	s_load_dwordx4 s[0:3], s[4:5], 0x0
	s_waitcnt lgkmcnt(0)
	v_cvt_f32_u32_e32 v1, s1
	s_sub_i32 s3, 0, s1
	v_rcp_iflag_f32_e32 v1, v1
	v_mul_f32_e32 v1, 0x4f7ffffe, v1
	v_cvt_u32_f32_e32 v2, v1
	v_mul_lo_u32 v1, s3, v2
	v_mul_hi_u32 v3, v2, v1
	v_lshl_or_b32 v1, s6, 8, v0
	v_lshlrev_b32_e32 v0, 5, v1
	v_add_u32_e32 v2, v2, v3
	v_mul_hi_u32 v2, v0, v2
	v_mul_lo_u32 v3, v2, s1
	v_add_u32_e32 v4, 1, v2
	v_sub_u32_e32 v3, v0, v3
	v_cmp_le_u32_e32 vcc, s1, v3
	v_cndmask_b32_e32 v2, v2, v4, vcc
	v_subrev_u32_e32 v4, s1, v3
	v_cndmask_b32_e32 v3, v3, v4, vcc
	v_add_u32_e32 v4, 1, v2
	v_cmp_le_u32_e32 vcc, s1, v3
	v_cndmask_b32_e32 v2, v2, v4, vcc
	v_mul_lo_u32 v3, v2, s1
	v_sub_u32_e32 v0, v0, v3
	v_add_u32_e32 v0, v2, v0
	v_cmp_gt_i32_e32 vcc, s0, v0
	s_and_saveexec_b64 s[8:9], vcc
	s_cbranch_execz .LBB325_2
; %bb.1:
	s_load_dwordx4 s[8:11], s[4:5], 0x10
	s_mul_i32 s0, s1, s7
	v_add_u32_e32 v1, s0, v1
	v_ashrrev_i32_e32 v2, 31, v1
	v_lshlrev_b64 v[1:2], 4, v[1:2]
	s_waitcnt lgkmcnt(0)
	v_mov_b32_e32 v3, s9
	v_add_co_u32_e32 v1, vcc, s8, v1
	v_addc_co_u32_e32 v2, vcc, v3, v2, vcc
	global_load_dwordx4 v[1:4], v[1:2], off
	s_mul_i32 s0, s2, s7
	v_add_u32_e32 v5, s0, v0
	v_ashrrev_i32_e32 v6, 31, v5
	v_lshlrev_b64 v[5:6], 4, v[5:6]
	v_mov_b32_e32 v0, s11
	v_add_co_u32_e32 v5, vcc, s10, v5
	v_addc_co_u32_e32 v6, vcc, v0, v6, vcc
	s_waitcnt vmcnt(0)
	global_store_dwordx4 v[5:6], v[1:4], off
.LBB325_2:
	s_endpgm
	.section	.rodata,"a",@progbits
	.p2align	6, 0x0
	.amdhsa_kernel _ZN9rocsparseL32gtsv_transpose_back_array_kernelILj256ELj32E21rocsparse_complex_numIdEEEviiiPKT1_PS3_
		.amdhsa_group_segment_fixed_size 0
		.amdhsa_private_segment_fixed_size 0
		.amdhsa_kernarg_size 32
		.amdhsa_user_sgpr_count 6
		.amdhsa_user_sgpr_private_segment_buffer 1
		.amdhsa_user_sgpr_dispatch_ptr 0
		.amdhsa_user_sgpr_queue_ptr 0
		.amdhsa_user_sgpr_kernarg_segment_ptr 1
		.amdhsa_user_sgpr_dispatch_id 0
		.amdhsa_user_sgpr_flat_scratch_init 0
		.amdhsa_user_sgpr_private_segment_size 0
		.amdhsa_uses_dynamic_stack 0
		.amdhsa_system_sgpr_private_segment_wavefront_offset 0
		.amdhsa_system_sgpr_workgroup_id_x 1
		.amdhsa_system_sgpr_workgroup_id_y 1
		.amdhsa_system_sgpr_workgroup_id_z 0
		.amdhsa_system_sgpr_workgroup_info 0
		.amdhsa_system_vgpr_workitem_id 0
		.amdhsa_next_free_vgpr 7
		.amdhsa_next_free_sgpr 12
		.amdhsa_reserve_vcc 1
		.amdhsa_reserve_flat_scratch 0
		.amdhsa_float_round_mode_32 0
		.amdhsa_float_round_mode_16_64 0
		.amdhsa_float_denorm_mode_32 3
		.amdhsa_float_denorm_mode_16_64 3
		.amdhsa_dx10_clamp 1
		.amdhsa_ieee_mode 1
		.amdhsa_fp16_overflow 0
		.amdhsa_exception_fp_ieee_invalid_op 0
		.amdhsa_exception_fp_denorm_src 0
		.amdhsa_exception_fp_ieee_div_zero 0
		.amdhsa_exception_fp_ieee_overflow 0
		.amdhsa_exception_fp_ieee_underflow 0
		.amdhsa_exception_fp_ieee_inexact 0
		.amdhsa_exception_int_div_zero 0
	.end_amdhsa_kernel
	.section	.text._ZN9rocsparseL32gtsv_transpose_back_array_kernelILj256ELj32E21rocsparse_complex_numIdEEEviiiPKT1_PS3_,"axG",@progbits,_ZN9rocsparseL32gtsv_transpose_back_array_kernelILj256ELj32E21rocsparse_complex_numIdEEEviiiPKT1_PS3_,comdat
.Lfunc_end325:
	.size	_ZN9rocsparseL32gtsv_transpose_back_array_kernelILj256ELj32E21rocsparse_complex_numIdEEEviiiPKT1_PS3_, .Lfunc_end325-_ZN9rocsparseL32gtsv_transpose_back_array_kernelILj256ELj32E21rocsparse_complex_numIdEEEviiiPKT1_PS3_
                                        ; -- End function
	.set _ZN9rocsparseL32gtsv_transpose_back_array_kernelILj256ELj32E21rocsparse_complex_numIdEEEviiiPKT1_PS3_.num_vgpr, 7
	.set _ZN9rocsparseL32gtsv_transpose_back_array_kernelILj256ELj32E21rocsparse_complex_numIdEEEviiiPKT1_PS3_.num_agpr, 0
	.set _ZN9rocsparseL32gtsv_transpose_back_array_kernelILj256ELj32E21rocsparse_complex_numIdEEEviiiPKT1_PS3_.numbered_sgpr, 12
	.set _ZN9rocsparseL32gtsv_transpose_back_array_kernelILj256ELj32E21rocsparse_complex_numIdEEEviiiPKT1_PS3_.num_named_barrier, 0
	.set _ZN9rocsparseL32gtsv_transpose_back_array_kernelILj256ELj32E21rocsparse_complex_numIdEEEviiiPKT1_PS3_.private_seg_size, 0
	.set _ZN9rocsparseL32gtsv_transpose_back_array_kernelILj256ELj32E21rocsparse_complex_numIdEEEviiiPKT1_PS3_.uses_vcc, 1
	.set _ZN9rocsparseL32gtsv_transpose_back_array_kernelILj256ELj32E21rocsparse_complex_numIdEEEviiiPKT1_PS3_.uses_flat_scratch, 0
	.set _ZN9rocsparseL32gtsv_transpose_back_array_kernelILj256ELj32E21rocsparse_complex_numIdEEEviiiPKT1_PS3_.has_dyn_sized_stack, 0
	.set _ZN9rocsparseL32gtsv_transpose_back_array_kernelILj256ELj32E21rocsparse_complex_numIdEEEviiiPKT1_PS3_.has_recursion, 0
	.set _ZN9rocsparseL32gtsv_transpose_back_array_kernelILj256ELj32E21rocsparse_complex_numIdEEEviiiPKT1_PS3_.has_indirect_call, 0
	.section	.AMDGPU.csdata,"",@progbits
; Kernel info:
; codeLenInByte = 248
; TotalNumSgprs: 16
; NumVgprs: 7
; ScratchSize: 0
; MemoryBound: 0
; FloatMode: 240
; IeeeMode: 1
; LDSByteSize: 0 bytes/workgroup (compile time only)
; SGPRBlocks: 1
; VGPRBlocks: 1
; NumSGPRsForWavesPerEU: 16
; NumVGPRsForWavesPerEU: 7
; Occupancy: 10
; WaveLimiterHint : 0
; COMPUTE_PGM_RSRC2:SCRATCH_EN: 0
; COMPUTE_PGM_RSRC2:USER_SGPR: 6
; COMPUTE_PGM_RSRC2:TRAP_HANDLER: 0
; COMPUTE_PGM_RSRC2:TGID_X_EN: 1
; COMPUTE_PGM_RSRC2:TGID_Y_EN: 1
; COMPUTE_PGM_RSRC2:TGID_Z_EN: 0
; COMPUTE_PGM_RSRC2:TIDIG_COMP_CNT: 0
	.section	.text._ZN9rocsparseL42gtsv_transpose_and_pad_array_shared_kernelILj256ELj64E21rocsparse_complex_numIdEEEviiiPKT1_PS3_S3_,"axG",@progbits,_ZN9rocsparseL42gtsv_transpose_and_pad_array_shared_kernelILj256ELj64E21rocsparse_complex_numIdEEEviiiPKT1_PS3_S3_,comdat
	.globl	_ZN9rocsparseL42gtsv_transpose_and_pad_array_shared_kernelILj256ELj64E21rocsparse_complex_numIdEEEviiiPKT1_PS3_S3_ ; -- Begin function _ZN9rocsparseL42gtsv_transpose_and_pad_array_shared_kernelILj256ELj64E21rocsparse_complex_numIdEEEviiiPKT1_PS3_S3_
	.p2align	8
	.type	_ZN9rocsparseL42gtsv_transpose_and_pad_array_shared_kernelILj256ELj64E21rocsparse_complex_numIdEEEviiiPKT1_PS3_S3_,@function
_ZN9rocsparseL42gtsv_transpose_and_pad_array_shared_kernelILj256ELj64E21rocsparse_complex_numIdEEEviiiPKT1_PS3_S3_: ; @_ZN9rocsparseL42gtsv_transpose_and_pad_array_shared_kernelILj256ELj64E21rocsparse_complex_numIdEEEviiiPKT1_PS3_S3_
; %bb.0:
	s_load_dwordx4 s[0:3], s[4:5], 0x0
	v_lshl_or_b32 v2, s6, 8, v0
	v_lshlrev_b32_e32 v1, 4, v0
	s_waitcnt lgkmcnt(0)
	v_cmp_le_i32_e32 vcc, s0, v2
	s_and_saveexec_b64 s[8:9], vcc
	s_xor_b64 s[8:9], exec, s[8:9]
	s_cbranch_execz .LBB326_2
; %bb.1:
	s_load_dwordx4 s[12:15], s[4:5], 0x20
	s_waitcnt lgkmcnt(0)
	v_mov_b32_e32 v2, s12
	v_mov_b32_e32 v3, s13
	;; [unrolled: 1-line block ×4, first 2 shown]
	ds_write_b128 v1, v[2:5]
                                        ; implicit-def: $vgpr2
                                        ; implicit-def: $vgpr1
.LBB326_2:
	s_andn2_saveexec_b64 s[8:9], s[8:9]
	s_cbranch_execz .LBB326_4
; %bb.3:
	s_load_dwordx2 s[10:11], s[4:5], 0x10
	s_mul_i32 s0, s2, s7
	v_add_u32_e32 v2, s0, v2
	v_ashrrev_i32_e32 v3, 31, v2
	v_lshlrev_b64 v[2:3], 4, v[2:3]
	s_waitcnt lgkmcnt(0)
	v_mov_b32_e32 v4, s11
	v_add_co_u32_e32 v2, vcc, s10, v2
	v_addc_co_u32_e32 v3, vcc, v4, v3, vcc
	global_load_dwordx4 v[2:5], v[2:3], off
	s_waitcnt vmcnt(0)
	ds_write2_b64 v1, v[2:3], v[4:5] offset1:1
.LBB326_4:
	s_or_b64 exec, exec, s[8:9]
	v_and_b32_e32 v3, 3, v0
	v_lshrrev_b32_e32 v2, 2, v0
	s_lshr_b32 s0, s1, 6
	v_lshl_or_b32 v0, s6, 2, v3
	v_mad_u64_u32 v[0:1], s[2:3], s0, v2, v[0:1]
	s_waitcnt lgkmcnt(0)
	s_barrier
	v_cmp_gt_i32_e32 vcc, s1, v0
	s_and_saveexec_b64 s[2:3], vcc
	s_cbranch_execz .LBB326_6
; %bb.5:
	s_mul_i32 s0, s1, s7
	s_load_dwordx2 s[2:3], s[4:5], 0x18
	v_lshlrev_b32_e32 v1, 4, v2
	v_add_u32_e32 v0, s0, v0
	v_lshl_or_b32 v2, v3, 10, v1
	v_ashrrev_i32_e32 v1, 31, v0
	v_lshlrev_b64 v[4:5], 4, v[0:1]
	ds_read2_b64 v[0:3], v2 offset1:1
	s_waitcnt lgkmcnt(0)
	v_mov_b32_e32 v6, s3
	v_add_co_u32_e32 v4, vcc, s2, v4
	v_addc_co_u32_e32 v5, vcc, v6, v5, vcc
	global_store_dwordx4 v[4:5], v[0:3], off
.LBB326_6:
	s_endpgm
	.section	.rodata,"a",@progbits
	.p2align	6, 0x0
	.amdhsa_kernel _ZN9rocsparseL42gtsv_transpose_and_pad_array_shared_kernelILj256ELj64E21rocsparse_complex_numIdEEEviiiPKT1_PS3_S3_
		.amdhsa_group_segment_fixed_size 4096
		.amdhsa_private_segment_fixed_size 0
		.amdhsa_kernarg_size 48
		.amdhsa_user_sgpr_count 6
		.amdhsa_user_sgpr_private_segment_buffer 1
		.amdhsa_user_sgpr_dispatch_ptr 0
		.amdhsa_user_sgpr_queue_ptr 0
		.amdhsa_user_sgpr_kernarg_segment_ptr 1
		.amdhsa_user_sgpr_dispatch_id 0
		.amdhsa_user_sgpr_flat_scratch_init 0
		.amdhsa_user_sgpr_private_segment_size 0
		.amdhsa_uses_dynamic_stack 0
		.amdhsa_system_sgpr_private_segment_wavefront_offset 0
		.amdhsa_system_sgpr_workgroup_id_x 1
		.amdhsa_system_sgpr_workgroup_id_y 1
		.amdhsa_system_sgpr_workgroup_id_z 0
		.amdhsa_system_sgpr_workgroup_info 0
		.amdhsa_system_vgpr_workitem_id 0
		.amdhsa_next_free_vgpr 7
		.amdhsa_next_free_sgpr 16
		.amdhsa_reserve_vcc 1
		.amdhsa_reserve_flat_scratch 0
		.amdhsa_float_round_mode_32 0
		.amdhsa_float_round_mode_16_64 0
		.amdhsa_float_denorm_mode_32 3
		.amdhsa_float_denorm_mode_16_64 3
		.amdhsa_dx10_clamp 1
		.amdhsa_ieee_mode 1
		.amdhsa_fp16_overflow 0
		.amdhsa_exception_fp_ieee_invalid_op 0
		.amdhsa_exception_fp_denorm_src 0
		.amdhsa_exception_fp_ieee_div_zero 0
		.amdhsa_exception_fp_ieee_overflow 0
		.amdhsa_exception_fp_ieee_underflow 0
		.amdhsa_exception_fp_ieee_inexact 0
		.amdhsa_exception_int_div_zero 0
	.end_amdhsa_kernel
	.section	.text._ZN9rocsparseL42gtsv_transpose_and_pad_array_shared_kernelILj256ELj64E21rocsparse_complex_numIdEEEviiiPKT1_PS3_S3_,"axG",@progbits,_ZN9rocsparseL42gtsv_transpose_and_pad_array_shared_kernelILj256ELj64E21rocsparse_complex_numIdEEEviiiPKT1_PS3_S3_,comdat
.Lfunc_end326:
	.size	_ZN9rocsparseL42gtsv_transpose_and_pad_array_shared_kernelILj256ELj64E21rocsparse_complex_numIdEEEviiiPKT1_PS3_S3_, .Lfunc_end326-_ZN9rocsparseL42gtsv_transpose_and_pad_array_shared_kernelILj256ELj64E21rocsparse_complex_numIdEEEviiiPKT1_PS3_S3_
                                        ; -- End function
	.set _ZN9rocsparseL42gtsv_transpose_and_pad_array_shared_kernelILj256ELj64E21rocsparse_complex_numIdEEEviiiPKT1_PS3_S3_.num_vgpr, 7
	.set _ZN9rocsparseL42gtsv_transpose_and_pad_array_shared_kernelILj256ELj64E21rocsparse_complex_numIdEEEviiiPKT1_PS3_S3_.num_agpr, 0
	.set _ZN9rocsparseL42gtsv_transpose_and_pad_array_shared_kernelILj256ELj64E21rocsparse_complex_numIdEEEviiiPKT1_PS3_S3_.numbered_sgpr, 16
	.set _ZN9rocsparseL42gtsv_transpose_and_pad_array_shared_kernelILj256ELj64E21rocsparse_complex_numIdEEEviiiPKT1_PS3_S3_.num_named_barrier, 0
	.set _ZN9rocsparseL42gtsv_transpose_and_pad_array_shared_kernelILj256ELj64E21rocsparse_complex_numIdEEEviiiPKT1_PS3_S3_.private_seg_size, 0
	.set _ZN9rocsparseL42gtsv_transpose_and_pad_array_shared_kernelILj256ELj64E21rocsparse_complex_numIdEEEviiiPKT1_PS3_S3_.uses_vcc, 1
	.set _ZN9rocsparseL42gtsv_transpose_and_pad_array_shared_kernelILj256ELj64E21rocsparse_complex_numIdEEEviiiPKT1_PS3_S3_.uses_flat_scratch, 0
	.set _ZN9rocsparseL42gtsv_transpose_and_pad_array_shared_kernelILj256ELj64E21rocsparse_complex_numIdEEEviiiPKT1_PS3_S3_.has_dyn_sized_stack, 0
	.set _ZN9rocsparseL42gtsv_transpose_and_pad_array_shared_kernelILj256ELj64E21rocsparse_complex_numIdEEEviiiPKT1_PS3_S3_.has_recursion, 0
	.set _ZN9rocsparseL42gtsv_transpose_and_pad_array_shared_kernelILj256ELj64E21rocsparse_complex_numIdEEEviiiPKT1_PS3_S3_.has_indirect_call, 0
	.section	.AMDGPU.csdata,"",@progbits
; Kernel info:
; codeLenInByte = 276
; TotalNumSgprs: 20
; NumVgprs: 7
; ScratchSize: 0
; MemoryBound: 0
; FloatMode: 240
; IeeeMode: 1
; LDSByteSize: 4096 bytes/workgroup (compile time only)
; SGPRBlocks: 2
; VGPRBlocks: 1
; NumSGPRsForWavesPerEU: 20
; NumVGPRsForWavesPerEU: 7
; Occupancy: 10
; WaveLimiterHint : 0
; COMPUTE_PGM_RSRC2:SCRATCH_EN: 0
; COMPUTE_PGM_RSRC2:USER_SGPR: 6
; COMPUTE_PGM_RSRC2:TRAP_HANDLER: 0
; COMPUTE_PGM_RSRC2:TGID_X_EN: 1
; COMPUTE_PGM_RSRC2:TGID_Y_EN: 1
; COMPUTE_PGM_RSRC2:TGID_Z_EN: 0
; COMPUTE_PGM_RSRC2:TIDIG_COMP_CNT: 0
	.section	.text._ZN9rocsparseL18gtsv_LBM_wv_kernelILj256ELj64E21rocsparse_complex_numIdEEEviiiPKT1_S5_S5_PS3_S6_S6_Pi,"axG",@progbits,_ZN9rocsparseL18gtsv_LBM_wv_kernelILj256ELj64E21rocsparse_complex_numIdEEEviiiPKT1_S5_S5_PS3_S6_S6_Pi,comdat
	.globl	_ZN9rocsparseL18gtsv_LBM_wv_kernelILj256ELj64E21rocsparse_complex_numIdEEEviiiPKT1_S5_S5_PS3_S6_S6_Pi ; -- Begin function _ZN9rocsparseL18gtsv_LBM_wv_kernelILj256ELj64E21rocsparse_complex_numIdEEEviiiPKT1_S5_S5_PS3_S6_S6_Pi
	.p2align	8
	.type	_ZN9rocsparseL18gtsv_LBM_wv_kernelILj256ELj64E21rocsparse_complex_numIdEEEviiiPKT1_S5_S5_PS3_S6_S6_Pi,@function
_ZN9rocsparseL18gtsv_LBM_wv_kernelILj256ELj64E21rocsparse_complex_numIdEEEviiiPKT1_S5_S5_PS3_S6_S6_Pi: ; @_ZN9rocsparseL18gtsv_LBM_wv_kernelILj256ELj64E21rocsparse_complex_numIdEEEviiiPKT1_S5_S5_PS3_S6_S6_Pi
; %bb.0:
	s_load_dword s29, s[4:5], 0x0
	v_lshl_or_b32 v40, s6, 8, v0
	s_waitcnt lgkmcnt(0)
	s_lshr_b32 s28, s29, 6
	v_cmp_gt_i32_e32 vcc, s28, v40
	s_and_saveexec_b64 s[0:1], vcc
	s_cbranch_execz .LBB327_72
; %bb.1:
	s_load_dwordx2 s[16:17], s[4:5], 0x10
	s_load_dwordx8 s[8:15], s[4:5], 0x20
	v_ashrrev_i32_e32 v41, 31, v40
	v_lshlrev_b64 v[0:1], 4, v[40:41]
	s_mul_i32 s30, s28, 63
	v_add_u32_e32 v9, s30, v40
	v_mov_b32_e32 v10, 0
	s_waitcnt lgkmcnt(0)
	v_mov_b32_e32 v3, s17
	v_add_co_u32_e32 v2, vcc, s16, v0
	v_lshlrev_b64 v[11:12], 4, v[9:10]
	v_addc_co_u32_e32 v3, vcc, v3, v1, vcc
	v_mov_b32_e32 v7, s9
	v_add_co_u32_e32 v6, vcc, s8, v11
	global_load_dwordx4 v[2:5], v[2:3], off
	v_addc_co_u32_e32 v7, vcc, v7, v12, vcc
	global_load_dwordx4 v[6:9], v[6:7], off
	s_load_dwordx2 s[6:7], s[4:5], 0x40
	v_mov_b32_e32 v13, s13
	v_add_co_u32_e32 v11, vcc, s12, v11
	v_addc_co_u32_e32 v12, vcc, v13, v12, vcc
	v_mov_b32_e32 v14, s11
	v_add_co_u32_e32 v41, vcc, s10, v0
	s_cmp_lt_i32 s29, 1
	v_add_u32_e32 v61, s28, v40
	v_addc_co_u32_e32 v42, vcc, v14, v1, vcc
	v_mov_b32_e32 v43, v10
	s_waitcnt vmcnt(1)
	global_store_dwordx4 v[41:42], v[2:5], off
	s_waitcnt vmcnt(1)
	global_store_dwordx4 v[11:12], v[6:9], off
	s_cbranch_scc1 .LBB327_65
; %bb.2:
	s_load_dwordx2 s[18:19], s[4:5], 0x18
	s_mov_b32 s22, 0
	s_mov_b32 s24, 0x372fe950
	s_mul_i32 s31, s28, 62
	s_lshl_b32 s33, s28, 1
	s_waitcnt lgkmcnt(0)
	v_mov_b32_e32 v2, s19
	v_add_co_u32_e32 v0, vcc, s18, v0
	v_addc_co_u32_e32 v1, vcc, v2, v1, vcc
	global_load_dwordx4 v[0:3], v[0:1], off
	v_add_u32_e32 v62, s28, v61
	v_mov_b32_e32 v43, 0
	s_mov_b64 s[20:21], 0
	s_brev_b32 s23, 8
	v_mov_b32_e32 v63, 0x260
	s_mov_b32 s25, 0x3fe3c6ef
	v_mov_b32_e32 v64, 2
	v_mov_b32_e32 v65, 1
	;; [unrolled: 1-line block ×4, first 2 shown]
	s_branch .LBB327_5
.LBB327_3:                              ;   in Loop: Header=BB327_5 Depth=1
	s_or_b64 exec, exec, s[4:5]
	v_mul_f64 v[4:5], v[0:1], -v[32:33]
	v_mul_f64 v[0:1], v[0:1], v[34:35]
	v_mov_b32_e32 v8, s28
	v_fma_f64 v[4:5], v[34:35], v[2:3], v[4:5]
	v_fma_f64 v[2:3], v[32:33], v[2:3], v[0:1]
	v_add_f64 v[0:1], v[20:21], -v[4:5]
	v_add_f64 v[2:3], v[22:23], -v[2:3]
.LBB327_4:                              ;   in Loop: Header=BB327_5 Depth=1
	s_or_b64 exec, exec, s[2:3]
	v_add_u32_e32 v43, v8, v43
	v_cmp_le_i32_e32 vcc, s29, v43
	s_or_b64 s[20:21], vcc, s[20:21]
	s_andn2_b64 exec, exec, s[20:21]
	s_cbranch_execz .LBB327_64
.LBB327_5:                              ; =>This Inner Loop Header: Depth=1
	v_add_u32_e32 v45, v43, v40
	v_ashrrev_i32_e32 v46, 31, v45
	v_lshlrev_b64 v[47:48], 4, v[45:46]
	v_mov_b32_e32 v5, s9
	v_add_co_u32_e32 v4, vcc, s8, v47
	v_addc_co_u32_e32 v5, vcc, v5, v48, vcc
	global_load_dwordx4 v[16:19], v[4:5], off
	v_mov_b32_e32 v20, 0
	v_mov_b32_e32 v4, 0
	;; [unrolled: 1-line block ×6, first 2 shown]
	v_cmp_gt_u32_e64 s[0:1], s30, v43
	s_and_saveexec_b64 s[2:3], s[0:1]
	s_cbranch_execz .LBB327_7
; %bb.6:                                ;   in Loop: Header=BB327_5 Depth=1
	v_add_u32_e32 v4, v61, v43
	v_ashrrev_i32_e32 v5, 31, v4
	v_lshlrev_b64 v[4:5], 4, v[4:5]
	v_mov_b32_e32 v6, s17
	v_add_co_u32_e32 v4, vcc, s16, v4
	v_addc_co_u32_e32 v5, vcc, v6, v5, vcc
	global_load_dwordx4 v[4:7], v[4:5], off
.LBB327_7:                              ;   in Loop: Header=BB327_5 Depth=1
	s_or_b64 exec, exec, s[2:3]
	v_mov_b32_e32 v22, 0
	v_mov_b32_e32 v23, 0
	s_and_saveexec_b64 s[2:3], s[0:1]
	s_cbranch_execz .LBB327_9
; %bb.8:                                ;   in Loop: Header=BB327_5 Depth=1
	v_add_u32_e32 v8, v61, v43
	v_ashrrev_i32_e32 v9, 31, v8
	v_lshlrev_b64 v[8:9], 4, v[8:9]
	v_mov_b32_e32 v10, s19
	v_add_co_u32_e32 v8, vcc, s18, v8
	v_addc_co_u32_e32 v9, vcc, v10, v9, vcc
	global_load_dwordx4 v[20:23], v[8:9], off
.LBB327_9:                              ;   in Loop: Header=BB327_5 Depth=1
	s_or_b64 exec, exec, s[2:3]
	v_mov_b32_e32 v12, 0
	v_mov_b32_e32 v8, 0
	;; [unrolled: 1-line block ×6, first 2 shown]
	s_and_saveexec_b64 s[2:3], s[0:1]
	s_cbranch_execz .LBB327_11
; %bb.10:                               ;   in Loop: Header=BB327_5 Depth=1
	v_add_u32_e32 v8, v61, v43
	v_ashrrev_i32_e32 v9, 31, v8
	v_lshlrev_b64 v[8:9], 4, v[8:9]
	v_mov_b32_e32 v10, s9
	v_add_co_u32_e32 v8, vcc, s8, v8
	v_addc_co_u32_e32 v9, vcc, v10, v9, vcc
	global_load_dwordx4 v[8:11], v[8:9], off
.LBB327_11:                             ;   in Loop: Header=BB327_5 Depth=1
	s_or_b64 exec, exec, s[2:3]
	v_mov_b32_e32 v14, 0
	v_mov_b32_e32 v15, 0
	v_cmp_gt_u32_e64 s[2:3], s31, v43
	s_and_saveexec_b64 s[4:5], s[2:3]
	s_cbranch_execz .LBB327_13
; %bb.12:                               ;   in Loop: Header=BB327_5 Depth=1
	v_add_u32_e32 v12, v62, v43
	v_ashrrev_i32_e32 v13, 31, v12
	v_lshlrev_b64 v[12:13], 4, v[12:13]
	v_mov_b32_e32 v14, s17
	v_add_co_u32_e32 v12, vcc, s16, v12
	v_addc_co_u32_e32 v13, vcc, v14, v13, vcc
	global_load_dwordx4 v[12:15], v[12:13], off
.LBB327_13:                             ;   in Loop: Header=BB327_5 Depth=1
	s_or_b64 exec, exec, s[4:5]
	s_waitcnt vmcnt(0)
	v_cmp_gt_f64_e32 vcc, 0, v[4:5]
	v_xor_b32_e32 v24, 0x80000000, v5
	v_mov_b32_e32 v26, v4
	v_mov_b32_e32 v28, v6
	v_cndmask_b32_e32 v27, v5, v24, vcc
	v_cmp_gt_f64_e32 vcc, 0, v[6:7]
	v_xor_b32_e32 v24, 0x80000000, v7
	v_cndmask_b32_e32 v29, v7, v24, vcc
	v_cmp_ngt_f64_e32 vcc, v[26:27], v[28:29]
                                        ; implicit-def: $vgpr24_vgpr25
	s_and_saveexec_b64 s[4:5], vcc
	s_xor_b64 s[4:5], exec, s[4:5]
	s_cbranch_execz .LBB327_17
; %bb.14:                               ;   in Loop: Header=BB327_5 Depth=1
	v_cmp_neq_f64_e32 vcc, 0, v[6:7]
	v_mov_b32_e32 v24, 0
	v_mov_b32_e32 v25, 0
	s_and_saveexec_b64 s[26:27], vcc
	s_cbranch_execz .LBB327_16
; %bb.15:                               ;   in Loop: Header=BB327_5 Depth=1
	v_div_scale_f64 v[24:25], s[34:35], v[28:29], v[28:29], v[26:27]
	v_rcp_f64_e32 v[30:31], v[24:25]
	v_fma_f64 v[32:33], -v[24:25], v[30:31], 1.0
	v_fma_f64 v[30:31], v[30:31], v[32:33], v[30:31]
	v_div_scale_f64 v[32:33], vcc, v[26:27], v[28:29], v[26:27]
	v_fma_f64 v[34:35], -v[24:25], v[30:31], 1.0
	v_fma_f64 v[30:31], v[30:31], v[34:35], v[30:31]
	v_mul_f64 v[34:35], v[32:33], v[30:31]
	v_fma_f64 v[24:25], -v[24:25], v[34:35], v[32:33]
	v_div_fmas_f64 v[24:25], v[24:25], v[30:31], v[34:35]
	v_div_fixup_f64 v[24:25], v[24:25], v[28:29], v[26:27]
	v_fma_f64 v[24:25], v[24:25], v[24:25], 1.0
	v_cmp_gt_f64_e32 vcc, s[22:23], v[24:25]
	v_cndmask_b32_e32 v26, 0, v66, vcc
	v_ldexp_f64 v[24:25], v[24:25], v26
	v_rsq_f64_e32 v[26:27], v[24:25]
	v_mul_f64 v[30:31], v[24:25], v[26:27]
	v_mul_f64 v[26:27], v[26:27], 0.5
	v_fma_f64 v[32:33], -v[26:27], v[30:31], 0.5
	v_fma_f64 v[30:31], v[30:31], v[32:33], v[30:31]
	v_fma_f64 v[26:27], v[26:27], v[32:33], v[26:27]
	v_fma_f64 v[32:33], -v[30:31], v[30:31], v[24:25]
	v_fma_f64 v[30:31], v[32:33], v[26:27], v[30:31]
	v_fma_f64 v[32:33], -v[30:31], v[30:31], v[24:25]
	v_fma_f64 v[26:27], v[32:33], v[26:27], v[30:31]
	v_cndmask_b32_e32 v30, 0, v67, vcc
	v_cmp_class_f64_e32 vcc, v[24:25], v63
	v_ldexp_f64 v[26:27], v[26:27], v30
	v_cndmask_b32_e32 v25, v27, v25, vcc
	v_cndmask_b32_e32 v24, v26, v24, vcc
	v_mul_f64 v[24:25], v[28:29], v[24:25]
.LBB327_16:                             ;   in Loop: Header=BB327_5 Depth=1
	s_or_b64 exec, exec, s[26:27]
                                        ; implicit-def: $vgpr26_vgpr27
                                        ; implicit-def: $vgpr28_vgpr29
.LBB327_17:                             ;   in Loop: Header=BB327_5 Depth=1
	s_andn2_saveexec_b64 s[4:5], s[4:5]
	s_cbranch_execz .LBB327_19
; %bb.18:                               ;   in Loop: Header=BB327_5 Depth=1
	v_div_scale_f64 v[24:25], s[26:27], v[26:27], v[26:27], v[28:29]
	v_rcp_f64_e32 v[30:31], v[24:25]
	v_fma_f64 v[32:33], -v[24:25], v[30:31], 1.0
	v_fma_f64 v[30:31], v[30:31], v[32:33], v[30:31]
	v_div_scale_f64 v[32:33], vcc, v[28:29], v[26:27], v[28:29]
	v_fma_f64 v[34:35], -v[24:25], v[30:31], 1.0
	v_fma_f64 v[30:31], v[30:31], v[34:35], v[30:31]
	v_mul_f64 v[34:35], v[32:33], v[30:31]
	v_fma_f64 v[24:25], -v[24:25], v[34:35], v[32:33]
	v_div_fmas_f64 v[24:25], v[24:25], v[30:31], v[34:35]
	v_div_fixup_f64 v[24:25], v[24:25], v[26:27], v[28:29]
	v_fma_f64 v[24:25], v[24:25], v[24:25], 1.0
	v_cmp_gt_f64_e32 vcc, s[22:23], v[24:25]
	v_cndmask_b32_e32 v28, 0, v66, vcc
	v_ldexp_f64 v[24:25], v[24:25], v28
	v_rsq_f64_e32 v[28:29], v[24:25]
	v_mul_f64 v[30:31], v[24:25], v[28:29]
	v_mul_f64 v[28:29], v[28:29], 0.5
	v_fma_f64 v[32:33], -v[28:29], v[30:31], 0.5
	v_fma_f64 v[30:31], v[30:31], v[32:33], v[30:31]
	v_fma_f64 v[28:29], v[28:29], v[32:33], v[28:29]
	v_fma_f64 v[32:33], -v[30:31], v[30:31], v[24:25]
	v_fma_f64 v[30:31], v[32:33], v[28:29], v[30:31]
	v_fma_f64 v[32:33], -v[30:31], v[30:31], v[24:25]
	v_fma_f64 v[28:29], v[32:33], v[28:29], v[30:31]
	v_cndmask_b32_e32 v30, 0, v67, vcc
	v_cmp_class_f64_e32 vcc, v[24:25], v63
	v_ldexp_f64 v[28:29], v[28:29], v30
	v_cndmask_b32_e32 v25, v29, v25, vcc
	v_cndmask_b32_e32 v24, v28, v24, vcc
	v_mul_f64 v[24:25], v[26:27], v[24:25]
.LBB327_19:                             ;   in Loop: Header=BB327_5 Depth=1
	s_or_b64 exec, exec, s[4:5]
	v_cmp_gt_f64_e32 vcc, 0, v[12:13]
	v_xor_b32_e32 v26, 0x80000000, v13
	v_mov_b32_e32 v28, v12
	v_mov_b32_e32 v30, v14
	v_cndmask_b32_e32 v29, v13, v26, vcc
	v_cmp_gt_f64_e32 vcc, 0, v[14:15]
	v_xor_b32_e32 v26, 0x80000000, v15
	v_cndmask_b32_e32 v31, v15, v26, vcc
	v_cmp_ngt_f64_e32 vcc, v[28:29], v[30:31]
                                        ; implicit-def: $vgpr26_vgpr27
	s_and_saveexec_b64 s[4:5], vcc
	s_xor_b64 s[4:5], exec, s[4:5]
	s_cbranch_execz .LBB327_23
; %bb.20:                               ;   in Loop: Header=BB327_5 Depth=1
	v_cmp_neq_f64_e32 vcc, 0, v[14:15]
	v_mov_b32_e32 v26, 0
	v_mov_b32_e32 v27, 0
	s_and_saveexec_b64 s[26:27], vcc
	s_cbranch_execz .LBB327_22
; %bb.21:                               ;   in Loop: Header=BB327_5 Depth=1
	v_div_scale_f64 v[26:27], s[34:35], v[30:31], v[30:31], v[28:29]
	v_rcp_f64_e32 v[32:33], v[26:27]
	v_fma_f64 v[34:35], -v[26:27], v[32:33], 1.0
	v_fma_f64 v[32:33], v[32:33], v[34:35], v[32:33]
	v_div_scale_f64 v[34:35], vcc, v[28:29], v[30:31], v[28:29]
	v_fma_f64 v[36:37], -v[26:27], v[32:33], 1.0
	v_fma_f64 v[32:33], v[32:33], v[36:37], v[32:33]
	v_mul_f64 v[36:37], v[34:35], v[32:33]
	v_fma_f64 v[26:27], -v[26:27], v[36:37], v[34:35]
	v_div_fmas_f64 v[26:27], v[26:27], v[32:33], v[36:37]
	v_div_fixup_f64 v[26:27], v[26:27], v[30:31], v[28:29]
	v_fma_f64 v[26:27], v[26:27], v[26:27], 1.0
	v_cmp_gt_f64_e32 vcc, s[22:23], v[26:27]
	v_cndmask_b32_e32 v28, 0, v66, vcc
	v_ldexp_f64 v[26:27], v[26:27], v28
	v_rsq_f64_e32 v[28:29], v[26:27]
	v_mul_f64 v[32:33], v[26:27], v[28:29]
	v_mul_f64 v[28:29], v[28:29], 0.5
	v_fma_f64 v[34:35], -v[28:29], v[32:33], 0.5
	v_fma_f64 v[32:33], v[32:33], v[34:35], v[32:33]
	v_fma_f64 v[28:29], v[28:29], v[34:35], v[28:29]
	v_fma_f64 v[34:35], -v[32:33], v[32:33], v[26:27]
	v_fma_f64 v[32:33], v[34:35], v[28:29], v[32:33]
	v_fma_f64 v[34:35], -v[32:33], v[32:33], v[26:27]
	v_fma_f64 v[28:29], v[34:35], v[28:29], v[32:33]
	v_cndmask_b32_e32 v32, 0, v67, vcc
	v_cmp_class_f64_e32 vcc, v[26:27], v63
	v_ldexp_f64 v[28:29], v[28:29], v32
	v_cndmask_b32_e32 v27, v29, v27, vcc
	v_cndmask_b32_e32 v26, v28, v26, vcc
	v_mul_f64 v[26:27], v[30:31], v[26:27]
.LBB327_22:                             ;   in Loop: Header=BB327_5 Depth=1
	s_or_b64 exec, exec, s[26:27]
                                        ; implicit-def: $vgpr28_vgpr29
                                        ; implicit-def: $vgpr30_vgpr31
.LBB327_23:                             ;   in Loop: Header=BB327_5 Depth=1
	s_andn2_saveexec_b64 s[4:5], s[4:5]
	s_cbranch_execz .LBB327_25
; %bb.24:                               ;   in Loop: Header=BB327_5 Depth=1
	v_div_scale_f64 v[26:27], s[26:27], v[28:29], v[28:29], v[30:31]
	v_rcp_f64_e32 v[32:33], v[26:27]
	v_fma_f64 v[34:35], -v[26:27], v[32:33], 1.0
	v_fma_f64 v[32:33], v[32:33], v[34:35], v[32:33]
	v_div_scale_f64 v[34:35], vcc, v[30:31], v[28:29], v[30:31]
	v_fma_f64 v[36:37], -v[26:27], v[32:33], 1.0
	v_fma_f64 v[32:33], v[32:33], v[36:37], v[32:33]
	v_mul_f64 v[36:37], v[34:35], v[32:33]
	v_fma_f64 v[26:27], -v[26:27], v[36:37], v[34:35]
	v_div_fmas_f64 v[26:27], v[26:27], v[32:33], v[36:37]
	v_div_fixup_f64 v[26:27], v[26:27], v[28:29], v[30:31]
	v_fma_f64 v[26:27], v[26:27], v[26:27], 1.0
	v_cmp_gt_f64_e32 vcc, s[22:23], v[26:27]
	v_cndmask_b32_e32 v30, 0, v66, vcc
	v_ldexp_f64 v[26:27], v[26:27], v30
	v_rsq_f64_e32 v[30:31], v[26:27]
	v_mul_f64 v[32:33], v[26:27], v[30:31]
	v_mul_f64 v[30:31], v[30:31], 0.5
	v_fma_f64 v[34:35], -v[30:31], v[32:33], 0.5
	v_fma_f64 v[32:33], v[32:33], v[34:35], v[32:33]
	v_fma_f64 v[30:31], v[30:31], v[34:35], v[30:31]
	v_fma_f64 v[34:35], -v[32:33], v[32:33], v[26:27]
	v_fma_f64 v[32:33], v[34:35], v[30:31], v[32:33]
	v_fma_f64 v[34:35], -v[32:33], v[32:33], v[26:27]
	v_fma_f64 v[30:31], v[34:35], v[30:31], v[32:33]
	v_cndmask_b32_e32 v32, 0, v67, vcc
	v_cmp_class_f64_e32 vcc, v[26:27], v63
	v_ldexp_f64 v[30:31], v[30:31], v32
	v_cndmask_b32_e32 v27, v31, v27, vcc
	v_cndmask_b32_e32 v26, v30, v26, vcc
	v_mul_f64 v[26:27], v[28:29], v[26:27]
.LBB327_25:                             ;   in Loop: Header=BB327_5 Depth=1
	s_or_b64 exec, exec, s[4:5]
	v_cmp_gt_f64_e32 vcc, 0, v[20:21]
	v_xor_b32_e32 v28, 0x80000000, v21
	v_mov_b32_e32 v30, v20
	v_mov_b32_e32 v32, v22
	v_cndmask_b32_e32 v31, v21, v28, vcc
	v_cmp_gt_f64_e32 vcc, 0, v[22:23]
	v_xor_b32_e32 v28, 0x80000000, v23
	v_cndmask_b32_e32 v33, v23, v28, vcc
	v_cmp_ngt_f64_e32 vcc, v[30:31], v[32:33]
                                        ; implicit-def: $vgpr28_vgpr29
	s_and_saveexec_b64 s[4:5], vcc
	s_xor_b64 s[4:5], exec, s[4:5]
	s_cbranch_execz .LBB327_29
; %bb.26:                               ;   in Loop: Header=BB327_5 Depth=1
	v_cmp_neq_f64_e32 vcc, 0, v[22:23]
	v_mov_b32_e32 v28, 0
	v_mov_b32_e32 v29, 0
	s_and_saveexec_b64 s[26:27], vcc
	s_cbranch_execz .LBB327_28
; %bb.27:                               ;   in Loop: Header=BB327_5 Depth=1
	v_div_scale_f64 v[28:29], s[34:35], v[32:33], v[32:33], v[30:31]
	v_rcp_f64_e32 v[34:35], v[28:29]
	v_fma_f64 v[36:37], -v[28:29], v[34:35], 1.0
	v_fma_f64 v[34:35], v[34:35], v[36:37], v[34:35]
	v_div_scale_f64 v[36:37], vcc, v[30:31], v[32:33], v[30:31]
	v_fma_f64 v[38:39], -v[28:29], v[34:35], 1.0
	v_fma_f64 v[34:35], v[34:35], v[38:39], v[34:35]
	v_mul_f64 v[38:39], v[36:37], v[34:35]
	v_fma_f64 v[28:29], -v[28:29], v[38:39], v[36:37]
	v_div_fmas_f64 v[28:29], v[28:29], v[34:35], v[38:39]
	v_div_fixup_f64 v[28:29], v[28:29], v[32:33], v[30:31]
	v_fma_f64 v[28:29], v[28:29], v[28:29], 1.0
	v_cmp_gt_f64_e32 vcc, s[22:23], v[28:29]
	v_cndmask_b32_e32 v30, 0, v66, vcc
	v_ldexp_f64 v[28:29], v[28:29], v30
	v_rsq_f64_e32 v[30:31], v[28:29]
	v_mul_f64 v[34:35], v[28:29], v[30:31]
	v_mul_f64 v[30:31], v[30:31], 0.5
	v_fma_f64 v[36:37], -v[30:31], v[34:35], 0.5
	v_fma_f64 v[34:35], v[34:35], v[36:37], v[34:35]
	v_fma_f64 v[30:31], v[30:31], v[36:37], v[30:31]
	v_fma_f64 v[36:37], -v[34:35], v[34:35], v[28:29]
	v_fma_f64 v[34:35], v[36:37], v[30:31], v[34:35]
	v_fma_f64 v[36:37], -v[34:35], v[34:35], v[28:29]
	v_fma_f64 v[30:31], v[36:37], v[30:31], v[34:35]
	v_cndmask_b32_e32 v34, 0, v67, vcc
	v_cmp_class_f64_e32 vcc, v[28:29], v63
	v_ldexp_f64 v[30:31], v[30:31], v34
	v_cndmask_b32_e32 v29, v31, v29, vcc
	v_cndmask_b32_e32 v28, v30, v28, vcc
	v_mul_f64 v[28:29], v[32:33], v[28:29]
.LBB327_28:                             ;   in Loop: Header=BB327_5 Depth=1
	s_or_b64 exec, exec, s[26:27]
                                        ; implicit-def: $vgpr30_vgpr31
                                        ; implicit-def: $vgpr32_vgpr33
.LBB327_29:                             ;   in Loop: Header=BB327_5 Depth=1
	s_andn2_saveexec_b64 s[4:5], s[4:5]
	s_cbranch_execz .LBB327_31
; %bb.30:                               ;   in Loop: Header=BB327_5 Depth=1
	v_div_scale_f64 v[28:29], s[26:27], v[30:31], v[30:31], v[32:33]
	v_rcp_f64_e32 v[34:35], v[28:29]
	v_fma_f64 v[36:37], -v[28:29], v[34:35], 1.0
	v_fma_f64 v[34:35], v[34:35], v[36:37], v[34:35]
	v_div_scale_f64 v[36:37], vcc, v[32:33], v[30:31], v[32:33]
	v_fma_f64 v[38:39], -v[28:29], v[34:35], 1.0
	v_fma_f64 v[34:35], v[34:35], v[38:39], v[34:35]
	v_mul_f64 v[38:39], v[36:37], v[34:35]
	v_fma_f64 v[28:29], -v[28:29], v[38:39], v[36:37]
	v_div_fmas_f64 v[28:29], v[28:29], v[34:35], v[38:39]
	v_div_fixup_f64 v[28:29], v[28:29], v[30:31], v[32:33]
	v_fma_f64 v[28:29], v[28:29], v[28:29], 1.0
	v_cmp_gt_f64_e32 vcc, s[22:23], v[28:29]
	v_cndmask_b32_e32 v32, 0, v66, vcc
	v_ldexp_f64 v[28:29], v[28:29], v32
	v_rsq_f64_e32 v[32:33], v[28:29]
	v_mul_f64 v[34:35], v[28:29], v[32:33]
	v_mul_f64 v[32:33], v[32:33], 0.5
	v_fma_f64 v[36:37], -v[32:33], v[34:35], 0.5
	v_fma_f64 v[34:35], v[34:35], v[36:37], v[34:35]
	v_fma_f64 v[32:33], v[32:33], v[36:37], v[32:33]
	v_fma_f64 v[36:37], -v[34:35], v[34:35], v[28:29]
	v_fma_f64 v[34:35], v[36:37], v[32:33], v[34:35]
	v_fma_f64 v[36:37], -v[34:35], v[34:35], v[28:29]
	v_fma_f64 v[32:33], v[36:37], v[32:33], v[34:35]
	v_cndmask_b32_e32 v34, 0, v67, vcc
	v_cmp_class_f64_e32 vcc, v[28:29], v63
	v_ldexp_f64 v[32:33], v[32:33], v34
	v_cndmask_b32_e32 v29, v33, v29, vcc
	v_cndmask_b32_e32 v28, v32, v28, vcc
	v_mul_f64 v[28:29], v[30:31], v[28:29]
.LBB327_31:                             ;   in Loop: Header=BB327_5 Depth=1
	s_or_b64 exec, exec, s[4:5]
	v_cmp_gt_f64_e32 vcc, 0, v[16:17]
	v_xor_b32_e32 v30, 0x80000000, v17
	v_mov_b32_e32 v32, v16
	v_mov_b32_e32 v34, v18
	v_cndmask_b32_e32 v33, v17, v30, vcc
	v_cmp_gt_f64_e32 vcc, 0, v[18:19]
	v_xor_b32_e32 v30, 0x80000000, v19
	v_cndmask_b32_e32 v35, v19, v30, vcc
	v_cmp_ngt_f64_e32 vcc, v[32:33], v[34:35]
                                        ; implicit-def: $vgpr30_vgpr31
	s_and_saveexec_b64 s[4:5], vcc
	s_xor_b64 s[4:5], exec, s[4:5]
	s_cbranch_execz .LBB327_35
; %bb.32:                               ;   in Loop: Header=BB327_5 Depth=1
	v_cmp_neq_f64_e32 vcc, 0, v[18:19]
	v_mov_b32_e32 v30, 0
	v_mov_b32_e32 v31, 0
	s_and_saveexec_b64 s[26:27], vcc
	s_cbranch_execz .LBB327_34
; %bb.33:                               ;   in Loop: Header=BB327_5 Depth=1
	v_div_scale_f64 v[30:31], s[34:35], v[34:35], v[34:35], v[32:33]
	v_rcp_f64_e32 v[36:37], v[30:31]
	v_fma_f64 v[38:39], -v[30:31], v[36:37], 1.0
	v_fma_f64 v[36:37], v[36:37], v[38:39], v[36:37]
	v_div_scale_f64 v[38:39], vcc, v[32:33], v[34:35], v[32:33]
	v_fma_f64 v[49:50], -v[30:31], v[36:37], 1.0
	v_fma_f64 v[36:37], v[36:37], v[49:50], v[36:37]
	v_mul_f64 v[49:50], v[38:39], v[36:37]
	v_fma_f64 v[30:31], -v[30:31], v[49:50], v[38:39]
	v_div_fmas_f64 v[30:31], v[30:31], v[36:37], v[49:50]
	v_div_fixup_f64 v[30:31], v[30:31], v[34:35], v[32:33]
	v_fma_f64 v[30:31], v[30:31], v[30:31], 1.0
	v_cmp_gt_f64_e32 vcc, s[22:23], v[30:31]
	v_cndmask_b32_e32 v32, 0, v66, vcc
	v_ldexp_f64 v[30:31], v[30:31], v32
	v_rsq_f64_e32 v[32:33], v[30:31]
	v_mul_f64 v[36:37], v[30:31], v[32:33]
	v_mul_f64 v[32:33], v[32:33], 0.5
	v_fma_f64 v[38:39], -v[32:33], v[36:37], 0.5
	v_fma_f64 v[36:37], v[36:37], v[38:39], v[36:37]
	v_fma_f64 v[32:33], v[32:33], v[38:39], v[32:33]
	v_fma_f64 v[38:39], -v[36:37], v[36:37], v[30:31]
	v_fma_f64 v[36:37], v[38:39], v[32:33], v[36:37]
	v_fma_f64 v[38:39], -v[36:37], v[36:37], v[30:31]
	v_fma_f64 v[32:33], v[38:39], v[32:33], v[36:37]
	v_cndmask_b32_e32 v36, 0, v67, vcc
	v_cmp_class_f64_e32 vcc, v[30:31], v63
	v_ldexp_f64 v[32:33], v[32:33], v36
	v_cndmask_b32_e32 v31, v33, v31, vcc
	v_cndmask_b32_e32 v30, v32, v30, vcc
	v_mul_f64 v[30:31], v[34:35], v[30:31]
.LBB327_34:                             ;   in Loop: Header=BB327_5 Depth=1
	s_or_b64 exec, exec, s[26:27]
                                        ; implicit-def: $vgpr32_vgpr33
                                        ; implicit-def: $vgpr34_vgpr35
.LBB327_35:                             ;   in Loop: Header=BB327_5 Depth=1
	s_andn2_saveexec_b64 s[4:5], s[4:5]
	s_cbranch_execz .LBB327_37
; %bb.36:                               ;   in Loop: Header=BB327_5 Depth=1
	v_div_scale_f64 v[30:31], s[26:27], v[32:33], v[32:33], v[34:35]
	v_rcp_f64_e32 v[36:37], v[30:31]
	v_fma_f64 v[38:39], -v[30:31], v[36:37], 1.0
	v_fma_f64 v[36:37], v[36:37], v[38:39], v[36:37]
	v_div_scale_f64 v[38:39], vcc, v[34:35], v[32:33], v[34:35]
	v_fma_f64 v[49:50], -v[30:31], v[36:37], 1.0
	v_fma_f64 v[36:37], v[36:37], v[49:50], v[36:37]
	v_mul_f64 v[49:50], v[38:39], v[36:37]
	v_fma_f64 v[30:31], -v[30:31], v[49:50], v[38:39]
	v_div_fmas_f64 v[30:31], v[30:31], v[36:37], v[49:50]
	v_div_fixup_f64 v[30:31], v[30:31], v[32:33], v[34:35]
	v_fma_f64 v[30:31], v[30:31], v[30:31], 1.0
	v_cmp_gt_f64_e32 vcc, s[22:23], v[30:31]
	v_cndmask_b32_e32 v34, 0, v66, vcc
	v_ldexp_f64 v[30:31], v[30:31], v34
	v_rsq_f64_e32 v[34:35], v[30:31]
	v_mul_f64 v[36:37], v[30:31], v[34:35]
	v_mul_f64 v[34:35], v[34:35], 0.5
	v_fma_f64 v[38:39], -v[34:35], v[36:37], 0.5
	v_fma_f64 v[36:37], v[36:37], v[38:39], v[36:37]
	v_fma_f64 v[34:35], v[34:35], v[38:39], v[34:35]
	v_fma_f64 v[38:39], -v[36:37], v[36:37], v[30:31]
	v_fma_f64 v[36:37], v[38:39], v[34:35], v[36:37]
	v_fma_f64 v[38:39], -v[36:37], v[36:37], v[30:31]
	v_fma_f64 v[34:35], v[38:39], v[34:35], v[36:37]
	v_cndmask_b32_e32 v36, 0, v67, vcc
	v_cmp_class_f64_e32 vcc, v[30:31], v63
	v_ldexp_f64 v[34:35], v[34:35], v36
	v_cndmask_b32_e32 v31, v35, v31, vcc
	v_cndmask_b32_e32 v30, v34, v30, vcc
	v_mul_f64 v[30:31], v[32:33], v[30:31]
.LBB327_37:                             ;   in Loop: Header=BB327_5 Depth=1
	s_or_b64 exec, exec, s[4:5]
	v_cmp_gt_f64_e32 vcc, 0, v[8:9]
	v_xor_b32_e32 v32, 0x80000000, v9
	v_xor_b32_e32 v34, 0x80000000, v11
                                        ; implicit-def: $vgpr36_vgpr37
	v_cndmask_b32_e32 v33, v9, v32, vcc
	v_cmp_gt_f64_e32 vcc, 0, v[10:11]
	v_mov_b32_e32 v32, v8
	v_cndmask_b32_e32 v35, v11, v34, vcc
	v_mov_b32_e32 v34, v10
	v_cmp_ngt_f64_e32 vcc, v[32:33], v[34:35]
	s_and_saveexec_b64 s[4:5], vcc
	s_xor_b64 s[4:5], exec, s[4:5]
	s_cbranch_execz .LBB327_41
; %bb.38:                               ;   in Loop: Header=BB327_5 Depth=1
	v_cmp_neq_f64_e32 vcc, 0, v[10:11]
	v_mov_b32_e32 v36, 0
	v_mov_b32_e32 v37, 0
	s_and_saveexec_b64 s[26:27], vcc
	s_cbranch_execz .LBB327_40
; %bb.39:                               ;   in Loop: Header=BB327_5 Depth=1
	v_div_scale_f64 v[36:37], s[34:35], v[34:35], v[34:35], v[32:33]
	v_rcp_f64_e32 v[38:39], v[36:37]
	v_fma_f64 v[49:50], -v[36:37], v[38:39], 1.0
	v_fma_f64 v[38:39], v[38:39], v[49:50], v[38:39]
	v_div_scale_f64 v[49:50], vcc, v[32:33], v[34:35], v[32:33]
	v_fma_f64 v[51:52], -v[36:37], v[38:39], 1.0
	v_fma_f64 v[38:39], v[38:39], v[51:52], v[38:39]
	v_mul_f64 v[51:52], v[49:50], v[38:39]
	v_fma_f64 v[36:37], -v[36:37], v[51:52], v[49:50]
	v_div_fmas_f64 v[36:37], v[36:37], v[38:39], v[51:52]
	v_div_fixup_f64 v[32:33], v[36:37], v[34:35], v[32:33]
	v_fma_f64 v[32:33], v[32:33], v[32:33], 1.0
	v_cmp_gt_f64_e32 vcc, s[22:23], v[32:33]
	v_cndmask_b32_e32 v36, 0, v66, vcc
	v_ldexp_f64 v[32:33], v[32:33], v36
	v_rsq_f64_e32 v[36:37], v[32:33]
	v_mul_f64 v[38:39], v[32:33], v[36:37]
	v_mul_f64 v[36:37], v[36:37], 0.5
	v_fma_f64 v[49:50], -v[36:37], v[38:39], 0.5
	v_fma_f64 v[38:39], v[38:39], v[49:50], v[38:39]
	v_fma_f64 v[36:37], v[36:37], v[49:50], v[36:37]
	v_fma_f64 v[49:50], -v[38:39], v[38:39], v[32:33]
	v_fma_f64 v[38:39], v[49:50], v[36:37], v[38:39]
	v_fma_f64 v[49:50], -v[38:39], v[38:39], v[32:33]
	v_fma_f64 v[36:37], v[49:50], v[36:37], v[38:39]
	v_cndmask_b32_e32 v38, 0, v67, vcc
	v_cmp_class_f64_e32 vcc, v[32:33], v63
	v_ldexp_f64 v[36:37], v[36:37], v38
	v_cndmask_b32_e32 v33, v37, v33, vcc
	v_cndmask_b32_e32 v32, v36, v32, vcc
	v_mul_f64 v[36:37], v[34:35], v[32:33]
.LBB327_40:                             ;   in Loop: Header=BB327_5 Depth=1
	s_or_b64 exec, exec, s[26:27]
                                        ; implicit-def: $vgpr32_vgpr33
                                        ; implicit-def: $vgpr34_vgpr35
.LBB327_41:                             ;   in Loop: Header=BB327_5 Depth=1
	s_andn2_saveexec_b64 s[4:5], s[4:5]
	s_cbranch_execz .LBB327_43
; %bb.42:                               ;   in Loop: Header=BB327_5 Depth=1
	v_div_scale_f64 v[36:37], s[26:27], v[32:33], v[32:33], v[34:35]
	v_rcp_f64_e32 v[38:39], v[36:37]
	v_fma_f64 v[49:50], -v[36:37], v[38:39], 1.0
	v_fma_f64 v[38:39], v[38:39], v[49:50], v[38:39]
	v_div_scale_f64 v[49:50], vcc, v[34:35], v[32:33], v[34:35]
	v_fma_f64 v[51:52], -v[36:37], v[38:39], 1.0
	v_fma_f64 v[38:39], v[38:39], v[51:52], v[38:39]
	v_mul_f64 v[51:52], v[49:50], v[38:39]
	v_fma_f64 v[36:37], -v[36:37], v[51:52], v[49:50]
	v_div_fmas_f64 v[36:37], v[36:37], v[38:39], v[51:52]
	v_div_fixup_f64 v[34:35], v[36:37], v[32:33], v[34:35]
	v_fma_f64 v[34:35], v[34:35], v[34:35], 1.0
	v_cmp_gt_f64_e32 vcc, s[22:23], v[34:35]
	v_cndmask_b32_e32 v36, 0, v66, vcc
	v_ldexp_f64 v[34:35], v[34:35], v36
	v_rsq_f64_e32 v[36:37], v[34:35]
	v_mul_f64 v[38:39], v[34:35], v[36:37]
	v_mul_f64 v[36:37], v[36:37], 0.5
	v_fma_f64 v[49:50], -v[36:37], v[38:39], 0.5
	v_fma_f64 v[38:39], v[38:39], v[49:50], v[38:39]
	v_fma_f64 v[36:37], v[36:37], v[49:50], v[36:37]
	v_fma_f64 v[49:50], -v[38:39], v[38:39], v[34:35]
	v_fma_f64 v[38:39], v[49:50], v[36:37], v[38:39]
	v_fma_f64 v[49:50], -v[38:39], v[38:39], v[34:35]
	v_fma_f64 v[36:37], v[49:50], v[36:37], v[38:39]
	v_cndmask_b32_e32 v38, 0, v67, vcc
	v_cmp_class_f64_e32 vcc, v[34:35], v63
	v_ldexp_f64 v[36:37], v[36:37], v38
	v_cndmask_b32_e32 v35, v37, v35, vcc
	v_cndmask_b32_e32 v34, v36, v34, vcc
	v_mul_f64 v[36:37], v[32:33], v[34:35]
.LBB327_43:                             ;   in Loop: Header=BB327_5 Depth=1
	s_or_b64 exec, exec, s[4:5]
	v_cmp_gt_f64_e32 vcc, 0, v[0:1]
	v_xor_b32_e32 v32, 0x80000000, v1
	v_xor_b32_e32 v34, 0x80000000, v3
                                        ; implicit-def: $vgpr38_vgpr39
	v_cndmask_b32_e32 v33, v1, v32, vcc
	v_cmp_gt_f64_e32 vcc, 0, v[2:3]
	v_mov_b32_e32 v32, v0
	v_cndmask_b32_e32 v35, v3, v34, vcc
	v_mov_b32_e32 v34, v2
	v_cmp_ngt_f64_e32 vcc, v[32:33], v[34:35]
	s_and_saveexec_b64 s[4:5], vcc
	s_xor_b64 s[4:5], exec, s[4:5]
	s_cbranch_execz .LBB327_47
; %bb.44:                               ;   in Loop: Header=BB327_5 Depth=1
	v_cmp_neq_f64_e32 vcc, 0, v[2:3]
	v_mov_b32_e32 v38, 0
	v_mov_b32_e32 v39, 0
	s_and_saveexec_b64 s[26:27], vcc
	s_cbranch_execz .LBB327_46
; %bb.45:                               ;   in Loop: Header=BB327_5 Depth=1
	v_div_scale_f64 v[38:39], s[34:35], v[34:35], v[34:35], v[32:33]
	v_rcp_f64_e32 v[49:50], v[38:39]
	v_fma_f64 v[51:52], -v[38:39], v[49:50], 1.0
	v_fma_f64 v[49:50], v[49:50], v[51:52], v[49:50]
	v_div_scale_f64 v[51:52], vcc, v[32:33], v[34:35], v[32:33]
	v_fma_f64 v[53:54], -v[38:39], v[49:50], 1.0
	v_fma_f64 v[49:50], v[49:50], v[53:54], v[49:50]
	v_mul_f64 v[53:54], v[51:52], v[49:50]
	v_fma_f64 v[38:39], -v[38:39], v[53:54], v[51:52]
	v_div_fmas_f64 v[38:39], v[38:39], v[49:50], v[53:54]
	v_div_fixup_f64 v[32:33], v[38:39], v[34:35], v[32:33]
	v_fma_f64 v[32:33], v[32:33], v[32:33], 1.0
	v_cmp_gt_f64_e32 vcc, s[22:23], v[32:33]
	v_cndmask_b32_e32 v38, 0, v66, vcc
	v_ldexp_f64 v[32:33], v[32:33], v38
	v_cndmask_b32_e32 v44, 0, v67, vcc
	v_rsq_f64_e32 v[38:39], v[32:33]
	v_cmp_class_f64_e32 vcc, v[32:33], v63
	v_mul_f64 v[49:50], v[32:33], v[38:39]
	v_mul_f64 v[38:39], v[38:39], 0.5
	v_fma_f64 v[51:52], -v[38:39], v[49:50], 0.5
	v_fma_f64 v[49:50], v[49:50], v[51:52], v[49:50]
	v_fma_f64 v[38:39], v[38:39], v[51:52], v[38:39]
	v_fma_f64 v[51:52], -v[49:50], v[49:50], v[32:33]
	v_fma_f64 v[49:50], v[51:52], v[38:39], v[49:50]
	v_fma_f64 v[51:52], -v[49:50], v[49:50], v[32:33]
	v_fma_f64 v[38:39], v[51:52], v[38:39], v[49:50]
	v_ldexp_f64 v[38:39], v[38:39], v44
	v_cndmask_b32_e32 v33, v39, v33, vcc
	v_cndmask_b32_e32 v32, v38, v32, vcc
	v_mul_f64 v[38:39], v[34:35], v[32:33]
.LBB327_46:                             ;   in Loop: Header=BB327_5 Depth=1
	s_or_b64 exec, exec, s[26:27]
                                        ; implicit-def: $vgpr32_vgpr33
                                        ; implicit-def: $vgpr34_vgpr35
.LBB327_47:                             ;   in Loop: Header=BB327_5 Depth=1
	s_andn2_saveexec_b64 s[4:5], s[4:5]
	s_cbranch_execz .LBB327_49
; %bb.48:                               ;   in Loop: Header=BB327_5 Depth=1
	v_div_scale_f64 v[38:39], s[26:27], v[32:33], v[32:33], v[34:35]
	v_rcp_f64_e32 v[49:50], v[38:39]
	v_fma_f64 v[51:52], -v[38:39], v[49:50], 1.0
	v_fma_f64 v[49:50], v[49:50], v[51:52], v[49:50]
	v_div_scale_f64 v[51:52], vcc, v[34:35], v[32:33], v[34:35]
	v_fma_f64 v[53:54], -v[38:39], v[49:50], 1.0
	v_fma_f64 v[49:50], v[49:50], v[53:54], v[49:50]
	v_mul_f64 v[53:54], v[51:52], v[49:50]
	v_fma_f64 v[38:39], -v[38:39], v[53:54], v[51:52]
	v_div_fmas_f64 v[38:39], v[38:39], v[49:50], v[53:54]
	v_div_fixup_f64 v[34:35], v[38:39], v[32:33], v[34:35]
	v_fma_f64 v[34:35], v[34:35], v[34:35], 1.0
	v_cmp_gt_f64_e32 vcc, s[22:23], v[34:35]
	v_cndmask_b32_e32 v38, 0, v66, vcc
	v_ldexp_f64 v[34:35], v[34:35], v38
	v_cndmask_b32_e32 v44, 0, v67, vcc
	v_rsq_f64_e32 v[38:39], v[34:35]
	v_cmp_class_f64_e32 vcc, v[34:35], v63
	v_mul_f64 v[49:50], v[34:35], v[38:39]
	v_mul_f64 v[38:39], v[38:39], 0.5
	v_fma_f64 v[51:52], -v[38:39], v[49:50], 0.5
	v_fma_f64 v[49:50], v[49:50], v[51:52], v[49:50]
	v_fma_f64 v[38:39], v[38:39], v[51:52], v[38:39]
	v_fma_f64 v[51:52], -v[49:50], v[49:50], v[34:35]
	v_fma_f64 v[49:50], v[51:52], v[38:39], v[49:50]
	v_fma_f64 v[51:52], -v[49:50], v[49:50], v[34:35]
	v_fma_f64 v[38:39], v[51:52], v[38:39], v[49:50]
	v_ldexp_f64 v[38:39], v[38:39], v44
	v_cndmask_b32_e32 v35, v39, v35, vcc
	v_cndmask_b32_e32 v34, v38, v34, vcc
	v_mul_f64 v[38:39], v[32:33], v[34:35]
.LBB327_49:                             ;   in Loop: Header=BB327_5 Depth=1
	s_or_b64 exec, exec, s[4:5]
	v_mul_f64 v[32:33], v[18:19], -v[6:7]
	v_mul_f64 v[49:50], v[18:19], v[4:5]
                                        ; implicit-def: $vgpr53_vgpr54
	v_fma_f64 v[34:35], v[4:5], v[16:17], v[32:33]
	v_fma_f64 v[32:33], v[6:7], v[16:17], v[49:50]
	v_cmp_gt_f64_e32 vcc, 0, v[34:35]
	v_xor_b32_e32 v44, 0x80000000, v35
	v_xor_b32_e32 v51, 0x80000000, v33
	v_mov_b32_e32 v49, v34
	v_cndmask_b32_e32 v50, v35, v44, vcc
	v_cmp_gt_f64_e32 vcc, 0, v[32:33]
	v_cndmask_b32_e32 v52, v33, v51, vcc
	v_mov_b32_e32 v51, v32
	v_cmp_ngt_f64_e32 vcc, v[49:50], v[51:52]
	s_and_saveexec_b64 s[4:5], vcc
	s_xor_b64 s[4:5], exec, s[4:5]
	s_cbranch_execz .LBB327_53
; %bb.50:                               ;   in Loop: Header=BB327_5 Depth=1
	v_cmp_neq_f64_e32 vcc, 0, v[32:33]
	v_mov_b32_e32 v53, 0
	v_mov_b32_e32 v54, 0
	s_and_saveexec_b64 s[26:27], vcc
	s_cbranch_execz .LBB327_52
; %bb.51:                               ;   in Loop: Header=BB327_5 Depth=1
	v_div_scale_f64 v[53:54], s[34:35], v[51:52], v[51:52], v[49:50]
	v_rcp_f64_e32 v[55:56], v[53:54]
	v_fma_f64 v[57:58], -v[53:54], v[55:56], 1.0
	v_fma_f64 v[55:56], v[55:56], v[57:58], v[55:56]
	v_div_scale_f64 v[57:58], vcc, v[49:50], v[51:52], v[49:50]
	v_fma_f64 v[59:60], -v[53:54], v[55:56], 1.0
	v_fma_f64 v[55:56], v[55:56], v[59:60], v[55:56]
	v_mul_f64 v[59:60], v[57:58], v[55:56]
	v_fma_f64 v[53:54], -v[53:54], v[59:60], v[57:58]
	v_div_fmas_f64 v[53:54], v[53:54], v[55:56], v[59:60]
	v_div_fixup_f64 v[49:50], v[53:54], v[51:52], v[49:50]
	v_fma_f64 v[49:50], v[49:50], v[49:50], 1.0
	v_cmp_gt_f64_e32 vcc, s[22:23], v[49:50]
	v_cndmask_b32_e32 v44, 0, v66, vcc
	v_ldexp_f64 v[49:50], v[49:50], v44
	v_cndmask_b32_e32 v44, 0, v67, vcc
	v_rsq_f64_e32 v[53:54], v[49:50]
	v_cmp_class_f64_e32 vcc, v[49:50], v63
	v_mul_f64 v[55:56], v[49:50], v[53:54]
	v_mul_f64 v[53:54], v[53:54], 0.5
	v_fma_f64 v[57:58], -v[53:54], v[55:56], 0.5
	v_fma_f64 v[55:56], v[55:56], v[57:58], v[55:56]
	v_fma_f64 v[53:54], v[53:54], v[57:58], v[53:54]
	v_fma_f64 v[57:58], -v[55:56], v[55:56], v[49:50]
	v_fma_f64 v[55:56], v[57:58], v[53:54], v[55:56]
	v_fma_f64 v[57:58], -v[55:56], v[55:56], v[49:50]
	v_fma_f64 v[53:54], v[57:58], v[53:54], v[55:56]
	v_ldexp_f64 v[53:54], v[53:54], v44
	v_cndmask_b32_e32 v50, v54, v50, vcc
	v_cndmask_b32_e32 v49, v53, v49, vcc
	v_mul_f64 v[53:54], v[51:52], v[49:50]
.LBB327_52:                             ;   in Loop: Header=BB327_5 Depth=1
	s_or_b64 exec, exec, s[26:27]
                                        ; implicit-def: $vgpr49_vgpr50
                                        ; implicit-def: $vgpr51_vgpr52
.LBB327_53:                             ;   in Loop: Header=BB327_5 Depth=1
	s_andn2_saveexec_b64 s[4:5], s[4:5]
	s_cbranch_execz .LBB327_55
; %bb.54:                               ;   in Loop: Header=BB327_5 Depth=1
	v_div_scale_f64 v[53:54], s[26:27], v[49:50], v[49:50], v[51:52]
	v_rcp_f64_e32 v[55:56], v[53:54]
	v_fma_f64 v[57:58], -v[53:54], v[55:56], 1.0
	v_fma_f64 v[55:56], v[55:56], v[57:58], v[55:56]
	v_div_scale_f64 v[57:58], vcc, v[51:52], v[49:50], v[51:52]
	v_fma_f64 v[59:60], -v[53:54], v[55:56], 1.0
	v_fma_f64 v[55:56], v[55:56], v[59:60], v[55:56]
	v_mul_f64 v[59:60], v[57:58], v[55:56]
	v_fma_f64 v[53:54], -v[53:54], v[59:60], v[57:58]
	v_div_fmas_f64 v[53:54], v[53:54], v[55:56], v[59:60]
	v_div_fixup_f64 v[51:52], v[53:54], v[49:50], v[51:52]
	v_fma_f64 v[51:52], v[51:52], v[51:52], 1.0
	v_cmp_gt_f64_e32 vcc, s[22:23], v[51:52]
	v_cndmask_b32_e32 v44, 0, v66, vcc
	v_ldexp_f64 v[51:52], v[51:52], v44
	v_cndmask_b32_e32 v44, 0, v67, vcc
	v_rsq_f64_e32 v[53:54], v[51:52]
	v_cmp_class_f64_e32 vcc, v[51:52], v63
	v_mul_f64 v[55:56], v[51:52], v[53:54]
	v_mul_f64 v[53:54], v[53:54], 0.5
	v_fma_f64 v[57:58], -v[53:54], v[55:56], 0.5
	v_fma_f64 v[55:56], v[55:56], v[57:58], v[55:56]
	v_fma_f64 v[53:54], v[53:54], v[57:58], v[53:54]
	v_fma_f64 v[57:58], -v[55:56], v[55:56], v[51:52]
	v_fma_f64 v[55:56], v[57:58], v[53:54], v[55:56]
	v_fma_f64 v[57:58], -v[55:56], v[55:56], v[51:52]
	v_fma_f64 v[53:54], v[57:58], v[53:54], v[55:56]
	v_ldexp_f64 v[53:54], v[53:54], v44
	v_cndmask_b32_e32 v52, v54, v52, vcc
	v_cndmask_b32_e32 v51, v53, v51, vcc
	v_mul_f64 v[53:54], v[49:50], v[51:52]
.LBB327_55:                             ;   in Loop: Header=BB327_5 Depth=1
	s_or_b64 exec, exec, s[4:5]
	v_cmp_lt_f64_e32 vcc, v[24:25], v[26:27]
	v_cmp_ne_u32_e64 s[4:5], s30, v43
	v_cndmask_b32_e32 v25, v25, v27, vcc
	v_cndmask_b32_e32 v24, v24, v26, vcc
	v_cmp_lt_f64_e32 vcc, v[28:29], v[24:25]
	v_mul_f64 v[26:27], v[53:54], s[24:25]
	v_cndmask_b32_e32 v25, v29, v25, vcc
	v_cndmask_b32_e32 v24, v28, v24, vcc
	v_cmp_lt_f64_e32 vcc, v[30:31], v[24:25]
	v_cndmask_b32_e32 v25, v31, v25, vcc
	v_cndmask_b32_e32 v24, v30, v24, vcc
	v_cmp_lt_f64_e32 vcc, v[36:37], v[24:25]
	v_cndmask_b32_e32 v25, v37, v25, vcc
	v_cndmask_b32_e32 v24, v36, v24, vcc
	v_mul_f64 v[24:25], v[24:25], v[38:39]
	v_cmp_nge_f64_e32 vcc, v[24:25], v[26:27]
	s_and_b64 s[4:5], s[4:5], vcc
	s_and_saveexec_b64 s[26:27], s[4:5]
	s_xor_b64 s[4:5], exec, s[26:27]
	s_cbranch_execz .LBB327_61
; %bb.56:                               ;   in Loop: Header=BB327_5 Depth=1
	v_mul_f64 v[26:27], v[0:1], v[22:23]
	v_mul_f64 v[24:25], v[22:23], -v[2:3]
	v_ashrrev_i32_e32 v44, 31, v43
	v_add_u32_e32 v53, v61, v43
	v_ashrrev_i32_e32 v54, 31, v53
	v_lshlrev_b64 v[55:56], 4, v[53:54]
	v_fma_f64 v[26:27], v[2:3], v[20:21], v[26:27]
	v_fma_f64 v[24:25], v[0:1], v[20:21], v[24:25]
	v_add_f64 v[26:27], v[26:27], -v[32:33]
	v_add_f64 v[24:25], v[24:25], -v[34:35]
	v_mul_f64 v[28:29], v[26:27], v[26:27]
	v_fma_f64 v[28:29], v[24:25], v[24:25], v[28:29]
	v_div_scale_f64 v[30:31], s[26:27], v[28:29], v[28:29], 1.0
	v_rcp_f64_e32 v[32:33], v[30:31]
	v_fma_f64 v[34:35], -v[30:31], v[32:33], 1.0
	v_fma_f64 v[32:33], v[32:33], v[34:35], v[32:33]
	v_fma_f64 v[34:35], -v[30:31], v[32:33], 1.0
	v_fma_f64 v[32:33], v[32:33], v[34:35], v[32:33]
	v_div_scale_f64 v[34:35], vcc, 1.0, v[28:29], 1.0
	v_mul_f64 v[36:37], v[34:35], v[32:33]
	v_fma_f64 v[30:31], -v[30:31], v[36:37], v[34:35]
	s_nop 1
	v_div_fmas_f64 v[30:31], v[30:31], v[32:33], v[36:37]
	v_mov_b32_e32 v32, s13
	v_mov_b32_e32 v36, s13
	v_div_fixup_f64 v[28:29], v[30:31], v[28:29], 1.0
	v_fma_f64 v[30:31], v[26:27], 0, v[24:25]
	v_fma_f64 v[24:25], v[24:25], 0, -v[26:27]
	v_mul_f64 v[49:50], v[30:31], v[28:29]
	v_mul_f64 v[51:52], v[24:25], v[28:29]
	v_lshlrev_b64 v[24:25], 4, v[43:44]
	v_mov_b32_e32 v28, s11
	v_add_co_u32_e32 v72, vcc, v41, v24
	v_addc_co_u32_e32 v73, vcc, v42, v25, vcc
	v_add_co_u32_e32 v57, vcc, s10, v55
	v_addc_co_u32_e32 v58, vcc, v28, v56, vcc
	global_load_dwordx4 v[24:27], v[72:73], off
	global_load_dwordx4 v[28:31], v[57:58], off
	v_add_co_u32_e32 v74, vcc, s12, v47
	v_addc_co_u32_e32 v75, vcc, v32, v48, vcc
	global_load_dwordx4 v[32:35], v[74:75], off
	v_add_co_u32_e32 v59, vcc, s12, v55
	v_addc_co_u32_e32 v60, vcc, v36, v56, vcc
	global_load_dwordx4 v[36:39], v[59:60], off
	s_waitcnt vmcnt(3)
	v_mul_f64 v[70:71], v[20:21], v[26:27]
	s_waitcnt vmcnt(2)
	v_mul_f64 v[78:79], v[16:17], v[30:31]
	v_mul_f64 v[68:69], v[26:27], -v[22:23]
	v_mul_f64 v[76:77], v[30:31], -v[18:19]
	v_fma_f64 v[70:71], v[22:23], v[24:25], v[70:71]
	v_fma_f64 v[78:79], v[18:19], v[28:29], v[78:79]
	;; [unrolled: 1-line block ×4, first 2 shown]
	v_add_f64 v[70:71], v[70:71], -v[78:79]
	v_add_f64 v[76:77], v[68:69], -v[76:77]
	v_mul_f64 v[68:69], v[51:52], -v[70:71]
	v_fma_f64 v[68:69], v[76:77], v[49:50], v[68:69]
	v_mul_f64 v[76:77], v[51:52], v[76:77]
	v_fma_f64 v[70:71], v[70:71], v[49:50], v[76:77]
	global_store_dwordx4 v[72:73], v[68:71], off
	s_waitcnt vmcnt(2)
	v_mul_f64 v[68:69], v[34:35], -v[22:23]
	s_waitcnt vmcnt(1)
	v_mul_f64 v[70:71], v[16:17], v[38:39]
	v_fma_f64 v[68:69], v[20:21], v[32:33], v[68:69]
	v_mul_f64 v[20:21], v[20:21], v[34:35]
	v_fma_f64 v[70:71], v[18:19], v[36:37], v[70:71]
	v_fma_f64 v[20:21], v[22:23], v[32:33], v[20:21]
	v_mul_f64 v[22:23], v[38:39], -v[18:19]
	v_fma_f64 v[22:23], v[16:17], v[36:37], v[22:23]
	v_add_f64 v[22:23], v[68:69], -v[22:23]
	v_add_f64 v[68:69], v[20:21], -v[70:71]
	v_mul_f64 v[20:21], v[51:52], -v[68:69]
	v_fma_f64 v[20:21], v[22:23], v[49:50], v[20:21]
	v_mul_f64 v[22:23], v[51:52], v[22:23]
	v_fma_f64 v[22:23], v[68:69], v[49:50], v[22:23]
	global_store_dwordx4 v[74:75], v[20:23], off
	s_nop 0
	v_mul_f64 v[20:21], v[18:19], v[10:11]
	v_fma_f64 v[20:21], -v[16:17], v[8:9], v[20:21]
	v_mul_f64 v[16:17], v[10:11], -v[16:17]
	v_fma_f64 v[18:19], -v[18:19], v[8:9], v[16:17]
	v_mul_f64 v[16:17], v[51:52], -v[18:19]
	v_fma_f64 v[16:17], v[20:21], v[49:50], v[16:17]
	v_mul_f64 v[20:21], v[51:52], v[20:21]
	v_fma_f64 v[18:19], v[18:19], v[49:50], v[20:21]
	v_add_co_u32_e32 v20, vcc, s14, v47
	v_mov_b32_e32 v21, s15
	v_addc_co_u32_e32 v21, vcc, v21, v48, vcc
	global_store_dwordx4 v[20:21], v[16:19], off
	s_nop 0
	v_lshlrev_b64 v[16:17], 2, v[45:46]
	v_mov_b32_e32 v18, s7
	v_add_co_u32_e32 v16, vcc, s6, v16
	v_addc_co_u32_e32 v17, vcc, v18, v17, vcc
	global_store_dword v[16:17], v64, off
	s_and_saveexec_b64 s[26:27], s[0:1]
	s_cbranch_execz .LBB327_58
; %bb.57:                               ;   in Loop: Header=BB327_5 Depth=1
	v_mul_f64 v[16:17], v[6:7], v[26:27]
	v_mul_f64 v[18:19], v[26:27], -v[4:5]
	v_mul_f64 v[20:21], v[30:31], -v[2:3]
	v_mul_f64 v[22:23], v[0:1], v[30:31]
	v_mul_f64 v[44:45], v[6:7], v[34:35]
	v_mul_f64 v[34:35], v[34:35], -v[4:5]
	v_mul_f64 v[46:47], v[0:1], v[38:39]
	v_mul_f64 v[38:39], v[38:39], -v[2:3]
	v_fma_f64 v[16:17], -v[4:5], v[24:25], v[16:17]
	v_fma_f64 v[18:19], -v[6:7], v[24:25], v[18:19]
	v_fma_f64 v[20:21], v[0:1], v[28:29], v[20:21]
	v_fma_f64 v[22:23], v[2:3], v[28:29], v[22:23]
	v_fma_f64 v[44:45], -v[4:5], v[32:33], v[44:45]
	v_fma_f64 v[32:33], -v[6:7], v[32:33], v[34:35]
	v_fma_f64 v[34:35], v[2:3], v[36:37], v[46:47]
	v_fma_f64 v[36:37], v[0:1], v[36:37], v[38:39]
	v_mul_f64 v[38:39], v[0:1], v[10:11]
	v_mul_f64 v[46:47], v[10:11], -v[2:3]
	v_add_f64 v[16:17], v[16:17], v[20:21]
	v_add_f64 v[18:19], v[18:19], v[22:23]
	;; [unrolled: 1-line block ×4, first 2 shown]
	v_fma_f64 v[34:35], v[2:3], v[8:9], v[38:39]
	v_fma_f64 v[32:33], v[0:1], v[8:9], v[46:47]
	v_mul_f64 v[38:39], v[51:52], v[16:17]
	v_mul_f64 v[36:37], v[51:52], -v[18:19]
	v_mul_f64 v[44:45], v[51:52], -v[22:23]
	v_mul_f64 v[46:47], v[51:52], v[20:21]
	v_mul_f64 v[68:69], v[51:52], -v[34:35]
	v_mul_f64 v[70:71], v[51:52], v[32:33]
	v_fma_f64 v[18:19], v[18:19], v[49:50], v[38:39]
	v_fma_f64 v[16:17], v[16:17], v[49:50], v[36:37]
	v_mov_b32_e32 v36, s15
	v_fma_f64 v[20:21], v[20:21], v[49:50], v[44:45]
	v_fma_f64 v[22:23], v[22:23], v[49:50], v[46:47]
	;; [unrolled: 1-line block ×4, first 2 shown]
	global_store_dwordx4 v[57:58], v[16:19], off
	global_store_dwordx4 v[59:60], v[20:23], off
	v_add_co_u32_e32 v16, vcc, s14, v55
	v_addc_co_u32_e32 v17, vcc, v36, v56, vcc
	global_store_dwordx4 v[16:17], v[32:35], off
	v_lshlrev_b64 v[16:17], 2, v[53:54]
	v_mov_b32_e32 v18, s7
	v_add_co_u32_e32 v16, vcc, s6, v16
	v_addc_co_u32_e32 v17, vcc, v18, v17, vcc
	global_store_dword v[16:17], v64, off
.LBB327_58:                             ;   in Loop: Header=BB327_5 Depth=1
	s_or_b64 exec, exec, s[26:27]
	v_mov_b32_e32 v16, 0
	v_mov_b32_e32 v18, 0
	;; [unrolled: 1-line block ×4, first 2 shown]
	s_and_saveexec_b64 s[26:27], s[2:3]
	s_cbranch_execz .LBB327_60
; %bb.59:                               ;   in Loop: Header=BB327_5 Depth=1
	v_add_u32_e32 v16, v62, v43
	v_ashrrev_i32_e32 v17, 31, v16
	v_lshlrev_b64 v[20:21], 4, v[16:17]
	v_mov_b32_e32 v16, s11
	v_add_co_u32_e32 v32, vcc, s10, v20
	v_addc_co_u32_e32 v33, vcc, v16, v21, vcc
	v_mov_b32_e32 v22, s19
	v_add_co_u32_e32 v20, vcc, s18, v20
	v_addc_co_u32_e32 v21, vcc, v22, v21, vcc
	global_load_dwordx4 v[16:19], v[32:33], off
	v_mul_f64 v[34:35], v[6:7], v[14:15]
	global_load_dwordx4 v[20:23], v[20:21], off
	v_mul_f64 v[36:37], v[14:15], -v[4:5]
	v_mul_f64 v[38:39], v[14:15], -v[2:3]
	v_mul_f64 v[44:45], v[0:1], v[14:15]
	v_fma_f64 v[4:5], -v[4:5], v[12:13], v[34:35]
	v_fma_f64 v[6:7], -v[6:7], v[12:13], v[36:37]
	v_fma_f64 v[34:35], v[0:1], v[12:13], v[38:39]
	v_fma_f64 v[36:37], v[2:3], v[12:13], v[44:45]
	v_mul_f64 v[38:39], v[2:3], -v[14:15]
	v_mul_f64 v[2:3], v[2:3], v[12:13]
	v_mul_f64 v[44:45], v[51:52], v[4:5]
	v_mul_f64 v[46:47], v[51:52], -v[6:7]
	v_mul_f64 v[53:54], v[51:52], v[34:35]
	v_mul_f64 v[55:56], v[51:52], -v[36:37]
	v_fma_f64 v[12:13], v[12:13], v[0:1], v[38:39]
	v_fma_f64 v[0:1], v[14:15], v[0:1], v[2:3]
	;; [unrolled: 1-line block ×6, first 2 shown]
	v_mul_f64 v[34:35], v[10:11], v[12:13]
	v_mul_f64 v[10:11], v[10:11], -v[0:1]
	v_mul_f64 v[36:37], v[2:3], v[26:27]
	v_mul_f64 v[26:27], v[26:27], -v[4:5]
	v_mul_f64 v[38:39], v[30:31], -v[6:7]
	v_mul_f64 v[30:31], v[14:15], v[30:31]
	v_fma_f64 v[0:1], v[0:1], v[8:9], v[34:35]
	v_fma_f64 v[8:9], v[12:13], v[8:9], v[10:11]
	v_fma_f64 v[4:5], -v[4:5], v[24:25], v[36:37]
	v_fma_f64 v[2:3], -v[2:3], v[24:25], v[26:27]
	v_fma_f64 v[10:11], v[14:15], v[28:29], v[38:39]
	v_fma_f64 v[6:7], v[6:7], v[28:29], v[30:31]
	v_mul_f64 v[12:13], v[51:52], -v[0:1]
	v_mul_f64 v[14:15], v[51:52], v[8:9]
	v_add_f64 v[4:5], v[4:5], -v[10:11]
	v_add_f64 v[2:3], v[2:3], -v[6:7]
	v_fma_f64 v[6:7], v[8:9], v[49:50], v[12:13]
	v_fma_f64 v[8:9], v[0:1], v[49:50], v[14:15]
	s_waitcnt vmcnt(1)
	v_add_f64 v[0:1], v[4:5], v[16:17]
	v_add_f64 v[2:3], v[2:3], v[18:19]
	s_waitcnt vmcnt(0)
	v_add_f64 v[18:19], v[20:21], -v[6:7]
	v_add_f64 v[16:17], v[22:23], -v[8:9]
	global_store_dwordx4 v[32:33], v[0:3], off
.LBB327_60:                             ;   in Loop: Header=BB327_5 Depth=1
	s_or_b64 exec, exec, s[26:27]
	v_mov_b32_e32 v2, v16
	v_mov_b32_e32 v0, v18
	;; [unrolled: 1-line block ×4, first 2 shown]
                                        ; implicit-def: $vgpr4_vgpr5
                                        ; implicit-def: $vgpr20_vgpr21
                                        ; implicit-def: $vgpr34_vgpr35
                                        ; implicit-def: $vgpr32_vgpr33
                                        ; implicit-def: $vgpr45_vgpr46
                                        ; implicit-def: $vgpr47_vgpr48
                                        ; implicit-def: $vgpr18_vgpr19
.LBB327_61:                             ;   in Loop: Header=BB327_5 Depth=1
	s_or_saveexec_b64 s[2:3], s[4:5]
	v_mov_b32_e32 v8, s33
	s_xor_b64 exec, exec, s[2:3]
	s_cbranch_execz .LBB327_4
; %bb.62:                               ;   in Loop: Header=BB327_5 Depth=1
	v_mul_f64 v[8:9], v[2:3], v[2:3]
	v_ashrrev_i32_e32 v44, 31, v43
	v_mov_b32_e32 v12, s13
	v_mov_b32_e32 v53, s15
	v_fma_f64 v[24:25], v[0:1], v[0:1], v[8:9]
	v_lshlrev_b64 v[8:9], 4, v[43:44]
	v_lshlrev_b64 v[44:45], 2, v[45:46]
	v_add_co_u32_e32 v30, vcc, v41, v8
	v_addc_co_u32_e32 v31, vcc, v42, v9, vcc
	v_add_co_u32_e32 v38, vcc, s12, v47
	v_div_scale_f64 v[26:27], s[4:5], v[24:25], v[24:25], 1.0
	global_load_dwordx4 v[8:11], v[30:31], off
	v_addc_co_u32_e32 v39, vcc, v12, v48, vcc
	global_load_dwordx4 v[12:15], v[38:39], off
	v_mov_b32_e32 v46, s7
	v_rcp_f64_e32 v[28:29], v[26:27]
	v_fma_f64 v[36:37], -v[26:27], v[28:29], 1.0
	v_fma_f64 v[28:29], v[28:29], v[36:37], v[28:29]
	v_div_scale_f64 v[36:37], vcc, 1.0, v[24:25], 1.0
	v_fma_f64 v[49:50], -v[26:27], v[28:29], 1.0
	v_fma_f64 v[28:29], v[28:29], v[49:50], v[28:29]
	v_mul_f64 v[49:50], v[36:37], v[28:29]
	v_fma_f64 v[26:27], -v[26:27], v[49:50], v[36:37]
	v_div_fmas_f64 v[26:27], v[26:27], v[28:29], v[49:50]
	v_fma_f64 v[28:29], v[0:1], 0, -v[2:3]
	v_fma_f64 v[2:3], v[2:3], 0, v[0:1]
	v_div_fixup_f64 v[24:25], v[26:27], v[24:25], 1.0
	v_mul_f64 v[0:1], v[28:29], v[24:25]
	v_mul_f64 v[2:3], v[2:3], v[24:25]
	v_mul_f64 v[24:25], v[0:1], -v[18:19]
	v_mul_f64 v[26:27], v[0:1], v[16:17]
	s_waitcnt vmcnt(1)
	v_mul_f64 v[28:29], v[0:1], -v[10:11]
	v_mul_f64 v[36:37], v[0:1], v[8:9]
	s_waitcnt vmcnt(0)
	v_mul_f64 v[49:50], v[0:1], -v[14:15]
	v_mul_f64 v[51:52], v[0:1], v[12:13]
	v_fma_f64 v[16:17], v[16:17], v[2:3], v[24:25]
	v_fma_f64 v[18:19], v[18:19], v[2:3], v[26:27]
	v_fma_f64 v[24:25], v[8:9], v[2:3], v[28:29]
	v_fma_f64 v[26:27], v[10:11], v[2:3], v[36:37]
	v_fma_f64 v[12:13], v[12:13], v[2:3], v[49:50]
	v_fma_f64 v[14:15], v[14:15], v[2:3], v[51:52]
	v_add_co_u32_e32 v28, vcc, s14, v47
	v_addc_co_u32_e32 v29, vcc, v53, v48, vcc
	v_add_co_u32_e32 v36, vcc, s6, v44
	v_addc_co_u32_e32 v37, vcc, v46, v45, vcc
	global_store_dwordx4 v[30:31], v[24:27], off
	global_store_dwordx4 v[38:39], v[12:15], off
	;; [unrolled: 1-line block ×3, first 2 shown]
	global_store_dword v[36:37], v65, off
	s_and_saveexec_b64 s[4:5], s[0:1]
	s_cbranch_execz .LBB327_3
; %bb.63:                               ;   in Loop: Header=BB327_5 Depth=1
	v_add_u32_e32 v12, v61, v43
	v_ashrrev_i32_e32 v13, 31, v12
	v_lshlrev_b64 v[12:13], 4, v[12:13]
	v_mov_b32_e32 v14, s11
	v_add_co_u32_e32 v16, vcc, s10, v12
	v_addc_co_u32_e32 v17, vcc, v14, v13, vcc
	global_load_dwordx4 v[12:15], v[16:17], off
	v_mul_f64 v[18:19], v[0:1], v[4:5]
	v_mul_f64 v[24:25], v[0:1], -v[6:7]
	v_fma_f64 v[6:7], v[6:7], v[2:3], v[18:19]
	v_fma_f64 v[4:5], v[4:5], v[2:3], v[24:25]
	v_mul_f64 v[18:19], v[6:7], v[10:11]
	v_mul_f64 v[10:11], v[10:11], -v[4:5]
	v_fma_f64 v[4:5], -v[4:5], v[8:9], v[18:19]
	v_fma_f64 v[6:7], -v[6:7], v[8:9], v[10:11]
	s_waitcnt vmcnt(0)
	v_add_f64 v[4:5], v[4:5], v[12:13]
	v_add_f64 v[6:7], v[6:7], v[14:15]
	global_store_dwordx4 v[16:17], v[4:7], off
	s_branch .LBB327_3
.LBB327_64:
	s_or_b64 exec, exec, s[20:21]
.LBB327_65:
	v_subrev_u32_e32 v2, s28, v43
	v_add_u32_e32 v0, v2, v40
	v_ashrrev_i32_e32 v1, 31, v0
	v_lshlrev_b64 v[0:1], 2, v[0:1]
	s_waitcnt lgkmcnt(0)
	v_mov_b32_e32 v3, s7
	v_add_co_u32_e32 v0, vcc, s6, v0
	v_addc_co_u32_e32 v1, vcc, v3, v1, vcc
	s_waitcnt vmcnt(0)
	buffer_wbinvl1_vol
	global_load_dword v0, v[0:1], off
	s_waitcnt vmcnt(0)
	v_mul_lo_u32 v0, v0, s28
	v_sub_u32_e32 v4, v2, v0
	v_cmp_lt_i32_e32 vcc, -1, v4
	s_and_b64 exec, exec, vcc
	s_cbranch_execz .LBB327_72
; %bb.66:
	v_subrev_u32_e32 v14, s28, v40
	s_lshl_b32 s4, s28, 1
	s_mov_b64 s[0:1], 0
	v_mov_b32_e32 v15, s7
	v_mov_b32_e32 v16, s15
	s_branch .LBB327_68
.LBB327_67:                             ;   in Loop: Header=BB327_68 Depth=1
	s_or_b64 exec, exec, s[2:3]
	s_waitcnt vmcnt(0)
	v_lshlrev_b64 v[0:1], 4, v[6:7]
	v_mov_b32_e32 v2, s13
	v_add_co_u32_e32 v6, vcc, s12, v0
	v_addc_co_u32_e32 v7, vcc, v2, v1, vcc
	global_load_dwordx4 v[0:3], v[6:7], off
	v_sub_u32_e32 v4, v4, v5
	v_cmp_gt_i32_e32 vcc, 0, v4
	s_or_b64 s[0:1], vcc, s[0:1]
	s_waitcnt vmcnt(0)
	v_add_f64 v[0:1], v[0:1], v[10:11]
	v_add_f64 v[2:3], v[12:13], v[2:3]
	global_store_dwordx4 v[6:7], v[0:3], off
	s_andn2_b64 exec, exec, s[0:1]
	s_cbranch_execz .LBB327_72
.LBB327_68:                             ; =>This Inner Loop Header: Depth=1
	v_add_u32_e32 v6, v4, v40
	v_ashrrev_i32_e32 v7, 31, v6
	v_lshlrev_b64 v[0:1], 2, v[6:7]
	v_lshlrev_b64 v[8:9], 4, v[6:7]
	v_add_co_u32_e32 v0, vcc, s6, v0
	v_addc_co_u32_e32 v1, vcc, v15, v1, vcc
	global_load_dword v5, v[0:1], off
	v_add_co_u32_e32 v0, vcc, s14, v8
	v_addc_co_u32_e32 v1, vcc, v16, v9, vcc
	global_load_dwordx4 v[0:3], v[0:1], off
                                        ; implicit-def: $vgpr12_vgpr13
                                        ; implicit-def: $vgpr10_vgpr11
	s_waitcnt vmcnt(1)
	v_cmp_ne_u32_e32 vcc, 1, v5
	s_and_saveexec_b64 s[2:3], vcc
	s_xor_b64 s[2:3], exec, s[2:3]
	s_cbranch_execz .LBB327_70
; %bb.69:                               ;   in Loop: Header=BB327_68 Depth=1
	v_add_u32_e32 v5, v61, v4
	v_ashrrev_i32_e32 v6, 31, v5
	v_lshlrev_b64 v[5:6], 4, v[5:6]
	v_mov_b32_e32 v7, s11
	v_add_co_u32_e32 v29, vcc, s10, v5
	v_addc_co_u32_e32 v30, vcc, v7, v6, vcc
	global_load_dwordx4 v[10:13], v[29:30], off
	v_mov_b32_e32 v7, s13
	v_add_co_u32_e32 v31, vcc, s12, v5
	v_ashrrev_i32_e32 v5, 31, v4
	v_addc_co_u32_e32 v32, vcc, v7, v6, vcc
	v_lshlrev_b64 v[5:6], 4, v[4:5]
	global_load_dwordx4 v[17:20], v[31:32], off
	v_add_co_u32_e32 v33, vcc, v41, v5
	v_addc_co_u32_e32 v34, vcc, v42, v6, vcc
	global_load_dwordx4 v[21:24], v[33:34], off
	v_mov_b32_e32 v5, s13
	v_add_co_u32_e32 v35, vcc, s12, v8
	v_addc_co_u32_e32 v36, vcc, v5, v9, vcc
	global_load_dwordx4 v[25:28], v[35:36], off
	s_waitcnt vmcnt(3)
	v_mul_f64 v[5:6], v[2:3], v[12:13]
	v_mul_f64 v[7:8], v[12:13], -v[0:1]
	s_waitcnt vmcnt(2)
	v_mul_f64 v[12:13], v[2:3], v[19:20]
	v_fma_f64 v[37:38], -v[0:1], v[10:11], v[5:6]
	v_fma_f64 v[10:11], -v[2:3], v[10:11], v[7:8]
	v_mul_f64 v[19:20], v[19:20], -v[0:1]
	v_add_u32_e32 v6, v14, v4
	v_ashrrev_i32_e32 v7, 31, v6
	v_lshlrev_b64 v[43:44], 4, v[6:7]
	v_mov_b32_e32 v5, s15
	v_fma_f64 v[12:13], -v[0:1], v[17:18], v[12:13]
	s_waitcnt vmcnt(1)
	v_add_f64 v[8:9], v[21:22], v[37:38]
	v_add_f64 v[10:11], v[10:11], v[23:24]
	v_add_co_u32_e32 v0, vcc, s14, v43
	v_fma_f64 v[19:20], -v[2:3], v[17:18], v[19:20]
	v_addc_co_u32_e32 v1, vcc, v5, v44, vcc
	global_load_dwordx4 v[0:3], v[0:1], off
	s_waitcnt vmcnt(1)
	v_add_f64 v[17:18], v[25:26], v[12:13]
	global_store_dwordx4 v[33:34], v[8:11], off
	global_load_dwordx4 v[8:11], v[29:30], off
	v_mov_b32_e32 v5, s11
	v_add_f64 v[19:20], v[19:20], v[27:28]
	v_add_co_u32_e32 v25, vcc, s10, v43
	v_addc_co_u32_e32 v26, vcc, v5, v44, vcc
	global_load_dwordx4 v[21:24], v[25:26], off
	s_waitcnt vmcnt(1)
	v_mul_f64 v[12:13], v[2:3], v[10:11]
	global_store_dwordx4 v[35:36], v[17:20], off
	global_load_dwordx4 v[17:20], v[31:32], off
	v_mul_f64 v[10:11], v[10:11], -v[0:1]
	v_fma_f64 v[12:13], -v[0:1], v[8:9], v[12:13]
	v_fma_f64 v[8:9], -v[2:3], v[8:9], v[10:11]
	s_waitcnt vmcnt(0)
	v_mul_f64 v[10:11], v[2:3], v[19:20]
	v_mul_f64 v[27:28], v[19:20], -v[0:1]
	v_add_f64 v[19:20], v[21:22], v[12:13]
	v_add_f64 v[21:22], v[8:9], v[23:24]
	v_fma_f64 v[10:11], -v[0:1], v[17:18], v[10:11]
	v_fma_f64 v[12:13], -v[2:3], v[17:18], v[27:28]
                                        ; implicit-def: $vgpr2_vgpr3
	global_store_dwordx4 v[25:26], v[19:22], off
.LBB327_70:                             ;   in Loop: Header=BB327_68 Depth=1
	s_or_saveexec_b64 s[2:3], s[2:3]
	v_mov_b32_e32 v5, s4
	s_xor_b64 exec, exec, s[2:3]
	s_cbranch_execz .LBB327_67
; %bb.71:                               ;   in Loop: Header=BB327_68 Depth=1
	v_add_u32_e32 v8, v61, v4
	v_ashrrev_i32_e32 v9, 31, v8
	v_lshlrev_b64 v[12:13], 4, v[8:9]
	v_mov_b32_e32 v5, s11
	v_add_co_u32_e32 v8, vcc, s10, v12
	v_addc_co_u32_e32 v9, vcc, v5, v13, vcc
	global_load_dwordx4 v[8:11], v[8:9], off
	v_mov_b32_e32 v17, s13
	v_add_co_u32_e32 v12, vcc, s12, v12
	v_addc_co_u32_e32 v13, vcc, v17, v13, vcc
	global_load_dwordx4 v[17:20], v[12:13], off
	v_ashrrev_i32_e32 v5, 31, v4
	v_lshlrev_b64 v[12:13], 4, v[4:5]
	v_mov_b32_e32 v5, s28
	v_add_co_u32_e32 v25, vcc, v41, v12
	v_addc_co_u32_e32 v26, vcc, v42, v13, vcc
	global_load_dwordx4 v[21:24], v[25:26], off
	s_waitcnt vmcnt(2)
	v_mul_f64 v[12:13], v[2:3], v[10:11]
	v_mul_f64 v[10:11], v[10:11], -v[0:1]
	s_waitcnt vmcnt(1)
	v_mul_f64 v[27:28], v[19:20], -v[0:1]
	v_fma_f64 v[12:13], -v[0:1], v[8:9], v[12:13]
	v_fma_f64 v[8:9], -v[2:3], v[8:9], v[10:11]
	v_mul_f64 v[10:11], v[2:3], v[19:20]
	s_waitcnt vmcnt(0)
	v_add_f64 v[19:20], v[21:22], v[12:13]
	v_add_f64 v[21:22], v[8:9], v[23:24]
	v_fma_f64 v[10:11], -v[0:1], v[17:18], v[10:11]
	v_fma_f64 v[12:13], -v[2:3], v[17:18], v[27:28]
	global_store_dwordx4 v[25:26], v[19:22], off
	s_branch .LBB327_67
.LBB327_72:
	s_endpgm
	.section	.rodata,"a",@progbits
	.p2align	6, 0x0
	.amdhsa_kernel _ZN9rocsparseL18gtsv_LBM_wv_kernelILj256ELj64E21rocsparse_complex_numIdEEEviiiPKT1_S5_S5_PS3_S6_S6_Pi
		.amdhsa_group_segment_fixed_size 0
		.amdhsa_private_segment_fixed_size 0
		.amdhsa_kernarg_size 72
		.amdhsa_user_sgpr_count 6
		.amdhsa_user_sgpr_private_segment_buffer 1
		.amdhsa_user_sgpr_dispatch_ptr 0
		.amdhsa_user_sgpr_queue_ptr 0
		.amdhsa_user_sgpr_kernarg_segment_ptr 1
		.amdhsa_user_sgpr_dispatch_id 0
		.amdhsa_user_sgpr_flat_scratch_init 0
		.amdhsa_user_sgpr_private_segment_size 0
		.amdhsa_uses_dynamic_stack 0
		.amdhsa_system_sgpr_private_segment_wavefront_offset 0
		.amdhsa_system_sgpr_workgroup_id_x 1
		.amdhsa_system_sgpr_workgroup_id_y 0
		.amdhsa_system_sgpr_workgroup_id_z 0
		.amdhsa_system_sgpr_workgroup_info 0
		.amdhsa_system_vgpr_workitem_id 0
		.amdhsa_next_free_vgpr 80
		.amdhsa_next_free_sgpr 36
		.amdhsa_reserve_vcc 1
		.amdhsa_reserve_flat_scratch 0
		.amdhsa_float_round_mode_32 0
		.amdhsa_float_round_mode_16_64 0
		.amdhsa_float_denorm_mode_32 3
		.amdhsa_float_denorm_mode_16_64 3
		.amdhsa_dx10_clamp 1
		.amdhsa_ieee_mode 1
		.amdhsa_fp16_overflow 0
		.amdhsa_exception_fp_ieee_invalid_op 0
		.amdhsa_exception_fp_denorm_src 0
		.amdhsa_exception_fp_ieee_div_zero 0
		.amdhsa_exception_fp_ieee_overflow 0
		.amdhsa_exception_fp_ieee_underflow 0
		.amdhsa_exception_fp_ieee_inexact 0
		.amdhsa_exception_int_div_zero 0
	.end_amdhsa_kernel
	.section	.text._ZN9rocsparseL18gtsv_LBM_wv_kernelILj256ELj64E21rocsparse_complex_numIdEEEviiiPKT1_S5_S5_PS3_S6_S6_Pi,"axG",@progbits,_ZN9rocsparseL18gtsv_LBM_wv_kernelILj256ELj64E21rocsparse_complex_numIdEEEviiiPKT1_S5_S5_PS3_S6_S6_Pi,comdat
.Lfunc_end327:
	.size	_ZN9rocsparseL18gtsv_LBM_wv_kernelILj256ELj64E21rocsparse_complex_numIdEEEviiiPKT1_S5_S5_PS3_S6_S6_Pi, .Lfunc_end327-_ZN9rocsparseL18gtsv_LBM_wv_kernelILj256ELj64E21rocsparse_complex_numIdEEEviiiPKT1_S5_S5_PS3_S6_S6_Pi
                                        ; -- End function
	.set _ZN9rocsparseL18gtsv_LBM_wv_kernelILj256ELj64E21rocsparse_complex_numIdEEEviiiPKT1_S5_S5_PS3_S6_S6_Pi.num_vgpr, 80
	.set _ZN9rocsparseL18gtsv_LBM_wv_kernelILj256ELj64E21rocsparse_complex_numIdEEEviiiPKT1_S5_S5_PS3_S6_S6_Pi.num_agpr, 0
	.set _ZN9rocsparseL18gtsv_LBM_wv_kernelILj256ELj64E21rocsparse_complex_numIdEEEviiiPKT1_S5_S5_PS3_S6_S6_Pi.numbered_sgpr, 36
	.set _ZN9rocsparseL18gtsv_LBM_wv_kernelILj256ELj64E21rocsparse_complex_numIdEEEviiiPKT1_S5_S5_PS3_S6_S6_Pi.num_named_barrier, 0
	.set _ZN9rocsparseL18gtsv_LBM_wv_kernelILj256ELj64E21rocsparse_complex_numIdEEEviiiPKT1_S5_S5_PS3_S6_S6_Pi.private_seg_size, 0
	.set _ZN9rocsparseL18gtsv_LBM_wv_kernelILj256ELj64E21rocsparse_complex_numIdEEEviiiPKT1_S5_S5_PS3_S6_S6_Pi.uses_vcc, 1
	.set _ZN9rocsparseL18gtsv_LBM_wv_kernelILj256ELj64E21rocsparse_complex_numIdEEEviiiPKT1_S5_S5_PS3_S6_S6_Pi.uses_flat_scratch, 0
	.set _ZN9rocsparseL18gtsv_LBM_wv_kernelILj256ELj64E21rocsparse_complex_numIdEEEviiiPKT1_S5_S5_PS3_S6_S6_Pi.has_dyn_sized_stack, 0
	.set _ZN9rocsparseL18gtsv_LBM_wv_kernelILj256ELj64E21rocsparse_complex_numIdEEEviiiPKT1_S5_S5_PS3_S6_S6_Pi.has_recursion, 0
	.set _ZN9rocsparseL18gtsv_LBM_wv_kernelILj256ELj64E21rocsparse_complex_numIdEEEviiiPKT1_S5_S5_PS3_S6_S6_Pi.has_indirect_call, 0
	.section	.AMDGPU.csdata,"",@progbits
; Kernel info:
; codeLenInByte = 7364
; TotalNumSgprs: 40
; NumVgprs: 80
; ScratchSize: 0
; MemoryBound: 1
; FloatMode: 240
; IeeeMode: 1
; LDSByteSize: 0 bytes/workgroup (compile time only)
; SGPRBlocks: 4
; VGPRBlocks: 19
; NumSGPRsForWavesPerEU: 40
; NumVGPRsForWavesPerEU: 80
; Occupancy: 3
; WaveLimiterHint : 0
; COMPUTE_PGM_RSRC2:SCRATCH_EN: 0
; COMPUTE_PGM_RSRC2:USER_SGPR: 6
; COMPUTE_PGM_RSRC2:TRAP_HANDLER: 0
; COMPUTE_PGM_RSRC2:TGID_X_EN: 1
; COMPUTE_PGM_RSRC2:TGID_Y_EN: 0
; COMPUTE_PGM_RSRC2:TGID_Z_EN: 0
; COMPUTE_PGM_RSRC2:TIDIG_COMP_CNT: 0
	.section	.text._ZN9rocsparseL19gtsv_LBM_rhs_kernelILj256ELj64ELj8E21rocsparse_complex_numIdEEEviiiPKT2_S5_S5_PS3_S5_PKi,"axG",@progbits,_ZN9rocsparseL19gtsv_LBM_rhs_kernelILj256ELj64ELj8E21rocsparse_complex_numIdEEEviiiPKT2_S5_S5_PS3_S5_PKi,comdat
	.globl	_ZN9rocsparseL19gtsv_LBM_rhs_kernelILj256ELj64ELj8E21rocsparse_complex_numIdEEEviiiPKT2_S5_S5_PS3_S5_PKi ; -- Begin function _ZN9rocsparseL19gtsv_LBM_rhs_kernelILj256ELj64ELj8E21rocsparse_complex_numIdEEEviiiPKT2_S5_S5_PS3_S5_PKi
	.p2align	8
	.type	_ZN9rocsparseL19gtsv_LBM_rhs_kernelILj256ELj64ELj8E21rocsparse_complex_numIdEEEviiiPKT2_S5_S5_PS3_S5_PKi,@function
_ZN9rocsparseL19gtsv_LBM_rhs_kernelILj256ELj64ELj8E21rocsparse_complex_numIdEEEviiiPKT2_S5_S5_PS3_S5_PKi: ; @_ZN9rocsparseL19gtsv_LBM_rhs_kernelILj256ELj64ELj8E21rocsparse_complex_numIdEEEviiiPKT2_S5_S5_PS3_S5_PKi
; %bb.0:
	s_load_dword s23, s[4:5], 0x0
	v_lshl_or_b32 v44, s6, 8, v0
	s_waitcnt lgkmcnt(0)
	s_lshr_b32 s22, s23, 6
	v_cmp_gt_i32_e32 vcc, s22, v44
	s_and_saveexec_b64 s[0:1], vcc
	s_cbranch_execz .LBB328_29
; %bb.1:
	s_load_dwordx4 s[8:11], s[4:5], 0x28
	s_load_dwordx2 s[16:17], s[4:5], 0x38
	s_cmp_lt_i32 s23, 1
	v_add_u32_e32 v103, s22, v44
	s_mul_i32 s24, s7, s23
	s_cbranch_scc1 .LBB328_21
; %bb.2:
	s_load_dwordx4 s[12:15], s[4:5], 0x10
	s_load_dwordx2 s[6:7], s[4:5], 0x20
	v_ashrrev_i32_e32 v45, 31, v44
	v_lshlrev_b64 v[0:1], 4, v[44:45]
	s_lshl_b32 s28, s24, 3
	s_waitcnt lgkmcnt(0)
	v_mov_b32_e32 v2, s15
	v_add_co_u32_e32 v0, vcc, s14, v0
	v_addc_co_u32_e32 v1, vcc, v2, v1, vcc
	global_load_dwordx4 v[0:3], v[0:1], off
	s_add_i32 s29, s28, s23
	s_add_i32 s30, s29, s23
	s_add_i32 s31, s30, s23
	s_add_i32 s33, s31, s23
	s_add_i32 s34, s33, s23
	s_add_i32 s35, s34, s23
	s_mul_i32 s25, s22, 63
	s_mul_i32 s26, s22, 62
	s_lshl_b32 s27, s22, 1
	v_add_u32_e32 v104, s22, v103
	s_add_i32 s36, s35, s23
	v_mov_b32_e32 v46, 0
	s_mov_b64 s[18:19], 0
	v_mov_b32_e32 v106, s7
	v_mov_b32_e32 v105, 0
	s_branch .LBB328_5
.LBB328_3:                              ;   in Loop: Header=BB328_5 Depth=1
	s_or_b64 exec, exec, s[4:5]
	v_fma_f64 v[0:1], v[6:7], v[8:9], v[49:50]
	v_fma_f64 v[2:3], v[4:5], v[8:9], v[47:48]
	v_mul_f64 v[4:5], v[51:52], -v[0:1]
	v_mul_f64 v[6:7], v[51:52], v[2:3]
	v_fma_f64 v[2:3], v[2:3], v[10:11], v[4:5]
	v_fma_f64 v[4:5], v[0:1], v[10:11], v[6:7]
	v_mov_b32_e32 v10, s22
	v_add_f64 v[0:1], v[12:13], -v[2:3]
	v_add_f64 v[2:3], v[14:15], -v[4:5]
.LBB328_4:                              ;   in Loop: Header=BB328_5 Depth=1
	s_or_b64 exec, exec, s[2:3]
	v_add_u32_e32 v105, v10, v105
	v_cmp_le_i32_e32 vcc, s23, v105
	s_or_b64 s[18:19], vcc, s[18:19]
	s_andn2_b64 exec, exec, s[18:19]
	s_cbranch_execz .LBB328_20
.LBB328_5:                              ; =>This Inner Loop Header: Depth=1
	v_add_u32_e32 v24, v105, v44
	v_ashrrev_i32_e32 v25, 31, v24
	v_lshlrev_b64 v[4:5], 4, v[24:25]
	v_mov_b32_e32 v12, 0
	v_add_co_u32_e32 v4, vcc, s6, v4
	v_addc_co_u32_e32 v5, vcc, v106, v5, vcc
	global_load_dwordx4 v[8:11], v[4:5], off
	v_mov_b32_e32 v4, 0
	v_mov_b32_e32 v6, 0
	;; [unrolled: 1-line block ×5, first 2 shown]
	v_cmp_gt_u32_e64 s[0:1], s25, v105
	s_and_saveexec_b64 s[2:3], s[0:1]
	s_cbranch_execz .LBB328_7
; %bb.6:                                ;   in Loop: Header=BB328_5 Depth=1
	v_add_u32_e32 v4, v103, v105
	v_ashrrev_i32_e32 v5, 31, v4
	v_lshlrev_b64 v[4:5], 4, v[4:5]
	v_mov_b32_e32 v6, s13
	v_add_co_u32_e32 v4, vcc, s12, v4
	v_addc_co_u32_e32 v5, vcc, v6, v5, vcc
	global_load_dwordx4 v[4:7], v[4:5], off
.LBB328_7:                              ;   in Loop: Header=BB328_5 Depth=1
	s_or_b64 exec, exec, s[2:3]
	v_mov_b32_e32 v14, 0
	v_mov_b32_e32 v15, 0
	s_and_saveexec_b64 s[2:3], s[0:1]
	s_cbranch_execz .LBB328_9
; %bb.8:                                ;   in Loop: Header=BB328_5 Depth=1
	v_add_u32_e32 v12, v103, v105
	v_ashrrev_i32_e32 v13, 31, v12
	v_lshlrev_b64 v[12:13], 4, v[12:13]
	v_mov_b32_e32 v14, s15
	v_add_co_u32_e32 v12, vcc, s14, v12
	v_addc_co_u32_e32 v13, vcc, v14, v13, vcc
	global_load_dwordx4 v[12:15], v[12:13], off
.LBB328_9:                              ;   in Loop: Header=BB328_5 Depth=1
	s_or_b64 exec, exec, s[2:3]
	v_mov_b32_e32 v20, 0
	v_mov_b32_e32 v16, 0
	;; [unrolled: 1-line block ×6, first 2 shown]
	s_and_saveexec_b64 s[2:3], s[0:1]
	s_cbranch_execz .LBB328_11
; %bb.10:                               ;   in Loop: Header=BB328_5 Depth=1
	v_add_u32_e32 v16, v103, v105
	v_ashrrev_i32_e32 v17, 31, v16
	v_lshlrev_b64 v[16:17], 4, v[16:17]
	v_mov_b32_e32 v18, s7
	v_add_co_u32_e32 v16, vcc, s6, v16
	v_addc_co_u32_e32 v17, vcc, v18, v17, vcc
	global_load_dwordx4 v[16:19], v[16:17], off
.LBB328_11:                             ;   in Loop: Header=BB328_5 Depth=1
	s_or_b64 exec, exec, s[2:3]
	v_mov_b32_e32 v22, 0
	v_mov_b32_e32 v23, 0
	v_cmp_gt_u32_e64 s[2:3], s26, v105
	s_and_saveexec_b64 s[4:5], s[2:3]
	s_cbranch_execz .LBB328_13
; %bb.12:                               ;   in Loop: Header=BB328_5 Depth=1
	v_add_u32_e32 v20, v104, v105
	v_ashrrev_i32_e32 v21, 31, v20
	v_lshlrev_b64 v[20:21], 4, v[20:21]
	v_mov_b32_e32 v22, s13
	v_add_co_u32_e32 v20, vcc, s12, v20
	v_addc_co_u32_e32 v21, vcc, v22, v21, vcc
	global_load_dwordx4 v[20:23], v[20:21], off
.LBB328_13:                             ;   in Loop: Header=BB328_5 Depth=1
	s_or_b64 exec, exec, s[4:5]
	v_lshlrev_b64 v[25:26], 2, v[24:25]
	v_mov_b32_e32 v27, s17
	v_add_co_u32_e32 v25, vcc, s16, v25
	v_addc_co_u32_e32 v26, vcc, v27, v26, vcc
	global_load_dword v25, v[25:26], off
	s_waitcnt vmcnt(1)
	v_mul_f64 v[47:48], v[10:11], -v[6:7]
	v_mul_f64 v[49:50], v[10:11], v[4:5]
	v_cmp_ne_u32_e32 vcc, s25, v105
	v_add_u32_e32 v45, s28, v24
	v_add_u32_e32 v36, s29, v24
	;; [unrolled: 1-line block ×8, first 2 shown]
	s_waitcnt vmcnt(0)
	v_cmp_ne_u32_e64 s[4:5], 1, v25
	s_and_b64 s[4:5], vcc, s[4:5]
	s_and_saveexec_b64 s[20:21], s[4:5]
	s_xor_b64 s[20:21], exec, s[20:21]
	s_cbranch_execz .LBB328_17
; %bb.14:                               ;   in Loop: Header=BB328_5 Depth=1
	v_mul_f64 v[37:38], v[0:1], v[14:15]
	v_mul_f64 v[39:40], v[14:15], -v[2:3]
	v_fma_f64 v[41:42], v[6:7], v[8:9], v[49:50]
	v_fma_f64 v[47:48], v[4:5], v[8:9], v[47:48]
	v_mov_b32_e32 v53, s9
	v_mov_b32_e32 v35, v46
	;; [unrolled: 1-line block ×3, first 2 shown]
	v_add_u32_e32 v81, v103, v105
	v_fma_f64 v[37:38], v[2:3], v[12:13], v[37:38]
	v_fma_f64 v[49:50], v[0:1], v[12:13], v[39:40]
	v_lshlrev_b64 v[34:35], 4, v[34:35]
	v_mov_b32_e32 v33, v46
	v_mov_b32_e32 v62, s9
	v_lshlrev_b64 v[51:52], 4, v[32:33]
	v_mov_b32_e32 v64, s9
	v_mov_b32_e32 v31, v46
	v_add_f64 v[38:39], v[37:38], -v[41:42]
	v_add_f64 v[40:41], v[49:50], -v[47:48]
	v_lshlrev_b64 v[47:48], 4, v[45:46]
	v_mov_b32_e32 v37, v46
	v_add_co_u32_e32 v79, vcc, s8, v47
	v_lshlrev_b64 v[36:37], 4, v[36:37]
	v_addc_co_u32_e32 v80, vcc, v53, v48, vcc
	v_mul_f64 v[42:43], v[38:39], v[38:39]
	v_add_co_u32_e32 v139, vcc, s8, v36
	v_add_u32_e32 v45, s28, v81
	v_addc_co_u32_e32 v140, vcc, v61, v37, vcc
	v_lshlrev_b64 v[32:33], 4, v[45:46]
	v_add_co_u32_e32 v141, vcc, s8, v34
	v_fma_f64 v[42:43], v[40:41], v[40:41], v[42:43]
	v_addc_co_u32_e32 v142, vcc, v62, v35, vcc
	v_add_co_u32_e32 v85, vcc, s8, v32
	v_mov_b32_e32 v29, v46
	v_addc_co_u32_e32 v86, vcc, v64, v33, vcc
	v_div_scale_f64 v[55:56], s[4:5], v[42:43], v[42:43], 1.0
	v_lshlrev_b64 v[57:58], 4, v[30:31]
	v_lshlrev_b64 v[59:60], 4, v[28:29]
	global_load_dwordx4 v[28:31], v[79:80], off
	global_load_dwordx4 v[32:35], v[85:86], off
	v_add_u32_e32 v45, s29, v81
	v_lshlrev_b64 v[53:54], 4, v[45:46]
	v_mov_b32_e32 v63, s9
	v_mov_b32_e32 v71, s9
	v_add_co_u32_e32 v143, vcc, s8, v51
	v_add_co_u32_e64 v36, s[4:5], s8, v53
	v_addc_co_u32_e32 v144, vcc, v63, v52, vcc
	v_rcp_f64_e32 v[49:50], v[55:56]
	v_addc_co_u32_e64 v37, s[4:5], v71, v54, s[4:5]
	v_div_scale_f64 v[65:66], vcc, 1.0, v[42:43], 1.0
	global_load_dwordx4 v[51:54], v[36:37], off
	v_mov_b32_e32 v67, s9
	v_add_co_u32_e64 v145, s[4:5], s8, v57
	v_mov_b32_e32 v27, v46
	v_addc_co_u32_e64 v146, s[4:5], v67, v58, s[4:5]
	v_mov_b32_e32 v68, s9
	v_lshlrev_b64 v[26:27], 4, v[26:27]
	v_add_co_u32_e64 v147, s[4:5], s8, v59
	v_fma_f64 v[47:48], -v[55:56], v[49:50], 1.0
	v_mov_b32_e32 v25, v46
	v_addc_co_u32_e64 v148, s[4:5], v68, v60, s[4:5]
	v_mov_b32_e32 v69, s9
	v_lshlrev_b64 v[24:25], 4, v[24:25]
	v_add_co_u32_e64 v149, s[4:5], s8, v26
	v_fma_f64 v[61:62], v[49:50], v[47:48], v[49:50]
	global_load_dwordx4 v[47:50], v[139:140], off
	v_addc_co_u32_e64 v150, s[4:5], v69, v27, s[4:5]
	v_mov_b32_e32 v70, s9
	v_add_u32_e32 v45, s30, v81
	v_add_co_u32_e64 v151, s[4:5], s8, v24
	v_fma_f64 v[63:64], -v[55:56], v[61:62], 1.0
	v_addc_co_u32_e64 v152, s[4:5], v70, v25, s[4:5]
	v_lshlrev_b64 v[24:25], 4, v[45:46]
	v_mov_b32_e32 v72, s9
	v_add_co_u32_e64 v89, s[4:5], s8, v24
	v_addc_co_u32_e64 v90, s[4:5], v72, v25, s[4:5]
	v_fma_f64 v[63:64], v[61:62], v[63:64], v[61:62]
	global_load_dwordx4 v[59:62], v[141:142], off
	global_load_dwordx4 v[71:74], v[143:144], off
	v_add_u32_e32 v45, s31, v81
	v_mov_b32_e32 v82, s9
	v_mov_b32_e32 v83, s9
	v_mov_b32_e32 v84, s9
	v_mov_b32_e32 v87, s9
	v_mul_f64 v[57:58], v[65:66], v[63:64]
	v_mov_b32_e32 v88, s9
	v_fma_f64 v[26:27], -v[55:56], v[57:58], v[65:66]
	global_load_dwordx4 v[65:68], v[89:90], off
	global_load_dwordx4 v[75:78], v[145:146], off
	;; [unrolled: 1-line block ×5, first 2 shown]
	v_div_fmas_f64 v[24:25], v[26:27], v[63:64], v[57:58]
	v_lshlrev_b64 v[26:27], 4, v[45:46]
	v_add_u32_e32 v45, s33, v81
	v_add_co_u32_e32 v97, vcc, s8, v26
	v_addc_co_u32_e32 v98, vcc, v82, v27, vcc
	global_load_dwordx4 v[119:122], v[97:98], off
	v_lshlrev_b64 v[26:27], 4, v[45:46]
	v_fma_f64 v[57:58], v[40:41], 0, -v[38:39]
	v_add_co_u32_e32 v153, vcc, s8, v26
	v_addc_co_u32_e32 v154, vcc, v83, v27, vcc
	global_load_dwordx4 v[123:126], v[153:154], off
	v_fma_f64 v[26:27], v[38:39], 0, v[40:41]
	v_div_fixup_f64 v[42:43], v[24:25], v[42:43], 1.0
	v_add_u32_e32 v45, s34, v81
	v_lshlrev_b64 v[55:56], 4, v[45:46]
	v_add_u32_e32 v45, s35, v81
	v_add_co_u32_e32 v155, vcc, s8, v55
	v_addc_co_u32_e32 v156, vcc, v84, v56, vcc
	v_mul_f64 v[24:25], v[57:58], v[42:43]
	v_mul_f64 v[26:27], v[26:27], v[42:43]
	global_load_dwordx4 v[127:130], v[155:156], off
	v_lshlrev_b64 v[63:64], 4, v[45:46]
	v_add_u32_e32 v45, s36, v81
	v_lshlrev_b64 v[38:39], 4, v[45:46]
	v_add_co_u32_e32 v157, vcc, s8, v63
	s_waitcnt vmcnt(13)
	v_mul_f64 v[40:41], v[24:25], v[28:29]
	s_waitcnt vmcnt(12)
	v_mul_f64 v[42:43], v[24:25], v[32:33]
	v_mul_f64 v[55:56], v[24:25], -v[30:31]
	v_mul_f64 v[57:58], v[24:25], -v[34:35]
	v_addc_co_u32_e32 v158, vcc, v87, v64, vcc
	v_add_co_u32_e32 v159, vcc, s8, v38
	v_fma_f64 v[93:94], v[30:31], v[26:27], v[40:41]
	v_fma_f64 v[95:96], v[34:35], v[26:27], v[42:43]
	s_waitcnt vmcnt(10)
	v_mul_f64 v[30:31], v[24:25], v[47:48]
	v_mul_f64 v[34:35], v[24:25], v[51:52]
	v_addc_co_u32_e32 v160, vcc, v88, v39, vcc
	global_load_dwordx4 v[131:134], v[157:158], off
	v_fma_f64 v[101:102], v[28:29], v[26:27], v[55:56]
	v_fma_f64 v[99:100], v[32:33], v[26:27], v[57:58]
	v_mul_f64 v[28:29], v[93:94], -v[14:15]
	v_mul_f64 v[32:33], v[12:13], v[93:94]
	v_mul_f64 v[38:39], v[95:96], -v[10:11]
	v_mul_f64 v[40:41], v[8:9], v[95:96]
	v_mul_f64 v[42:43], v[24:25], -v[49:50]
	v_fma_f64 v[55:56], v[49:50], v[26:27], v[30:31]
	v_mul_f64 v[30:31], v[24:25], -v[53:54]
	v_fma_f64 v[57:58], v[53:54], v[26:27], v[34:35]
	v_fma_f64 v[28:29], v[12:13], v[101:102], v[28:29]
	;; [unrolled: 1-line block ×6, first 2 shown]
	v_mul_f64 v[40:41], v[55:56], -v[14:15]
	v_mul_f64 v[42:43], v[12:13], v[55:56]
	v_fma_f64 v[69:70], v[51:52], v[26:27], v[30:31]
	v_mul_f64 v[47:48], v[57:58], -v[10:11]
	v_mul_f64 v[49:50], v[8:9], v[57:58]
	v_add_f64 v[28:29], v[28:29], -v[34:35]
	v_add_f64 v[30:31], v[32:33], -v[38:39]
	s_waitcnt vmcnt(10)
	v_mul_f64 v[32:33], v[24:25], v[59:60]
	v_fma_f64 v[34:35], v[12:13], v[63:64], v[40:41]
	v_fma_f64 v[38:39], v[14:15], v[63:64], v[42:43]
	global_load_dwordx4 v[135:138], v[159:160], off
	s_waitcnt vmcnt(9)
	v_mul_f64 v[40:41], v[24:25], v[65:66]
	v_fma_f64 v[42:43], v[8:9], v[69:70], v[47:48]
	v_fma_f64 v[47:48], v[10:11], v[69:70], v[49:50]
	v_mul_f64 v[49:50], v[24:25], -v[61:62]
	v_fma_f64 v[83:84], v[61:62], v[26:27], v[32:33]
	v_mul_f64 v[32:33], v[24:25], -v[67:68]
	global_store_dwordx4 v[79:80], v[28:31], off
	v_mul_f64 v[53:54], v[24:25], -v[73:74]
	v_fma_f64 v[87:88], v[67:68], v[26:27], v[40:41]
	v_add_f64 v[28:29], v[34:35], -v[42:43]
	v_mul_f64 v[34:35], v[24:25], v[71:72]
	v_add_f64 v[30:31], v[38:39], -v[47:48]
	v_fma_f64 v[81:82], v[59:60], v[26:27], v[49:50]
	v_mul_f64 v[38:39], v[83:84], -v[14:15]
	v_fma_f64 v[91:92], v[65:66], v[26:27], v[32:33]
	s_waitcnt vmcnt(5)
	v_mul_f64 v[32:33], v[24:25], v[119:120]
	v_mul_f64 v[42:43], v[87:88], -v[10:11]
	v_mul_f64 v[49:50], v[12:13], v[83:84]
	v_mul_f64 v[51:52], v[8:9], v[87:88]
	v_fma_f64 v[40:41], v[73:74], v[26:27], v[34:35]
	v_mul_f64 v[59:60], v[24:25], -v[121:122]
	v_fma_f64 v[34:35], v[12:13], v[81:82], v[38:39]
	v_fma_f64 v[38:39], v[71:72], v[26:27], v[53:54]
	;; [unrolled: 1-line block ×6, first 2 shown]
	v_mul_f64 v[53:54], v[40:41], -v[14:15]
	v_mul_f64 v[61:62], v[12:13], v[40:41]
	v_fma_f64 v[42:43], v[119:120], v[26:27], v[59:60]
	v_mul_f64 v[65:66], v[24:25], v[75:76]
	v_mul_f64 v[59:60], v[47:48], -v[10:11]
	v_add_f64 v[32:33], v[34:35], -v[32:33]
	v_mul_f64 v[67:68], v[8:9], v[47:48]
	v_add_f64 v[34:35], v[49:50], -v[51:52]
	v_fma_f64 v[49:50], v[12:13], v[38:39], v[53:54]
	s_waitcnt vmcnt(4)
	v_mul_f64 v[53:54], v[24:25], v[123:124]
	v_fma_f64 v[51:52], v[14:15], v[38:39], v[61:62]
	v_mul_f64 v[61:62], v[24:25], -v[77:78]
	v_fma_f64 v[59:60], v[8:9], v[42:43], v[59:60]
	v_fma_f64 v[73:74], v[77:78], v[26:27], v[65:66]
	;; [unrolled: 1-line block ×3, first 2 shown]
	v_mul_f64 v[67:68], v[24:25], -v[125:126]
	global_store_dwordx4 v[139:140], v[28:31], off
	global_store_dwordx4 v[141:142], v[32:35], off
	v_fma_f64 v[77:78], v[125:126], v[26:27], v[53:54]
	v_mul_f64 v[34:35], v[24:25], v[107:108]
	v_fma_f64 v[71:72], v[75:76], v[26:27], v[61:62]
	v_add_f64 v[28:29], v[49:50], -v[59:60]
	v_mul_f64 v[32:33], v[73:74], -v[14:15]
	v_add_f64 v[30:31], v[51:52], -v[65:66]
	v_fma_f64 v[75:76], v[123:124], v[26:27], v[67:68]
	s_waitcnt vmcnt(5)
	v_mul_f64 v[49:50], v[24:25], v[127:128]
	v_mul_f64 v[51:52], v[77:78], -v[10:11]
	v_mul_f64 v[53:54], v[12:13], v[73:74]
	v_mul_f64 v[65:66], v[8:9], v[77:78]
	v_mul_f64 v[67:68], v[24:25], -v[109:110]
	v_fma_f64 v[32:33], v[12:13], v[71:72], v[32:33]
	v_mul_f64 v[79:80], v[24:25], -v[129:130]
	v_fma_f64 v[61:62], v[109:110], v[26:27], v[34:35]
	v_fma_f64 v[59:60], v[129:130], v[26:27], v[49:50]
	;; [unrolled: 1-line block ×5, first 2 shown]
	global_store_dwordx4 v[143:144], v[28:31], off
	v_fma_f64 v[67:68], v[107:108], v[26:27], v[67:68]
	v_fma_f64 v[65:66], v[127:128], v[26:27], v[79:80]
	v_mul_f64 v[53:54], v[61:62], -v[14:15]
	v_mul_f64 v[79:80], v[59:60], -v[10:11]
	v_add_f64 v[28:29], v[32:33], -v[34:35]
	v_mul_f64 v[32:33], v[12:13], v[61:62]
	v_add_f64 v[30:31], v[49:50], -v[51:52]
	v_mul_f64 v[34:35], v[24:25], v[111:112]
	s_waitcnt vmcnt(5)
	v_mul_f64 v[49:50], v[24:25], v[131:132]
	v_mul_f64 v[107:108], v[8:9], v[59:60]
	v_fma_f64 v[53:54], v[12:13], v[67:68], v[53:54]
	v_fma_f64 v[79:80], v[8:9], v[65:66], v[79:80]
	v_mul_f64 v[109:110], v[24:25], -v[113:114]
	v_fma_f64 v[32:33], v[14:15], v[67:68], v[32:33]
	v_mul_f64 v[119:120], v[24:25], -v[133:134]
	v_fma_f64 v[51:52], v[113:114], v[26:27], v[34:35]
	v_fma_f64 v[49:50], v[133:134], v[26:27], v[49:50]
	;; [unrolled: 1-line block ×3, first 2 shown]
	global_store_dwordx4 v[145:146], v[28:31], off
	v_add_f64 v[107:108], v[53:54], -v[79:80]
	v_fma_f64 v[53:54], v[111:112], v[26:27], v[109:110]
	v_mul_f64 v[28:29], v[24:25], v[115:116]
	v_fma_f64 v[79:80], v[131:132], v[26:27], v[119:120]
	v_mul_f64 v[30:31], v[51:52], -v[14:15]
	v_mul_f64 v[111:112], v[49:50], -v[10:11]
	v_add_f64 v[109:110], v[32:33], -v[34:35]
	s_waitcnt vmcnt(5)
	v_mul_f64 v[32:33], v[24:25], v[135:136]
	v_mul_f64 v[34:35], v[12:13], v[51:52]
	v_mul_f64 v[113:114], v[24:25], -v[117:118]
	v_fma_f64 v[28:29], v[117:118], v[26:27], v[28:29]
	v_mul_f64 v[117:118], v[8:9], v[49:50]
	v_fma_f64 v[119:120], v[12:13], v[53:54], v[30:31]
	v_fma_f64 v[111:112], v[8:9], v[79:80], v[111:112]
	v_mul_f64 v[121:122], v[24:25], -v[137:138]
	v_fma_f64 v[32:33], v[137:138], v[26:27], v[32:33]
	global_store_dwordx4 v[147:148], v[107:110], off
	v_fma_f64 v[30:31], v[115:116], v[26:27], v[113:114]
	v_mul_f64 v[109:110], v[28:29], -v[14:15]
	v_fma_f64 v[113:114], v[14:15], v[53:54], v[34:35]
	v_fma_f64 v[115:116], v[10:11], v[79:80], v[117:118]
	v_add_f64 v[107:108], v[119:120], -v[111:112]
	v_fma_f64 v[34:35], v[135:136], v[26:27], v[121:122]
	v_mul_f64 v[111:112], v[32:33], -v[10:11]
	v_mul_f64 v[117:118], v[12:13], v[28:29]
	v_mul_f64 v[119:120], v[8:9], v[32:33]
	v_fma_f64 v[12:13], v[12:13], v[30:31], v[109:110]
	v_mul_f64 v[121:122], v[6:7], v[93:94]
	v_mul_f64 v[123:124], v[93:94], -v[4:5]
	v_mul_f64 v[125:126], v[95:96], -v[2:3]
	v_mul_f64 v[127:128], v[0:1], v[95:96]
	v_fma_f64 v[8:9], v[8:9], v[34:35], v[111:112]
	v_fma_f64 v[14:15], v[14:15], v[30:31], v[117:118]
	;; [unrolled: 1-line block ×3, first 2 shown]
	v_add_f64 v[109:110], v[113:114], -v[115:116]
	v_fma_f64 v[111:112], -v[4:5], v[101:102], v[121:122]
	v_fma_f64 v[113:114], -v[6:7], v[101:102], v[123:124]
	v_fma_f64 v[115:116], v[0:1], v[99:100], v[125:126]
	v_fma_f64 v[117:118], v[2:3], v[99:100], v[127:128]
	v_add_f64 v[8:9], v[12:13], -v[8:9]
	v_mul_f64 v[119:120], v[6:7], v[55:56]
	v_mul_f64 v[121:122], v[55:56], -v[4:5]
	v_add_f64 v[10:11], v[14:15], -v[10:11]
	v_mul_f64 v[123:124], v[57:58], -v[2:3]
	v_mul_f64 v[125:126], v[0:1], v[57:58]
	global_store_dwordx4 v[149:150], v[107:110], off
	v_add_f64 v[12:13], v[111:112], v[115:116]
	v_add_f64 v[14:15], v[113:114], v[117:118]
	v_fma_f64 v[107:108], -v[4:5], v[63:64], v[119:120]
	v_fma_f64 v[109:110], -v[6:7], v[63:64], v[121:122]
	global_store_dwordx4 v[151:152], v[8:11], off
	v_mul_f64 v[115:116], v[87:88], -v[2:3]
	v_mul_f64 v[8:9], v[6:7], v[83:84]
	v_mul_f64 v[10:11], v[83:84], -v[4:5]
	v_mul_f64 v[117:118], v[0:1], v[87:88]
	v_mul_f64 v[119:120], v[6:7], v[40:41]
	v_mul_f64 v[121:122], v[47:48], -v[2:3]
	v_fma_f64 v[111:112], v[0:1], v[69:70], v[123:124]
	v_fma_f64 v[113:114], v[2:3], v[69:70], v[125:126]
	v_mul_f64 v[123:124], v[40:41], -v[4:5]
	v_mul_f64 v[125:126], v[0:1], v[47:48]
	v_fma_f64 v[127:128], -v[4:5], v[81:82], v[8:9]
	v_fma_f64 v[129:130], -v[6:7], v[81:82], v[10:11]
	v_fma_f64 v[115:116], v[0:1], v[91:92], v[115:116]
	v_fma_f64 v[117:118], v[2:3], v[91:92], v[117:118]
	v_fma_f64 v[119:120], -v[4:5], v[38:39], v[119:120]
	v_fma_f64 v[121:122], v[0:1], v[42:43], v[121:122]
	v_add_f64 v[8:9], v[107:108], v[111:112]
	v_add_f64 v[10:11], v[109:110], v[113:114]
	v_mul_f64 v[111:112], v[6:7], v[73:74]
	v_mul_f64 v[113:114], v[77:78], -v[2:3]
	global_store_dwordx4 v[85:86], v[12:15], off
	v_fma_f64 v[85:86], -v[6:7], v[38:39], v[123:124]
	v_fma_f64 v[109:110], v[2:3], v[42:43], v[125:126]
	v_add_f64 v[12:13], v[127:128], v[115:116]
	v_add_f64 v[14:15], v[129:130], v[117:118]
	;; [unrolled: 1-line block ×3, first 2 shown]
	v_mul_f64 v[115:116], v[73:74], -v[4:5]
	v_mul_f64 v[117:118], v[0:1], v[77:78]
	v_mul_f64 v[119:120], v[6:7], v[61:62]
	v_mul_f64 v[121:122], v[61:62], -v[4:5]
	v_mul_f64 v[123:124], v[59:60], -v[2:3]
	v_mul_f64 v[125:126], v[0:1], v[59:60]
	v_fma_f64 v[111:112], -v[4:5], v[71:72], v[111:112]
	v_fma_f64 v[113:114], v[0:1], v[75:76], v[113:114]
	v_add_f64 v[109:110], v[85:86], v[109:110]
	v_fma_f64 v[85:86], -v[6:7], v[71:72], v[115:116]
	v_fma_f64 v[115:116], v[2:3], v[75:76], v[117:118]
	v_fma_f64 v[117:118], -v[4:5], v[67:68], v[119:120]
	v_fma_f64 v[119:120], -v[6:7], v[67:68], v[121:122]
	v_fma_f64 v[121:122], v[0:1], v[65:66], v[123:124]
	v_fma_f64 v[123:124], v[2:3], v[65:66], v[125:126]
	v_mul_f64 v[125:126], v[51:52], -v[4:5]
	v_mul_f64 v[129:130], v[0:1], v[49:50]
	v_mul_f64 v[131:132], v[6:7], v[28:29]
	v_mul_f64 v[133:134], v[28:29], -v[4:5]
	v_mul_f64 v[135:136], v[32:33], -v[2:3]
	v_mul_f64 v[137:138], v[0:1], v[32:33]
	v_add_f64 v[111:112], v[111:112], v[113:114]
	v_mul_f64 v[113:114], v[6:7], v[51:52]
	v_mul_f64 v[127:128], v[49:50], -v[2:3]
	v_fma_f64 v[125:126], -v[6:7], v[53:54], v[125:126]
	v_fma_f64 v[129:130], v[2:3], v[79:80], v[129:130]
	v_fma_f64 v[131:132], -v[4:5], v[30:31], v[131:132]
	v_fma_f64 v[133:134], -v[6:7], v[30:31], v[133:134]
	v_fma_f64 v[135:136], v[0:1], v[34:35], v[135:136]
	v_fma_f64 v[137:138], v[2:3], v[34:35], v[137:138]
	v_fma_f64 v[139:140], -v[4:5], v[53:54], v[113:114]
	v_fma_f64 v[127:128], v[0:1], v[79:80], v[127:128]
	v_add_f64 v[113:114], v[85:86], v[115:116]
	v_add_f64 v[115:116], v[117:118], v[121:122]
	;; [unrolled: 1-line block ×6, first 2 shown]
	global_store_dwordx4 v[36:37], v[8:11], off
	v_add_f64 v[119:120], v[139:140], v[127:128]
	v_mov_b32_e32 v8, 0
	v_mov_b32_e32 v10, 0
	;; [unrolled: 1-line block ×4, first 2 shown]
	global_store_dwordx4 v[89:90], v[12:15], off
	global_store_dwordx4 v[97:98], v[107:110], off
	;; [unrolled: 1-line block ×6, first 2 shown]
	s_and_saveexec_b64 s[4:5], s[2:3]
	s_cbranch_execz .LBB328_16
; %bb.15:                               ;   in Loop: Header=BB328_5 Depth=1
	v_add_u32_e32 v12, v104, v105
	v_add_u32_e32 v45, s28, v12
	v_lshlrev_b64 v[8:9], 4, v[45:46]
	v_mov_b32_e32 v10, s9
	v_add_co_u32_e32 v13, vcc, s8, v8
	v_addc_co_u32_e32 v14, vcc, v10, v9, vcc
	global_load_dwordx4 v[8:11], v[13:14], off
	v_mul_f64 v[36:37], v[22:23], -v[4:5]
	v_mul_f64 v[85:86], v[6:7], v[22:23]
	v_mul_f64 v[89:90], v[0:1], v[22:23]
	v_mul_f64 v[97:98], v[22:23], -v[2:3]
	v_add_u32_e32 v45, s29, v12
	v_mov_b32_e32 v15, s9
	v_fma_f64 v[36:37], -v[6:7], v[20:21], v[36:37]
	v_fma_f64 v[85:86], -v[4:5], v[20:21], v[85:86]
	v_fma_f64 v[89:90], v[2:3], v[20:21], v[89:90]
	v_fma_f64 v[97:98], v[0:1], v[20:21], v[97:98]
	v_mul_f64 v[4:5], v[36:37], v[93:94]
	v_mul_f64 v[6:7], v[93:94], -v[85:86]
	v_mul_f64 v[93:94], v[95:96], -v[89:90]
	v_mul_f64 v[95:96], v[97:98], v[95:96]
	v_fma_f64 v[4:5], -v[85:86], v[101:102], v[4:5]
	v_fma_f64 v[6:7], -v[36:37], v[101:102], v[6:7]
	v_fma_f64 v[93:94], v[97:98], v[99:100], v[93:94]
	v_fma_f64 v[95:96], v[89:90], v[99:100], v[95:96]
	v_mul_f64 v[101:102], v[36:37], v[83:84]
	v_add_f64 v[93:94], v[4:5], -v[93:94]
	v_add_f64 v[95:96], v[6:7], -v[95:96]
	v_lshlrev_b64 v[4:5], 4, v[45:46]
	v_add_u32_e32 v45, s30, v12
	v_add_co_u32_e32 v99, vcc, s8, v4
	v_addc_co_u32_e32 v100, vcc, v15, v5, vcc
	global_load_dwordx4 v[4:7], v[99:100], off
	s_waitcnt vmcnt(1)
	v_add_f64 v[8:9], v[93:94], v[8:9]
	v_add_f64 v[10:11], v[95:96], v[10:11]
	v_lshlrev_b64 v[93:94], 4, v[45:46]
	v_mul_f64 v[95:96], v[57:58], -v[89:90]
	v_add_co_u32_e32 v93, vcc, s8, v93
	v_addc_co_u32_e32 v94, vcc, v15, v94, vcc
	v_mul_f64 v[57:58], v[97:98], v[57:58]
	global_store_dwordx4 v[13:14], v[8:11], off
	global_load_dwordx4 v[8:11], v[93:94], off
	v_mul_f64 v[13:14], v[36:37], v[55:56]
	v_mul_f64 v[55:56], v[55:56], -v[85:86]
	v_add_u32_e32 v45, s31, v12
	v_fma_f64 v[57:58], v[89:90], v[69:70], v[57:58]
	v_fma_f64 v[13:14], -v[85:86], v[63:64], v[13:14]
	v_fma_f64 v[55:56], -v[36:37], v[63:64], v[55:56]
	v_fma_f64 v[63:64], v[97:98], v[69:70], v[95:96]
	v_mul_f64 v[69:70], v[83:84], -v[85:86]
	v_mul_f64 v[83:84], v[87:88], -v[89:90]
	v_mul_f64 v[87:88], v[97:98], v[87:88]
	v_fma_f64 v[95:96], -v[85:86], v[81:82], v[101:102]
	v_add_f64 v[55:56], v[55:56], -v[57:58]
	v_add_f64 v[13:14], v[13:14], -v[63:64]
	v_fma_f64 v[57:58], -v[36:37], v[81:82], v[69:70]
	v_fma_f64 v[63:64], v[97:98], v[91:92], v[83:84]
	v_fma_f64 v[69:70], v[89:90], v[91:92], v[87:88]
	v_mul_f64 v[81:82], v[77:78], -v[89:90]
	v_mul_f64 v[77:78], v[97:98], v[77:78]
	v_add_f64 v[57:58], v[57:58], -v[69:70]
	v_mul_f64 v[69:70], v[36:37], v[73:74]
	v_mul_f64 v[73:74], v[73:74], -v[85:86]
	s_waitcnt vmcnt(2)
	v_add_f64 v[6:7], v[55:56], v[6:7]
	v_add_f64 v[55:56], v[95:96], -v[63:64]
	v_add_f64 v[4:5], v[13:14], v[4:5]
	v_lshlrev_b64 v[13:14], 4, v[45:46]
	v_add_u32_e32 v45, s33, v12
	v_add_co_u32_e32 v13, vcc, s8, v13
	v_addc_co_u32_e32 v14, vcc, v15, v14, vcc
	v_mul_f64 v[63:64], v[47:48], -v[89:90]
	global_store_dwordx4 v[99:100], v[4:7], off
	global_load_dwordx4 v[4:7], v[13:14], off
	v_mul_f64 v[47:48], v[97:98], v[47:48]
	s_waitcnt vmcnt(2)
	v_add_f64 v[8:9], v[55:56], v[8:9]
	v_add_f64 v[10:11], v[57:58], v[10:11]
	v_lshlrev_b64 v[55:56], 4, v[45:46]
	v_mul_f64 v[57:58], v[36:37], v[40:41]
	v_add_co_u32_e32 v55, vcc, s8, v55
	v_addc_co_u32_e32 v56, vcc, v15, v56, vcc
	v_mul_f64 v[40:41], v[40:41], -v[85:86]
	global_store_dwordx4 v[93:94], v[8:11], off
	global_load_dwordx4 v[8:11], v[55:56], off
	v_fma_f64 v[57:58], -v[85:86], v[38:39], v[57:58]
	v_add_u32_e32 v45, s34, v12
	v_fma_f64 v[38:39], -v[36:37], v[38:39], v[40:41]
	v_fma_f64 v[40:41], v[97:98], v[42:43], v[63:64]
	v_fma_f64 v[42:43], v[89:90], v[42:43], v[47:48]
	v_fma_f64 v[47:48], -v[85:86], v[71:72], v[69:70]
	v_fma_f64 v[63:64], -v[36:37], v[71:72], v[73:74]
	v_fma_f64 v[69:70], v[97:98], v[75:76], v[81:82]
	v_fma_f64 v[71:72], v[89:90], v[75:76], v[77:78]
	v_add_f64 v[40:41], v[57:58], -v[40:41]
	v_add_f64 v[38:39], v[38:39], -v[42:43]
	;; [unrolled: 1-line block ×4, first 2 shown]
	s_waitcnt vmcnt(2)
	v_add_f64 v[4:5], v[40:41], v[4:5]
	v_add_f64 v[6:7], v[38:39], v[6:7]
	v_lshlrev_b64 v[38:39], 4, v[45:46]
	v_mul_f64 v[40:41], v[97:98], v[59:60]
	v_add_co_u32_e32 v38, vcc, s8, v38
	v_addc_co_u32_e32 v39, vcc, v15, v39, vcc
	v_add_u32_e32 v45, s35, v12
	v_fma_f64 v[40:41], v[89:90], v[65:66], v[40:41]
	s_waitcnt vmcnt(0)
	v_add_f64 v[8:9], v[42:43], v[8:9]
	v_add_f64 v[10:11], v[47:48], v[10:11]
	global_store_dwordx4 v[13:14], v[4:7], off
	global_store_dwordx4 v[55:56], v[8:11], off
	global_load_dwordx4 v[4:7], v[38:39], off
	v_mul_f64 v[8:9], v[36:37], v[61:62]
	v_mul_f64 v[10:11], v[61:62], -v[85:86]
	v_mul_f64 v[13:14], v[59:60], -v[89:90]
	v_fma_f64 v[8:9], -v[85:86], v[67:68], v[8:9]
	v_fma_f64 v[10:11], -v[36:37], v[67:68], v[10:11]
	v_fma_f64 v[13:14], v[97:98], v[65:66], v[13:14]
	v_add_f64 v[10:11], v[10:11], -v[40:41]
	v_add_f64 v[8:9], v[8:9], -v[13:14]
	v_mul_f64 v[13:14], v[51:52], -v[85:86]
	v_mul_f64 v[40:41], v[97:98], v[49:50]
	v_fma_f64 v[13:14], -v[36:37], v[53:54], v[13:14]
	v_fma_f64 v[40:41], v[89:90], v[79:80], v[40:41]
	v_add_f64 v[14:15], v[13:14], -v[40:41]
	v_ashrrev_i32_e32 v13, 31, v12
	s_waitcnt vmcnt(0)
	v_add_f64 v[4:5], v[8:9], v[4:5]
	v_add_f64 v[6:7], v[10:11], v[6:7]
	v_lshlrev_b64 v[8:9], 4, v[45:46]
	v_mov_b32_e32 v10, s9
	v_add_co_u32_e32 v8, vcc, s8, v8
	v_addc_co_u32_e32 v9, vcc, v10, v9, vcc
	v_mul_f64 v[10:11], v[36:37], v[51:52]
	global_store_dwordx4 v[38:39], v[4:7], off
	global_load_dwordx4 v[4:7], v[8:9], off
	v_mul_f64 v[38:39], v[49:50], -v[89:90]
	v_add_u32_e32 v45, s36, v12
	v_fma_f64 v[10:11], -v[85:86], v[53:54], v[10:11]
	v_fma_f64 v[38:39], v[97:98], v[79:80], v[38:39]
	v_add_f64 v[10:11], v[10:11], -v[38:39]
	v_mov_b32_e32 v38, s9
	v_mov_b32_e32 v39, s15
	s_waitcnt vmcnt(0)
	v_add_f64 v[4:5], v[10:11], v[4:5]
	v_add_f64 v[6:7], v[14:15], v[6:7]
	v_lshlrev_b64 v[10:11], 4, v[12:13]
	v_lshlrev_b64 v[12:13], 4, v[45:46]
	v_add_co_u32_e32 v14, vcc, s8, v12
	v_addc_co_u32_e32 v15, vcc, v38, v13, vcc
	global_store_dwordx4 v[8:9], v[4:7], off
	v_add_co_u32_e32 v8, vcc, s14, v10
	v_addc_co_u32_e32 v9, vcc, v39, v11, vcc
	global_load_dwordx4 v[4:7], v[14:15], off
	global_load_dwordx4 v[10:13], v[8:9], off
	v_mul_f64 v[8:9], v[2:3], -v[22:23]
	v_mul_f64 v[2:3], v[2:3], v[20:21]
	v_fma_f64 v[8:9], v[20:21], v[0:1], v[8:9]
	v_fma_f64 v[0:1], v[22:23], v[0:1], v[2:3]
	v_mul_f64 v[20:21], v[36:37], v[28:29]
	v_mul_f64 v[22:23], v[28:29], -v[85:86]
	v_mul_f64 v[28:29], v[32:33], -v[89:90]
	v_mul_f64 v[32:33], v[97:98], v[32:33]
	v_mul_f64 v[2:3], v[18:19], v[8:9]
	v_mul_f64 v[18:19], v[18:19], -v[0:1]
	v_fma_f64 v[0:1], v[0:1], v[16:17], v[2:3]
	v_fma_f64 v[2:3], v[8:9], v[16:17], v[18:19]
	v_fma_f64 v[8:9], -v[85:86], v[30:31], v[20:21]
	v_fma_f64 v[16:17], -v[36:37], v[30:31], v[22:23]
	v_fma_f64 v[18:19], v[97:98], v[34:35], v[28:29]
	v_fma_f64 v[20:21], v[89:90], v[34:35], v[32:33]
	v_mul_f64 v[22:23], v[24:25], -v[0:1]
	v_mul_f64 v[24:25], v[24:25], v[2:3]
	v_add_f64 v[8:9], v[8:9], -v[18:19]
	v_add_f64 v[16:17], v[16:17], -v[20:21]
	v_fma_f64 v[18:19], v[2:3], v[26:27], v[22:23]
	v_fma_f64 v[20:21], v[0:1], v[26:27], v[24:25]
	s_waitcnt vmcnt(1)
	v_add_f64 v[0:1], v[8:9], v[4:5]
	v_add_f64 v[2:3], v[16:17], v[6:7]
	s_waitcnt vmcnt(0)
	v_add_f64 v[10:11], v[10:11], -v[18:19]
	v_add_f64 v[8:9], v[12:13], -v[20:21]
	global_store_dwordx4 v[14:15], v[0:3], off
.LBB328_16:                             ;   in Loop: Header=BB328_5 Depth=1
	s_or_b64 exec, exec, s[4:5]
	v_mov_b32_e32 v2, v8
	v_mov_b32_e32 v0, v10
	;; [unrolled: 1-line block ×4, first 2 shown]
                                        ; implicit-def: $vgpr4_vgpr5
                                        ; implicit-def: $vgpr12_vgpr13
                                        ; implicit-def: $vgpr8_vgpr9
                                        ; implicit-def: $vgpr47_vgpr48
                                        ; implicit-def: $vgpr49_vgpr50
                                        ; implicit-def: $vgpr36
                                        ; implicit-def: $vgpr34
                                        ; implicit-def: $vgpr32
                                        ; implicit-def: $vgpr30
                                        ; implicit-def: $vgpr28
                                        ; implicit-def: $vgpr26
                                        ; implicit-def: $vgpr24
.LBB328_17:                             ;   in Loop: Header=BB328_5 Depth=1
	s_or_saveexec_b64 s[2:3], s[20:21]
	v_mov_b32_e32 v10, s27
	s_xor_b64 exec, exec, s[2:3]
	s_cbranch_execz .LBB328_4
; %bb.18:                               ;   in Loop: Header=BB328_5 Depth=1
	v_mul_f64 v[10:11], v[2:3], v[2:3]
	v_lshlrev_b64 v[16:17], 4, v[45:46]
	v_mov_b32_e32 v35, v46
	v_mov_b32_e32 v37, v46
	v_lshlrev_b64 v[20:21], 4, v[34:35]
	v_mov_b32_e32 v25, s9
	v_lshlrev_b64 v[18:19], 4, v[36:37]
	v_add_co_u32_e32 v73, vcc, s8, v16
	v_fma_f64 v[10:11], v[0:1], v[0:1], v[10:11]
	v_addc_co_u32_e32 v74, vcc, v25, v17, vcc
	v_mov_b32_e32 v40, s9
	v_add_co_u32_e32 v75, vcc, s8, v18
	v_mov_b32_e32 v33, v46
	v_addc_co_u32_e32 v76, vcc, v40, v19, vcc
	v_div_scale_f64 v[38:39], s[4:5], v[10:11], v[10:11], 1.0
	v_mov_b32_e32 v41, s9
	v_lshlrev_b64 v[22:23], 4, v[32:33]
	v_add_co_u32_e32 v77, vcc, s8, v20
	v_mov_b32_e32 v31, v46
	v_addc_co_u32_e32 v78, vcc, v41, v21, vcc
	v_mov_b32_e32 v42, s9
	v_lshlrev_b64 v[30:31], 4, v[30:31]
	v_add_co_u32_e32 v79, vcc, s8, v22
	v_mov_b32_e32 v29, v46
	v_addc_co_u32_e32 v80, vcc, v42, v23, vcc
	v_rcp_f64_e32 v[34:35], v[38:39]
	v_mov_b32_e32 v43, s9
	v_lshlrev_b64 v[28:29], 4, v[28:29]
	v_add_co_u32_e32 v81, vcc, s8, v30
	v_mov_b32_e32 v27, v46
	v_addc_co_u32_e32 v82, vcc, v43, v31, vcc
	v_mov_b32_e32 v45, s9
	v_lshlrev_b64 v[32:33], 4, v[26:27]
	v_add_co_u32_e32 v83, vcc, s8, v28
	v_addc_co_u32_e32 v84, vcc, v45, v29, vcc
	v_mov_b32_e32 v25, v46
	v_mov_b32_e32 v51, s9
	v_add_co_u32_e32 v85, vcc, s8, v32
	v_lshlrev_b64 v[24:25], 4, v[24:25]
	v_addc_co_u32_e32 v86, vcc, v51, v33, vcc
	v_mov_b32_e32 v32, s9
	v_add_co_u32_e32 v87, vcc, s8, v24
	v_fma_f64 v[30:31], -v[38:39], v[34:35], 1.0
	global_load_dwordx4 v[16:19], v[73:74], off
	global_load_dwordx4 v[20:23], v[75:76], off
	;; [unrolled: 1-line block ×6, first 2 shown]
	v_addc_co_u32_e32 v88, vcc, v32, v25, vcc
	global_load_dwordx4 v[65:68], v[85:86], off
	global_load_dwordx4 v[69:72], v[87:88], off
	v_div_scale_f64 v[24:25], vcc, 1.0, v[10:11], 1.0
	v_fma_f64 v[30:31], v[34:35], v[30:31], v[34:35]
	v_fma_f64 v[32:33], -v[38:39], v[30:31], 1.0
	v_fma_f64 v[30:31], v[30:31], v[32:33], v[30:31]
	v_mul_f64 v[32:33], v[24:25], v[30:31]
	v_fma_f64 v[24:25], -v[38:39], v[32:33], v[24:25]
	v_div_fmas_f64 v[24:25], v[24:25], v[30:31], v[32:33]
	v_fma_f64 v[30:31], v[0:1], 0, -v[2:3]
	v_fma_f64 v[0:1], v[2:3], 0, v[0:1]
	v_div_fixup_f64 v[10:11], v[24:25], v[10:11], 1.0
	v_mul_f64 v[51:52], v[30:31], v[10:11]
	v_mul_f64 v[10:11], v[0:1], v[10:11]
	s_waitcnt vmcnt(7)
	v_mul_f64 v[0:1], v[51:52], -v[18:19]
	v_mul_f64 v[2:3], v[51:52], v[16:17]
	s_waitcnt vmcnt(6)
	v_mul_f64 v[24:25], v[51:52], -v[22:23]
	;; [unrolled: 3-line block ×8, first 2 shown]
	v_mul_f64 v[111:112], v[51:52], v[69:70]
	v_fma_f64 v[40:41], v[16:17], v[10:11], v[0:1]
	v_fma_f64 v[42:43], v[18:19], v[10:11], v[2:3]
	;; [unrolled: 1-line block ×16, first 2 shown]
	global_store_dwordx4 v[73:74], v[40:43], off
	global_store_dwordx4 v[75:76], v[36:39], off
	global_store_dwordx4 v[77:78], v[32:35], off
	global_store_dwordx4 v[79:80], v[28:31], off
	global_store_dwordx4 v[81:82], v[24:27], off
	global_store_dwordx4 v[83:84], v[20:23], off
	global_store_dwordx4 v[85:86], v[16:19], off
	global_store_dwordx4 v[87:88], v[0:3], off
	s_and_saveexec_b64 s[4:5], s[0:1]
	s_cbranch_execz .LBB328_3
; %bb.19:                               ;   in Loop: Header=BB328_5 Depth=1
	v_add_u32_e32 v65, v103, v105
	v_add_u32_e32 v45, s28, v65
	v_lshlrev_b64 v[53:54], 4, v[45:46]
	v_mov_b32_e32 v45, s9
	v_add_co_u32_e32 v61, vcc, s8, v53
	v_addc_co_u32_e32 v62, vcc, v45, v54, vcc
	global_load_dwordx4 v[53:56], v[61:62], off
	v_add_u32_e32 v45, s29, v65
	v_lshlrev_b64 v[57:58], 4, v[45:46]
	v_add_u32_e32 v45, s30, v65
	v_mov_b32_e32 v59, s9
	v_add_co_u32_e32 v63, vcc, s8, v57
	v_addc_co_u32_e32 v64, vcc, v59, v58, vcc
	global_load_dwordx4 v[57:60], v[63:64], off
	s_waitcnt vmcnt(1)
	v_fma_f64 v[53:54], -v[4:5], v[40:41], v[53:54]
	v_fma_f64 v[55:56], -v[6:7], v[40:41], v[55:56]
	v_fma_f64 v[40:41], v[6:7], v[42:43], v[53:54]
	v_fma_f64 v[42:43], -v[4:5], v[42:43], v[55:56]
	v_lshlrev_b64 v[53:54], 4, v[45:46]
	v_mov_b32_e32 v55, s9
	v_add_co_u32_e32 v53, vcc, s8, v53
	v_addc_co_u32_e32 v54, vcc, v55, v54, vcc
	v_add_u32_e32 v45, s31, v65
	global_store_dwordx4 v[61:62], v[40:43], off
	global_load_dwordx4 v[40:43], v[53:54], off
	s_waitcnt vmcnt(2)
	v_fma_f64 v[55:56], -v[4:5], v[36:37], v[57:58]
	v_fma_f64 v[57:58], -v[6:7], v[36:37], v[59:60]
	v_fma_f64 v[36:37], v[6:7], v[38:39], v[55:56]
	v_fma_f64 v[38:39], -v[4:5], v[38:39], v[57:58]
	v_lshlrev_b64 v[55:56], 4, v[45:46]
	v_add_u32_e32 v45, s33, v65
	v_mov_b32_e32 v57, s9
	v_add_co_u32_e32 v55, vcc, s8, v55
	v_addc_co_u32_e32 v56, vcc, v57, v56, vcc
	global_store_dwordx4 v[63:64], v[36:39], off
	global_load_dwordx4 v[36:39], v[55:56], off
	s_waitcnt vmcnt(2)
	v_fma_f64 v[40:41], -v[4:5], v[32:33], v[40:41]
	v_fma_f64 v[42:43], -v[6:7], v[32:33], v[42:43]
	v_fma_f64 v[32:33], v[6:7], v[34:35], v[40:41]
	v_fma_f64 v[34:35], -v[4:5], v[34:35], v[42:43]
	v_lshlrev_b64 v[40:41], 4, v[45:46]
	v_mov_b32_e32 v42, s9
	v_add_co_u32_e32 v40, vcc, s8, v40
	v_addc_co_u32_e32 v41, vcc, v42, v41, vcc
	v_add_u32_e32 v45, s34, v65
	global_store_dwordx4 v[53:54], v[32:35], off
	global_load_dwordx4 v[32:35], v[40:41], off
	s_waitcnt vmcnt(2)
	v_fma_f64 v[36:37], -v[4:5], v[28:29], v[36:37]
	v_fma_f64 v[38:39], -v[6:7], v[28:29], v[38:39]
	v_fma_f64 v[28:29], v[6:7], v[30:31], v[36:37]
	v_fma_f64 v[30:31], -v[4:5], v[30:31], v[38:39]
	s_waitcnt vmcnt(0)
	v_fma_f64 v[32:33], -v[4:5], v[24:25], v[32:33]
	v_fma_f64 v[34:35], -v[6:7], v[24:25], v[34:35]
	v_fma_f64 v[24:25], v[6:7], v[26:27], v[32:33]
	v_fma_f64 v[26:27], -v[4:5], v[26:27], v[34:35]
	v_lshlrev_b64 v[32:33], 4, v[45:46]
	global_store_dwordx4 v[55:56], v[28:31], off
	global_store_dwordx4 v[40:41], v[24:27], off
	v_add_co_u32_e32 v32, vcc, s8, v32
	v_addc_co_u32_e32 v33, vcc, v42, v33, vcc
	global_load_dwordx4 v[24:27], v[32:33], off
	v_add_u32_e32 v45, s35, v65
	s_waitcnt vmcnt(0)
	v_fma_f64 v[24:25], -v[4:5], v[20:21], v[24:25]
	v_fma_f64 v[26:27], -v[6:7], v[20:21], v[26:27]
	v_fma_f64 v[20:21], v[6:7], v[22:23], v[24:25]
	v_fma_f64 v[22:23], -v[4:5], v[22:23], v[26:27]
	v_lshlrev_b64 v[24:25], 4, v[45:46]
	v_mov_b32_e32 v26, s9
	v_add_co_u32_e32 v24, vcc, s8, v24
	v_addc_co_u32_e32 v25, vcc, v26, v25, vcc
	v_add_u32_e32 v45, s36, v65
	global_store_dwordx4 v[32:33], v[20:23], off
	global_load_dwordx4 v[20:23], v[24:25], off
	s_waitcnt vmcnt(0)
	v_fma_f64 v[20:21], -v[4:5], v[16:17], v[20:21]
	v_fma_f64 v[22:23], -v[6:7], v[16:17], v[22:23]
	v_fma_f64 v[16:17], v[6:7], v[18:19], v[20:21]
	v_fma_f64 v[18:19], -v[4:5], v[18:19], v[22:23]
	v_lshlrev_b64 v[20:21], 4, v[45:46]
	v_mov_b32_e32 v22, s9
	v_add_co_u32_e32 v20, vcc, s8, v20
	v_addc_co_u32_e32 v21, vcc, v22, v21, vcc
	global_store_dwordx4 v[24:25], v[16:19], off
	global_load_dwordx4 v[16:19], v[20:21], off
	s_waitcnt vmcnt(0)
	v_fma_f64 v[16:17], -v[4:5], v[0:1], v[16:17]
	v_fma_f64 v[18:19], -v[6:7], v[0:1], v[18:19]
	v_fma_f64 v[0:1], v[6:7], v[2:3], v[16:17]
	v_fma_f64 v[2:3], -v[4:5], v[2:3], v[18:19]
	global_store_dwordx4 v[20:21], v[0:3], off
	s_branch .LBB328_3
.LBB328_20:
	s_or_b64 exec, exec, s[18:19]
	s_branch .LBB328_22
.LBB328_21:
	v_mov_b32_e32 v105, 0
.LBB328_22:
	v_subrev_u32_e32 v2, s22, v105
	v_add_u32_e32 v0, v2, v44
	v_ashrrev_i32_e32 v1, 31, v0
	v_lshlrev_b64 v[0:1], 2, v[0:1]
	s_waitcnt lgkmcnt(0)
	v_mov_b32_e32 v3, s17
	v_add_co_u32_e32 v0, vcc, s16, v0
	v_addc_co_u32_e32 v1, vcc, v3, v1, vcc
	s_waitcnt vmcnt(0)
	buffer_wbinvl1_vol
	global_load_dword v0, v[0:1], off
	s_waitcnt vmcnt(0)
	v_mul_lo_u32 v0, v0, s22
	v_sub_u32_e32 v8, v2, v0
	v_cmp_lt_i32_e32 vcc, -1, v8
	s_and_b64 exec, exec, vcc
	s_cbranch_execz .LBB328_29
; %bb.23:
	s_lshl_b32 s4, s24, 3
	s_add_i32 s5, s4, s23
	s_add_i32 s6, s5, s23
	;; [unrolled: 1-line block ×7, first 2 shown]
	s_lshl_b32 s18, s22, 1
	s_mov_b64 s[0:1], 0
	v_mov_b32_e32 v9, s17
	v_mov_b32_e32 v10, s11
	;; [unrolled: 1-line block ×3, first 2 shown]
	s_branch .LBB328_25
.LBB328_24:                             ;   in Loop: Header=BB328_25 Depth=1
	s_or_b64 exec, exec, s[2:3]
	v_sub_u32_e32 v8, v8, v4
	v_cmp_gt_i32_e32 vcc, 0, v8
	s_or_b64 s[0:1], vcc, s[0:1]
	s_andn2_b64 exec, exec, s[0:1]
	s_cbranch_execz .LBB328_29
.LBB328_25:                             ; =>This Inner Loop Header: Depth=1
	v_add_u32_e32 v6, v8, v44
	v_ashrrev_i32_e32 v7, 31, v6
	s_waitcnt vmcnt(0)
	v_lshlrev_b64 v[0:1], 2, v[6:7]
	v_add_co_u32_e32 v0, vcc, s16, v0
	v_addc_co_u32_e32 v1, vcc, v9, v1, vcc
	global_load_dword v4, v[0:1], off
	v_lshlrev_b64 v[0:1], 4, v[6:7]
	v_add_co_u32_e32 v0, vcc, s10, v0
	v_addc_co_u32_e32 v1, vcc, v10, v1, vcc
	global_load_dwordx4 v[0:3], v[0:1], off
	s_waitcnt vmcnt(1)
	v_cmp_ne_u32_e32 vcc, 1, v4
	s_and_saveexec_b64 s[2:3], vcc
	s_xor_b64 s[2:3], exec, s[2:3]
	s_cbranch_execz .LBB328_27
; %bb.26:                               ;   in Loop: Header=BB328_25 Depth=1
	v_add_u32_e32 v7, v103, v8
	v_add_u32_e32 v4, s4, v7
	v_lshlrev_b64 v[11:12], 4, v[4:5]
	v_mov_b32_e32 v4, s9
	v_add_co_u32_e32 v11, vcc, s8, v11
	v_addc_co_u32_e32 v12, vcc, v4, v12, vcc
	v_add_u32_e32 v4, s5, v7
	v_lshlrev_b64 v[19:20], 4, v[4:5]
	v_add_u32_e32 v4, s6, v7
	v_lshlrev_b64 v[23:24], 4, v[4:5]
	;; [unrolled: 2-line block ×8, first 2 shown]
	v_mov_b32_e32 v4, s9
	v_add_co_u32_e32 v49, vcc, s8, v15
	v_addc_co_u32_e32 v50, vcc, v4, v16, vcc
	global_load_dwordx4 v[11:14], v[11:12], off
	v_add_co_u32_e32 v19, vcc, s8, v19
	global_load_dwordx4 v[15:18], v[49:50], off
	v_addc_co_u32_e32 v20, vcc, v4, v20, vcc
	global_load_dwordx4 v[19:22], v[19:20], off
	v_mov_b32_e32 v7, s9
	v_add_co_u32_e32 v35, vcc, s8, v23
	v_addc_co_u32_e32 v36, vcc, v7, v24, vcc
	v_mov_b32_e32 v27, s9
	v_add_co_u32_e32 v37, vcc, s8, v25
	v_addc_co_u32_e32 v38, vcc, v27, v26, vcc
	;; [unrolled: 3-line block ×5, first 2 shown]
	v_add_u32_e32 v4, s5, v6
	v_mov_b32_e32 v54, s9
	v_add_co_u32_e32 v53, vcc, s8, v41
	v_lshlrev_b64 v[55:56], 4, v[4:5]
	v_addc_co_u32_e32 v54, vcc, v54, v42, vcc
	v_mov_b32_e32 v57, s9
	global_load_dwordx4 v[23:26], v[35:36], off
	global_load_dwordx4 v[27:30], v[37:38], off
	;; [unrolled: 1-line block ×3, first 2 shown]
	s_nop 0
	global_load_dwordx4 v[35:38], v[47:48], off
	global_load_dwordx4 v[39:42], v[51:52], off
	s_nop 0
	global_load_dwordx4 v[45:48], v[53:54], off
	v_add_co_u32_e32 v51, vcc, s8, v55
	v_addc_co_u32_e32 v52, vcc, v57, v56, vcc
	v_add_u32_e32 v4, s6, v6
	s_waitcnt vmcnt(7)
	v_fma_f64 v[15:16], -v[0:1], v[11:12], v[15:16]
	v_fma_f64 v[17:18], -v[2:3], v[11:12], v[17:18]
	v_fma_f64 v[15:16], v[2:3], v[13:14], v[15:16]
	v_fma_f64 v[17:18], -v[0:1], v[13:14], v[17:18]
	global_store_dwordx4 v[49:50], v[15:18], off
	global_load_dwordx4 v[15:18], v[51:52], off
	v_lshlrev_b64 v[49:50], 4, v[4:5]
	v_add_u32_e32 v4, s7, v6
	v_add_co_u32_e32 v49, vcc, s8, v49
	v_addc_co_u32_e32 v50, vcc, v7, v50, vcc
	s_waitcnt vmcnt(0)
	v_fma_f64 v[15:16], -v[0:1], v[19:20], v[15:16]
	v_fma_f64 v[17:18], -v[2:3], v[19:20], v[17:18]
	v_fma_f64 v[15:16], v[2:3], v[21:22], v[15:16]
	v_fma_f64 v[17:18], -v[0:1], v[21:22], v[17:18]
	global_store_dwordx4 v[51:52], v[15:18], off
	global_load_dwordx4 v[15:18], v[49:50], off
	v_lshlrev_b64 v[51:52], 4, v[4:5]
	v_add_u32_e32 v4, s12, v6
	v_add_co_u32_e32 v51, vcc, s8, v51
	v_addc_co_u32_e32 v52, vcc, v7, v52, vcc
	;; [unrolled: 11-line block ×5, first 2 shown]
	v_lshlrev_b64 v[6:7], 4, v[4:5]
	v_subrev_u32_e32 v4, s22, v8
	v_add_co_u32_e32 v6, vcc, s8, v6
	v_addc_co_u32_e32 v7, vcc, v43, v7, vcc
	v_mov_b32_e32 v43, s11
	s_waitcnt vmcnt(0)
	v_fma_f64 v[15:16], -v[0:1], v[35:36], v[15:16]
	v_fma_f64 v[17:18], -v[2:3], v[35:36], v[17:18]
	v_fma_f64 v[15:16], v[2:3], v[37:38], v[15:16]
	v_fma_f64 v[17:18], -v[0:1], v[37:38], v[17:18]
	global_store_dwordx4 v[51:52], v[15:18], off
	global_load_dwordx4 v[15:18], v[49:50], off
	v_mov_b32_e32 v52, s9
	s_waitcnt vmcnt(0)
	v_fma_f64 v[15:16], -v[0:1], v[39:40], v[15:16]
	v_fma_f64 v[17:18], -v[2:3], v[39:40], v[17:18]
	v_fma_f64 v[15:16], v[2:3], v[41:42], v[15:16]
	v_fma_f64 v[17:18], -v[0:1], v[41:42], v[17:18]
	global_store_dwordx4 v[49:50], v[15:18], off
	global_load_dwordx4 v[15:18], v[6:7], off
	v_add_u32_e32 v49, v4, v44
	v_ashrrev_i32_e32 v50, 31, v49
	v_lshlrev_b64 v[50:51], 4, v[49:50]
	v_add_u32_e32 v4, s4, v49
	v_add_co_u32_e32 v50, vcc, s10, v50
	v_addc_co_u32_e32 v51, vcc, v43, v51, vcc
	s_waitcnt vmcnt(0)
	v_fma_f64 v[15:16], -v[0:1], v[45:46], v[15:16]
	v_fma_f64 v[17:18], -v[2:3], v[45:46], v[17:18]
	v_fma_f64 v[15:16], v[2:3], v[47:48], v[15:16]
	v_fma_f64 v[17:18], -v[0:1], v[47:48], v[17:18]
	global_load_dwordx4 v[0:3], v[50:51], off
	v_lshlrev_b64 v[50:51], 4, v[4:5]
	v_add_u32_e32 v4, s5, v49
	v_add_co_u32_e32 v50, vcc, s8, v50
	v_addc_co_u32_e32 v51, vcc, v52, v51, vcc
	global_store_dwordx4 v[6:7], v[15:18], off
	global_load_dwordx4 v[15:18], v[50:51], off
	s_waitcnt vmcnt(0)
	v_fma_f64 v[6:7], -v[0:1], v[11:12], v[15:16]
	v_fma_f64 v[15:16], -v[2:3], v[11:12], v[17:18]
	v_mov_b32_e32 v17, s9
	v_fma_f64 v[11:12], v[2:3], v[13:14], v[6:7]
	v_fma_f64 v[13:14], -v[0:1], v[13:14], v[15:16]
	v_lshlrev_b64 v[6:7], 4, v[4:5]
	v_mov_b32_e32 v15, s9
	v_add_co_u32_e32 v6, vcc, s8, v6
	v_addc_co_u32_e32 v7, vcc, v15, v7, vcc
	v_add_u32_e32 v4, s6, v49
	global_store_dwordx4 v[50:51], v[11:14], off
	global_load_dwordx4 v[11:14], v[6:7], off
	v_lshlrev_b64 v[15:16], 4, v[4:5]
	v_add_u32_e32 v4, s7, v49
	v_add_co_u32_e32 v15, vcc, s8, v15
	v_addc_co_u32_e32 v16, vcc, v17, v16, vcc
	s_waitcnt vmcnt(0)
	v_fma_f64 v[11:12], -v[0:1], v[19:20], v[11:12]
	v_fma_f64 v[13:14], -v[2:3], v[19:20], v[13:14]
	v_fma_f64 v[11:12], v[2:3], v[21:22], v[11:12]
	v_fma_f64 v[13:14], -v[0:1], v[21:22], v[13:14]
	global_store_dwordx4 v[6:7], v[11:14], off
	global_load_dwordx4 v[11:14], v[15:16], off
	s_waitcnt vmcnt(0)
	v_fma_f64 v[6:7], -v[0:1], v[23:24], v[11:12]
	v_fma_f64 v[13:14], -v[2:3], v[23:24], v[13:14]
	v_fma_f64 v[11:12], v[2:3], v[25:26], v[6:7]
	v_fma_f64 v[13:14], -v[0:1], v[25:26], v[13:14]
	v_lshlrev_b64 v[6:7], 4, v[4:5]
	v_add_u32_e32 v4, s12, v49
	v_add_co_u32_e32 v6, vcc, s8, v6
	v_addc_co_u32_e32 v7, vcc, v17, v7, vcc
	global_store_dwordx4 v[15:16], v[11:14], off
	global_load_dwordx4 v[11:14], v[6:7], off
	v_lshlrev_b64 v[15:16], 4, v[4:5]
	v_add_u32_e32 v4, s13, v49
	v_add_co_u32_e32 v15, vcc, s8, v15
	v_addc_co_u32_e32 v16, vcc, v17, v16, vcc
	s_waitcnt vmcnt(0)
	v_fma_f64 v[11:12], -v[0:1], v[27:28], v[11:12]
	v_fma_f64 v[13:14], -v[2:3], v[27:28], v[13:14]
	v_fma_f64 v[11:12], v[2:3], v[29:30], v[11:12]
	v_fma_f64 v[13:14], -v[0:1], v[29:30], v[13:14]
	global_store_dwordx4 v[6:7], v[11:14], off
	global_load_dwordx4 v[11:14], v[15:16], off
	s_waitcnt vmcnt(0)
	v_fma_f64 v[6:7], -v[0:1], v[31:32], v[11:12]
	v_fma_f64 v[13:14], -v[2:3], v[31:32], v[13:14]
	v_fma_f64 v[11:12], v[2:3], v[33:34], v[6:7]
	v_fma_f64 v[13:14], -v[0:1], v[33:34], v[13:14]
	v_lshlrev_b64 v[6:7], 4, v[4:5]
	v_add_u32_e32 v4, s14, v49
	v_add_co_u32_e32 v6, vcc, s8, v6
	v_addc_co_u32_e32 v7, vcc, v17, v7, vcc
	global_store_dwordx4 v[15:16], v[11:14], off
	global_load_dwordx4 v[11:14], v[6:7], off
	v_lshlrev_b64 v[15:16], 4, v[4:5]
	v_add_u32_e32 v4, s15, v49
	v_add_co_u32_e32 v15, vcc, s8, v15
	v_addc_co_u32_e32 v16, vcc, v17, v16, vcc
	s_waitcnt vmcnt(0)
	v_fma_f64 v[11:12], -v[0:1], v[35:36], v[11:12]
	v_fma_f64 v[13:14], -v[2:3], v[35:36], v[13:14]
	v_fma_f64 v[11:12], v[2:3], v[37:38], v[11:12]
	v_fma_f64 v[13:14], -v[0:1], v[37:38], v[13:14]
	global_store_dwordx4 v[6:7], v[11:14], off
	global_load_dwordx4 v[11:14], v[15:16], off
	s_waitcnt vmcnt(0)
	v_fma_f64 v[6:7], -v[0:1], v[39:40], v[11:12]
	v_fma_f64 v[13:14], -v[2:3], v[39:40], v[13:14]
	v_fma_f64 v[11:12], v[2:3], v[41:42], v[6:7]
	v_fma_f64 v[13:14], -v[0:1], v[41:42], v[13:14]
	v_lshlrev_b64 v[6:7], 4, v[4:5]
	v_add_co_u32_e32 v6, vcc, s8, v6
	v_addc_co_u32_e32 v7, vcc, v17, v7, vcc
	global_store_dwordx4 v[15:16], v[11:14], off
	global_load_dwordx4 v[11:14], v[6:7], off
	s_waitcnt vmcnt(0)
	v_fma_f64 v[11:12], -v[0:1], v[45:46], v[11:12]
	v_fma_f64 v[13:14], -v[2:3], v[45:46], v[13:14]
	v_fma_f64 v[11:12], v[2:3], v[47:48], v[11:12]
	v_fma_f64 v[13:14], -v[0:1], v[47:48], v[13:14]
                                        ; implicit-def: $vgpr0_vgpr1
	global_store_dwordx4 v[6:7], v[11:14], off
                                        ; implicit-def: $vgpr6
.LBB328_27:                             ;   in Loop: Header=BB328_25 Depth=1
	s_or_saveexec_b64 s[2:3], s[2:3]
	v_mov_b32_e32 v4, s18
	s_xor_b64 exec, exec, s[2:3]
	s_cbranch_execz .LBB328_24
; %bb.28:                               ;   in Loop: Header=BB328_25 Depth=1
	v_add_u32_e32 v7, v103, v8
	v_add_u32_e32 v4, s4, v7
	v_lshlrev_b64 v[11:12], 4, v[4:5]
	v_mov_b32_e32 v4, s9
	v_add_co_u32_e32 v19, vcc, s8, v11
	v_addc_co_u32_e32 v20, vcc, v4, v12, vcc
	v_add_u32_e32 v4, s4, v6
	v_lshlrev_b64 v[11:12], 4, v[4:5]
	v_mov_b32_e32 v4, s9
	v_add_co_u32_e32 v21, vcc, s8, v11
	v_addc_co_u32_e32 v22, vcc, v4, v12, vcc
	global_load_dwordx4 v[11:14], v[19:20], off
	global_load_dwordx4 v[15:18], v[21:22], off
	v_add_u32_e32 v4, s5, v7
	v_lshlrev_b64 v[19:20], 4, v[4:5]
	v_add_u32_e32 v4, s5, v6
	v_mov_b32_e32 v25, s9
	v_lshlrev_b64 v[23:24], 4, v[4:5]
	v_add_co_u32_e32 v19, vcc, s8, v19
	v_addc_co_u32_e32 v20, vcc, v25, v20, vcc
	v_mov_b32_e32 v26, s9
	v_add_co_u32_e32 v23, vcc, s8, v23
	v_addc_co_u32_e32 v24, vcc, v26, v24, vcc
	v_add_u32_e32 v4, s6, v7
	s_waitcnt vmcnt(0)
	v_fma_f64 v[15:16], -v[0:1], v[11:12], v[15:16]
	v_fma_f64 v[17:18], -v[2:3], v[11:12], v[17:18]
	v_fma_f64 v[11:12], v[2:3], v[13:14], v[15:16]
	v_fma_f64 v[13:14], -v[0:1], v[13:14], v[17:18]
	global_store_dwordx4 v[21:22], v[11:14], off
	global_load_dwordx4 v[11:14], v[19:20], off
	s_nop 0
	global_load_dwordx4 v[15:18], v[23:24], off
	v_lshlrev_b64 v[19:20], 4, v[4:5]
	v_add_u32_e32 v4, s6, v6
	v_lshlrev_b64 v[21:22], 4, v[4:5]
	v_add_co_u32_e32 v19, vcc, s8, v19
	v_addc_co_u32_e32 v20, vcc, v25, v20, vcc
	v_add_co_u32_e32 v21, vcc, s8, v21
	v_addc_co_u32_e32 v22, vcc, v26, v22, vcc
	v_add_u32_e32 v4, s7, v7
	s_waitcnt vmcnt(0)
	v_fma_f64 v[15:16], -v[0:1], v[11:12], v[15:16]
	v_fma_f64 v[17:18], -v[2:3], v[11:12], v[17:18]
	v_fma_f64 v[11:12], v[2:3], v[13:14], v[15:16]
	v_fma_f64 v[13:14], -v[0:1], v[13:14], v[17:18]
	global_store_dwordx4 v[23:24], v[11:14], off
	global_load_dwordx4 v[11:14], v[19:20], off
	s_nop 0
	global_load_dwordx4 v[15:18], v[21:22], off
	v_lshlrev_b64 v[19:20], 4, v[4:5]
	v_add_u32_e32 v4, s7, v6
	v_lshlrev_b64 v[23:24], 4, v[4:5]
	v_add_co_u32_e32 v19, vcc, s8, v19
	v_addc_co_u32_e32 v20, vcc, v25, v20, vcc
	;; [unrolled: 17-line block ×5, first 2 shown]
	v_add_co_u32_e32 v21, vcc, s8, v21
	v_addc_co_u32_e32 v22, vcc, v26, v22, vcc
	v_add_u32_e32 v4, s15, v7
	s_waitcnt vmcnt(0)
	v_fma_f64 v[15:16], -v[0:1], v[11:12], v[15:16]
	v_fma_f64 v[17:18], -v[2:3], v[11:12], v[17:18]
	v_fma_f64 v[11:12], v[2:3], v[13:14], v[15:16]
	v_fma_f64 v[13:14], -v[0:1], v[13:14], v[17:18]
	global_store_dwordx4 v[23:24], v[11:14], off
	global_load_dwordx4 v[11:14], v[19:20], off
	s_nop 0
	global_load_dwordx4 v[15:18], v[21:22], off
	v_lshlrev_b64 v[19:20], 4, v[4:5]
	v_add_u32_e32 v4, s15, v6
	v_mov_b32_e32 v23, s9
	v_lshlrev_b64 v[6:7], 4, v[4:5]
	v_add_co_u32_e32 v19, vcc, s8, v19
	v_addc_co_u32_e32 v20, vcc, v23, v20, vcc
	v_mov_b32_e32 v24, s9
	v_add_co_u32_e32 v6, vcc, s8, v6
	v_addc_co_u32_e32 v7, vcc, v24, v7, vcc
	v_mov_b32_e32 v4, s22
	s_waitcnt vmcnt(0)
	v_fma_f64 v[15:16], -v[0:1], v[11:12], v[15:16]
	v_fma_f64 v[17:18], -v[2:3], v[11:12], v[17:18]
	v_fma_f64 v[11:12], v[2:3], v[13:14], v[15:16]
	v_fma_f64 v[13:14], -v[0:1], v[13:14], v[17:18]
	global_store_dwordx4 v[21:22], v[11:14], off
	global_load_dwordx4 v[11:14], v[19:20], off
	s_nop 0
	global_load_dwordx4 v[15:18], v[6:7], off
	s_waitcnt vmcnt(0)
	v_fma_f64 v[15:16], -v[0:1], v[11:12], v[15:16]
	v_fma_f64 v[17:18], -v[2:3], v[11:12], v[17:18]
	v_fma_f64 v[11:12], v[2:3], v[13:14], v[15:16]
	v_fma_f64 v[13:14], -v[0:1], v[13:14], v[17:18]
	global_store_dwordx4 v[6:7], v[11:14], off
	s_branch .LBB328_24
.LBB328_29:
	s_endpgm
	.section	.rodata,"a",@progbits
	.p2align	6, 0x0
	.amdhsa_kernel _ZN9rocsparseL19gtsv_LBM_rhs_kernelILj256ELj64ELj8E21rocsparse_complex_numIdEEEviiiPKT2_S5_S5_PS3_S5_PKi
		.amdhsa_group_segment_fixed_size 0
		.amdhsa_private_segment_fixed_size 0
		.amdhsa_kernarg_size 64
		.amdhsa_user_sgpr_count 6
		.amdhsa_user_sgpr_private_segment_buffer 1
		.amdhsa_user_sgpr_dispatch_ptr 0
		.amdhsa_user_sgpr_queue_ptr 0
		.amdhsa_user_sgpr_kernarg_segment_ptr 1
		.amdhsa_user_sgpr_dispatch_id 0
		.amdhsa_user_sgpr_flat_scratch_init 0
		.amdhsa_user_sgpr_private_segment_size 0
		.amdhsa_uses_dynamic_stack 0
		.amdhsa_system_sgpr_private_segment_wavefront_offset 0
		.amdhsa_system_sgpr_workgroup_id_x 1
		.amdhsa_system_sgpr_workgroup_id_y 1
		.amdhsa_system_sgpr_workgroup_id_z 0
		.amdhsa_system_sgpr_workgroup_info 0
		.amdhsa_system_vgpr_workitem_id 0
		.amdhsa_next_free_vgpr 161
		.amdhsa_next_free_sgpr 37
		.amdhsa_reserve_vcc 1
		.amdhsa_reserve_flat_scratch 0
		.amdhsa_float_round_mode_32 0
		.amdhsa_float_round_mode_16_64 0
		.amdhsa_float_denorm_mode_32 3
		.amdhsa_float_denorm_mode_16_64 3
		.amdhsa_dx10_clamp 1
		.amdhsa_ieee_mode 1
		.amdhsa_fp16_overflow 0
		.amdhsa_exception_fp_ieee_invalid_op 0
		.amdhsa_exception_fp_denorm_src 0
		.amdhsa_exception_fp_ieee_div_zero 0
		.amdhsa_exception_fp_ieee_overflow 0
		.amdhsa_exception_fp_ieee_underflow 0
		.amdhsa_exception_fp_ieee_inexact 0
		.amdhsa_exception_int_div_zero 0
	.end_amdhsa_kernel
	.section	.text._ZN9rocsparseL19gtsv_LBM_rhs_kernelILj256ELj64ELj8E21rocsparse_complex_numIdEEEviiiPKT2_S5_S5_PS3_S5_PKi,"axG",@progbits,_ZN9rocsparseL19gtsv_LBM_rhs_kernelILj256ELj64ELj8E21rocsparse_complex_numIdEEEviiiPKT2_S5_S5_PS3_S5_PKi,comdat
.Lfunc_end328:
	.size	_ZN9rocsparseL19gtsv_LBM_rhs_kernelILj256ELj64ELj8E21rocsparse_complex_numIdEEEviiiPKT2_S5_S5_PS3_S5_PKi, .Lfunc_end328-_ZN9rocsparseL19gtsv_LBM_rhs_kernelILj256ELj64ELj8E21rocsparse_complex_numIdEEEviiiPKT2_S5_S5_PS3_S5_PKi
                                        ; -- End function
	.set _ZN9rocsparseL19gtsv_LBM_rhs_kernelILj256ELj64ELj8E21rocsparse_complex_numIdEEEviiiPKT2_S5_S5_PS3_S5_PKi.num_vgpr, 161
	.set _ZN9rocsparseL19gtsv_LBM_rhs_kernelILj256ELj64ELj8E21rocsparse_complex_numIdEEEviiiPKT2_S5_S5_PS3_S5_PKi.num_agpr, 0
	.set _ZN9rocsparseL19gtsv_LBM_rhs_kernelILj256ELj64ELj8E21rocsparse_complex_numIdEEEviiiPKT2_S5_S5_PS3_S5_PKi.numbered_sgpr, 37
	.set _ZN9rocsparseL19gtsv_LBM_rhs_kernelILj256ELj64ELj8E21rocsparse_complex_numIdEEEviiiPKT2_S5_S5_PS3_S5_PKi.num_named_barrier, 0
	.set _ZN9rocsparseL19gtsv_LBM_rhs_kernelILj256ELj64ELj8E21rocsparse_complex_numIdEEEviiiPKT2_S5_S5_PS3_S5_PKi.private_seg_size, 0
	.set _ZN9rocsparseL19gtsv_LBM_rhs_kernelILj256ELj64ELj8E21rocsparse_complex_numIdEEEviiiPKT2_S5_S5_PS3_S5_PKi.uses_vcc, 1
	.set _ZN9rocsparseL19gtsv_LBM_rhs_kernelILj256ELj64ELj8E21rocsparse_complex_numIdEEEviiiPKT2_S5_S5_PS3_S5_PKi.uses_flat_scratch, 0
	.set _ZN9rocsparseL19gtsv_LBM_rhs_kernelILj256ELj64ELj8E21rocsparse_complex_numIdEEEviiiPKT2_S5_S5_PS3_S5_PKi.has_dyn_sized_stack, 0
	.set _ZN9rocsparseL19gtsv_LBM_rhs_kernelILj256ELj64ELj8E21rocsparse_complex_numIdEEEviiiPKT2_S5_S5_PS3_S5_PKi.has_recursion, 0
	.set _ZN9rocsparseL19gtsv_LBM_rhs_kernelILj256ELj64ELj8E21rocsparse_complex_numIdEEEviiiPKT2_S5_S5_PS3_S5_PKi.has_indirect_call, 0
	.section	.AMDGPU.csdata,"",@progbits
; Kernel info:
; codeLenInByte = 8768
; TotalNumSgprs: 41
; NumVgprs: 161
; ScratchSize: 0
; MemoryBound: 1
; FloatMode: 240
; IeeeMode: 1
; LDSByteSize: 0 bytes/workgroup (compile time only)
; SGPRBlocks: 5
; VGPRBlocks: 40
; NumSGPRsForWavesPerEU: 41
; NumVGPRsForWavesPerEU: 161
; Occupancy: 1
; WaveLimiterHint : 0
; COMPUTE_PGM_RSRC2:SCRATCH_EN: 0
; COMPUTE_PGM_RSRC2:USER_SGPR: 6
; COMPUTE_PGM_RSRC2:TRAP_HANDLER: 0
; COMPUTE_PGM_RSRC2:TGID_X_EN: 1
; COMPUTE_PGM_RSRC2:TGID_Y_EN: 1
; COMPUTE_PGM_RSRC2:TGID_Z_EN: 0
; COMPUTE_PGM_RSRC2:TIDIG_COMP_CNT: 0
	.section	.text._ZN9rocsparseL19gtsv_LBM_rhs_kernelILj256ELj64ELj4E21rocsparse_complex_numIdEEEviiiPKT2_S5_S5_PS3_S5_PKi,"axG",@progbits,_ZN9rocsparseL19gtsv_LBM_rhs_kernelILj256ELj64ELj4E21rocsparse_complex_numIdEEEviiiPKT2_S5_S5_PS3_S5_PKi,comdat
	.globl	_ZN9rocsparseL19gtsv_LBM_rhs_kernelILj256ELj64ELj4E21rocsparse_complex_numIdEEEviiiPKT2_S5_S5_PS3_S5_PKi ; -- Begin function _ZN9rocsparseL19gtsv_LBM_rhs_kernelILj256ELj64ELj4E21rocsparse_complex_numIdEEEviiiPKT2_S5_S5_PS3_S5_PKi
	.p2align	8
	.type	_ZN9rocsparseL19gtsv_LBM_rhs_kernelILj256ELj64ELj4E21rocsparse_complex_numIdEEEviiiPKT2_S5_S5_PS3_S5_PKi,@function
_ZN9rocsparseL19gtsv_LBM_rhs_kernelILj256ELj64ELj4E21rocsparse_complex_numIdEEEviiiPKT2_S5_S5_PS3_S5_PKi: ; @_ZN9rocsparseL19gtsv_LBM_rhs_kernelILj256ELj64ELj4E21rocsparse_complex_numIdEEEviiiPKT2_S5_S5_PS3_S5_PKi
; %bb.0:
	s_load_dword s23, s[4:5], 0x0
	v_lshl_or_b32 v28, s6, 8, v0
	s_waitcnt lgkmcnt(0)
	s_lshr_b32 s22, s23, 6
	v_cmp_gt_i32_e32 vcc, s22, v28
	s_and_saveexec_b64 s[0:1], vcc
	s_cbranch_execz .LBB329_29
; %bb.1:
	s_load_dwordx4 s[8:11], s[4:5], 0x28
	s_load_dwordx2 s[16:17], s[4:5], 0x38
	s_cmp_lt_i32 s23, 1
	v_add_u32_e32 v65, s22, v28
	s_mul_i32 s24, s7, s23
	s_cbranch_scc1 .LBB329_21
; %bb.2:
	s_load_dwordx4 s[12:15], s[4:5], 0x10
	s_load_dwordx2 s[6:7], s[4:5], 0x20
	v_ashrrev_i32_e32 v29, 31, v28
	v_lshlrev_b64 v[0:1], 4, v[28:29]
	s_lshl_b32 s28, s24, 2
	s_waitcnt lgkmcnt(0)
	v_mov_b32_e32 v2, s15
	v_add_co_u32_e32 v0, vcc, s14, v0
	v_addc_co_u32_e32 v1, vcc, v2, v1, vcc
	global_load_dwordx4 v[0:3], v[0:1], off
	s_add_i32 s29, s28, s23
	s_add_i32 s30, s29, s23
	s_mul_i32 s25, s22, 63
	s_mul_i32 s26, s22, 62
	s_lshl_b32 s27, s22, 1
	v_add_u32_e32 v67, s22, v65
	s_add_i32 s31, s30, s23
	v_mov_b32_e32 v30, 0
	s_mov_b64 s[18:19], 0
	v_mov_b32_e32 v68, s7
	v_mov_b32_e32 v66, 0
	s_branch .LBB329_5
.LBB329_3:                              ;   in Loop: Header=BB329_5 Depth=1
	s_or_b64 exec, exec, s[4:5]
	v_fma_f64 v[0:1], v[6:7], v[8:9], v[33:34]
	v_fma_f64 v[2:3], v[4:5], v[8:9], v[31:32]
	v_mov_b32_e32 v10, s22
	v_mul_f64 v[4:5], v[35:36], -v[0:1]
	v_mul_f64 v[6:7], v[35:36], v[2:3]
	v_fma_f64 v[2:3], v[2:3], v[14:15], v[4:5]
	v_fma_f64 v[4:5], v[0:1], v[14:15], v[6:7]
	v_add_f64 v[0:1], v[16:17], -v[2:3]
	v_add_f64 v[2:3], v[18:19], -v[4:5]
.LBB329_4:                              ;   in Loop: Header=BB329_5 Depth=1
	s_or_b64 exec, exec, s[2:3]
	v_add_u32_e32 v66, v10, v66
	v_cmp_le_i32_e32 vcc, s23, v66
	s_or_b64 s[18:19], vcc, s[18:19]
	s_andn2_b64 exec, exec, s[18:19]
	s_cbranch_execz .LBB329_20
.LBB329_5:                              ; =>This Inner Loop Header: Depth=1
	v_add_u32_e32 v25, v66, v28
	v_ashrrev_i32_e32 v26, 31, v25
	v_lshlrev_b64 v[4:5], 4, v[25:26]
	v_mov_b32_e32 v16, 0
	v_add_co_u32_e32 v4, vcc, s6, v4
	v_addc_co_u32_e32 v5, vcc, v68, v5, vcc
	global_load_dwordx4 v[8:11], v[4:5], off
	v_mov_b32_e32 v4, 0
	v_mov_b32_e32 v6, 0
	;; [unrolled: 1-line block ×5, first 2 shown]
	v_cmp_gt_u32_e64 s[0:1], s25, v66
	s_and_saveexec_b64 s[2:3], s[0:1]
	s_cbranch_execz .LBB329_7
; %bb.6:                                ;   in Loop: Header=BB329_5 Depth=1
	v_add_u32_e32 v4, v65, v66
	v_ashrrev_i32_e32 v5, 31, v4
	v_lshlrev_b64 v[4:5], 4, v[4:5]
	v_mov_b32_e32 v6, s13
	v_add_co_u32_e32 v4, vcc, s12, v4
	v_addc_co_u32_e32 v5, vcc, v6, v5, vcc
	global_load_dwordx4 v[4:7], v[4:5], off
.LBB329_7:                              ;   in Loop: Header=BB329_5 Depth=1
	s_or_b64 exec, exec, s[2:3]
	v_mov_b32_e32 v18, 0
	v_mov_b32_e32 v19, 0
	s_and_saveexec_b64 s[2:3], s[0:1]
	s_cbranch_execz .LBB329_9
; %bb.8:                                ;   in Loop: Header=BB329_5 Depth=1
	v_add_u32_e32 v12, v65, v66
	v_ashrrev_i32_e32 v13, 31, v12
	v_lshlrev_b64 v[12:13], 4, v[12:13]
	v_mov_b32_e32 v14, s15
	v_add_co_u32_e32 v12, vcc, s14, v12
	v_addc_co_u32_e32 v13, vcc, v14, v13, vcc
	global_load_dwordx4 v[16:19], v[12:13], off
.LBB329_9:                              ;   in Loop: Header=BB329_5 Depth=1
	s_or_b64 exec, exec, s[2:3]
	v_mov_b32_e32 v20, 0
	v_mov_b32_e32 v12, 0
	;; [unrolled: 1-line block ×6, first 2 shown]
	s_and_saveexec_b64 s[2:3], s[0:1]
	s_cbranch_execz .LBB329_11
; %bb.10:                               ;   in Loop: Header=BB329_5 Depth=1
	v_add_u32_e32 v12, v65, v66
	v_ashrrev_i32_e32 v13, 31, v12
	v_lshlrev_b64 v[12:13], 4, v[12:13]
	v_mov_b32_e32 v14, s7
	v_add_co_u32_e32 v12, vcc, s6, v12
	v_addc_co_u32_e32 v13, vcc, v14, v13, vcc
	global_load_dwordx4 v[12:15], v[12:13], off
.LBB329_11:                             ;   in Loop: Header=BB329_5 Depth=1
	s_or_b64 exec, exec, s[2:3]
	v_mov_b32_e32 v22, 0
	v_mov_b32_e32 v23, 0
	v_cmp_gt_u32_e64 s[2:3], s26, v66
	s_and_saveexec_b64 s[4:5], s[2:3]
	s_cbranch_execz .LBB329_13
; %bb.12:                               ;   in Loop: Header=BB329_5 Depth=1
	v_add_u32_e32 v20, v67, v66
	v_ashrrev_i32_e32 v21, 31, v20
	v_lshlrev_b64 v[20:21], 4, v[20:21]
	v_mov_b32_e32 v22, s13
	v_add_co_u32_e32 v20, vcc, s12, v20
	v_addc_co_u32_e32 v21, vcc, v22, v21, vcc
	global_load_dwordx4 v[20:23], v[20:21], off
.LBB329_13:                             ;   in Loop: Header=BB329_5 Depth=1
	s_or_b64 exec, exec, s[4:5]
	v_lshlrev_b64 v[26:27], 2, v[25:26]
	v_mov_b32_e32 v24, s17
	v_add_co_u32_e32 v26, vcc, s16, v26
	v_addc_co_u32_e32 v27, vcc, v24, v27, vcc
	global_load_dword v26, v[26:27], off
	s_waitcnt vmcnt(1)
	v_mul_f64 v[31:32], v[10:11], -v[6:7]
	v_mul_f64 v[33:34], v[10:11], v[4:5]
	v_cmp_ne_u32_e32 vcc, s25, v66
	v_add_u32_e32 v29, s28, v25
	v_add_u32_e32 v24, s29, v25
	;; [unrolled: 1-line block ×4, first 2 shown]
	s_waitcnt vmcnt(0)
	v_cmp_ne_u32_e64 s[4:5], 1, v26
	s_and_b64 s[4:5], vcc, s[4:5]
	s_and_saveexec_b64 s[20:21], s[4:5]
	s_xor_b64 s[20:21], exec, s[20:21]
	s_cbranch_execz .LBB329_17
; %bb.14:                               ;   in Loop: Header=BB329_5 Depth=1
	v_mul_f64 v[25:26], v[0:1], v[18:19]
	v_mul_f64 v[38:39], v[18:19], -v[2:3]
	v_fma_f64 v[33:34], v[6:7], v[8:9], v[33:34]
	v_fma_f64 v[31:32], v[4:5], v[8:9], v[31:32]
	v_add_u32_e32 v71, v65, v66
	v_mov_b32_e32 v36, s9
	v_mov_b32_e32 v63, s9
	;; [unrolled: 1-line block ×3, first 2 shown]
	v_fma_f64 v[25:26], v[2:3], v[16:17], v[25:26]
	v_fma_f64 v[38:39], v[0:1], v[16:17], v[38:39]
	v_mov_b32_e32 v75, s9
	v_mov_b32_e32 v76, s9
	v_add_f64 v[26:27], v[25:26], -v[33:34]
	v_add_f64 v[33:34], v[38:39], -v[31:32]
	v_mov_b32_e32 v25, s9
	v_mul_f64 v[31:32], v[26:27], v[26:27]
	v_fma_f64 v[59:60], v[33:34], 0, -v[26:27]
	v_fma_f64 v[26:27], v[26:27], 0, v[33:34]
	v_fma_f64 v[38:39], v[33:34], v[33:34], v[31:32]
	v_lshlrev_b64 v[31:32], 4, v[29:30]
	v_add_u32_e32 v29, s28, v71
	v_add_co_u32_e32 v57, vcc, s8, v31
	v_lshlrev_b64 v[45:46], 4, v[29:30]
	v_addc_co_u32_e32 v58, vcc, v25, v32, vcc
	v_div_scale_f64 v[49:50], s[4:5], v[38:39], v[38:39], 1.0
	v_add_co_u32_e32 v31, vcc, s8, v45
	v_addc_co_u32_e32 v32, vcc, v36, v46, vcc
	global_load_dwordx4 v[41:44], v[57:58], off
	global_load_dwordx4 v[45:48], v[31:32], off
	v_mov_b32_e32 v25, v30
	v_lshlrev_b64 v[24:25], 4, v[24:25]
	v_mov_b32_e32 v29, s9
	v_add_co_u32_e64 v81, s[4:5], s8, v24
	v_addc_co_u32_e64 v82, s[4:5], v29, v25, s[4:5]
	v_add_u32_e32 v29, s29, v71
	v_rcp_f64_e32 v[51:52], v[49:50]
	v_fma_f64 v[53:54], -v[49:50], v[51:52], 1.0
	v_fma_f64 v[51:52], v[51:52], v[53:54], v[51:52]
	v_div_scale_f64 v[53:54], vcc, 1.0, v[38:39], 1.0
	v_fma_f64 v[55:56], -v[49:50], v[51:52], 1.0
	v_fma_f64 v[51:52], v[51:52], v[55:56], v[51:52]
	v_mul_f64 v[55:56], v[53:54], v[51:52]
	v_fma_f64 v[49:50], -v[49:50], v[55:56], v[53:54]
	v_lshlrev_b64 v[53:54], 4, v[29:30]
	v_add_u32_e32 v29, s30, v71
	v_div_fmas_f64 v[24:25], v[49:50], v[51:52], v[55:56]
	global_load_dwordx4 v[49:52], v[81:82], off
	v_add_co_u32_e32 v83, vcc, s8, v53
	v_addc_co_u32_e32 v84, vcc, v36, v54, vcc
	global_load_dwordx4 v[53:56], v[83:84], off
	v_mov_b32_e32 v36, v30
	v_div_fixup_f64 v[39:40], v[24:25], v[38:39], 1.0
	v_mov_b32_e32 v38, v30
	v_mul_f64 v[24:25], v[59:60], v[39:40]
	v_mul_f64 v[26:27], v[26:27], v[39:40]
	s_waitcnt vmcnt(3)
	v_mul_f64 v[33:34], v[24:25], v[41:42]
	s_waitcnt vmcnt(2)
	v_mul_f64 v[39:40], v[24:25], v[45:46]
	v_mul_f64 v[59:60], v[24:25], -v[43:44]
	v_mul_f64 v[61:62], v[24:25], -v[47:48]
	v_fma_f64 v[33:34], v[43:44], v[26:27], v[33:34]
	v_fma_f64 v[39:40], v[47:48], v[26:27], v[39:40]
	v_lshlrev_b64 v[43:44], 4, v[37:38]
	v_lshlrev_b64 v[47:48], 4, v[35:36]
	v_fma_f64 v[37:38], v[41:42], v[26:27], v[59:60]
	v_fma_f64 v[35:36], v[45:46], v[26:27], v[61:62]
	v_add_co_u32_e32 v85, vcc, s8, v43
	v_mul_f64 v[45:46], v[16:17], v[33:34]
	v_mul_f64 v[59:60], v[39:40], -v[10:11]
	v_mul_f64 v[61:62], v[8:9], v[39:40]
	v_mul_f64 v[41:42], v[33:34], -v[18:19]
	v_add_co_u32_e64 v87, s[4:5], s8, v47
	v_addc_co_u32_e32 v86, vcc, v63, v44, vcc
	v_fma_f64 v[69:70], v[18:19], v[37:38], v[45:46]
	v_fma_f64 v[45:46], v[8:9], v[35:36], v[59:60]
	v_fma_f64 v[59:60], v[10:11], v[35:36], v[61:62]
	v_addc_co_u32_e64 v88, vcc, v72, v48, s[4:5]
	v_fma_f64 v[63:64], v[16:17], v[37:38], v[41:42]
	v_lshlrev_b64 v[61:62], 4, v[29:30]
	v_add_u32_e32 v29, s31, v71
	global_load_dwordx4 v[41:44], v[85:86], off
	v_lshlrev_b64 v[73:74], 4, v[29:30]
	v_add_f64 v[47:48], v[69:70], -v[59:60]
	global_load_dwordx4 v[69:72], v[87:88], off
	v_add_co_u32_e32 v89, vcc, s8, v61
	v_addc_co_u32_e32 v90, vcc, v75, v62, vcc
	v_add_f64 v[45:46], v[63:64], -v[45:46]
	v_add_co_u32_e32 v91, vcc, s8, v73
	v_addc_co_u32_e32 v92, vcc, v76, v74, vcc
	global_load_dwordx4 v[73:76], v[89:90], off
	global_load_dwordx4 v[77:80], v[91:92], off
	s_nop 0
	global_store_dwordx4 v[57:58], v[45:48], off
	s_waitcnt vmcnt(6)
	v_mul_f64 v[45:46], v[24:25], -v[51:52]
	v_fma_f64 v[57:58], v[49:50], v[26:27], v[45:46]
	v_mul_f64 v[45:46], v[24:25], v[49:50]
	v_fma_f64 v[61:62], v[51:52], v[26:27], v[45:46]
	s_waitcnt vmcnt(5)
	v_mul_f64 v[45:46], v[24:25], -v[55:56]
	v_mul_f64 v[47:48], v[16:17], v[61:62]
	v_fma_f64 v[59:60], v[53:54], v[26:27], v[45:46]
	v_mul_f64 v[45:46], v[24:25], v[53:54]
	v_fma_f64 v[47:48], v[18:19], v[57:58], v[47:48]
	v_fma_f64 v[63:64], v[55:56], v[26:27], v[45:46]
	v_mul_f64 v[45:46], v[61:62], -v[18:19]
	v_mul_f64 v[49:50], v[63:64], -v[10:11]
	v_mul_f64 v[51:52], v[8:9], v[63:64]
	v_fma_f64 v[45:46], v[16:17], v[57:58], v[45:46]
	v_fma_f64 v[49:50], v[8:9], v[59:60], v[49:50]
	;; [unrolled: 1-line block ×3, first 2 shown]
	v_add_f64 v[45:46], v[45:46], -v[49:50]
	v_add_f64 v[47:48], v[47:48], -v[51:52]
	s_waitcnt vmcnt(3)
	v_mul_f64 v[51:52], v[24:25], v[69:70]
	v_mul_f64 v[49:50], v[24:25], -v[71:72]
	global_store_dwordx4 v[81:82], v[45:48], off
	v_fma_f64 v[51:52], v[71:72], v[26:27], v[51:52]
	v_mul_f64 v[45:46], v[24:25], -v[43:44]
	v_mul_f64 v[47:48], v[24:25], v[41:42]
	v_fma_f64 v[49:50], v[69:70], v[26:27], v[49:50]
	s_waitcnt vmcnt(2)
	v_mul_f64 v[55:56], v[24:25], v[77:78]
	v_mul_f64 v[53:54], v[24:25], -v[79:80]
	v_fma_f64 v[41:42], v[41:42], v[26:27], v[45:46]
	v_fma_f64 v[45:46], v[43:44], v[26:27], v[47:48]
	v_mul_f64 v[43:44], v[24:25], -v[75:76]
	v_mul_f64 v[47:48], v[24:25], v[73:74]
	v_fma_f64 v[55:56], v[79:80], v[26:27], v[55:56]
	v_fma_f64 v[53:54], v[77:78], v[26:27], v[53:54]
	v_mul_f64 v[69:70], v[45:46], -v[18:19]
	v_fma_f64 v[43:44], v[73:74], v[26:27], v[43:44]
	v_mul_f64 v[73:74], v[51:52], -v[18:19]
	v_fma_f64 v[47:48], v[75:76], v[26:27], v[47:48]
	v_mul_f64 v[71:72], v[16:17], v[45:46]
	v_mul_f64 v[77:78], v[55:56], -v[10:11]
	v_fma_f64 v[69:70], v[16:17], v[41:42], v[69:70]
	v_fma_f64 v[73:74], v[16:17], v[49:50], v[73:74]
	v_mul_f64 v[16:17], v[16:17], v[51:52]
	v_fma_f64 v[71:72], v[18:19], v[41:42], v[71:72]
	v_mul_f64 v[75:76], v[8:9], v[47:48]
	v_fma_f64 v[77:78], v[8:9], v[53:54], v[77:78]
	v_fma_f64 v[18:19], v[18:19], v[49:50], v[16:17]
	v_mul_f64 v[16:17], v[47:48], -v[10:11]
	v_fma_f64 v[75:76], v[10:11], v[43:44], v[75:76]
	v_fma_f64 v[16:17], v[8:9], v[43:44], v[16:17]
	v_mul_f64 v[8:9], v[8:9], v[55:56]
	v_fma_f64 v[79:80], v[10:11], v[53:54], v[8:9]
	v_add_f64 v[8:9], v[69:70], -v[16:17]
	v_add_f64 v[10:11], v[71:72], -v[75:76]
	;; [unrolled: 1-line block ×3, first 2 shown]
	v_mul_f64 v[69:70], v[6:7], v[33:34]
	v_mul_f64 v[71:72], v[33:34], -v[4:5]
	v_mul_f64 v[73:74], v[6:7], v[61:62]
	v_mul_f64 v[75:76], v[0:1], v[63:64]
	v_add_f64 v[18:19], v[18:19], -v[79:80]
	v_mul_f64 v[79:80], v[0:1], v[55:56]
	global_store_dwordx4 v[85:86], v[8:11], off
	v_fma_f64 v[69:70], -v[4:5], v[37:38], v[69:70]
	v_mul_f64 v[8:9], v[39:40], -v[2:3]
	v_mul_f64 v[10:11], v[0:1], v[39:40]
	v_fma_f64 v[71:72], -v[6:7], v[37:38], v[71:72]
	global_store_dwordx4 v[87:88], v[16:19], off
	v_fma_f64 v[73:74], -v[4:5], v[57:58], v[73:74]
	v_mul_f64 v[16:17], v[61:62], -v[4:5]
	v_mul_f64 v[18:19], v[63:64], -v[2:3]
	v_fma_f64 v[79:80], v[2:3], v[53:54], v[79:80]
	v_fma_f64 v[8:9], v[0:1], v[35:36], v[8:9]
	;; [unrolled: 1-line block ×3, first 2 shown]
	v_fma_f64 v[77:78], -v[6:7], v[57:58], v[16:17]
	v_fma_f64 v[16:17], v[0:1], v[59:60], v[18:19]
	v_fma_f64 v[18:19], v[2:3], v[59:60], v[75:76]
	v_add_f64 v[8:9], v[69:70], v[8:9]
	v_add_f64 v[10:11], v[71:72], v[10:11]
	v_mul_f64 v[69:70], v[6:7], v[45:46]
	v_mul_f64 v[71:72], v[45:46], -v[4:5]
	v_mul_f64 v[75:76], v[0:1], v[47:48]
	v_add_f64 v[16:17], v[73:74], v[16:17]
	v_mul_f64 v[73:74], v[47:48], -v[2:3]
	v_add_f64 v[18:19], v[77:78], v[18:19]
	v_mul_f64 v[77:78], v[55:56], -v[2:3]
	v_fma_f64 v[69:70], -v[4:5], v[41:42], v[69:70]
	v_fma_f64 v[71:72], -v[6:7], v[41:42], v[71:72]
	v_fma_f64 v[75:76], v[2:3], v[43:44], v[75:76]
	v_fma_f64 v[73:74], v[0:1], v[43:44], v[73:74]
	;; [unrolled: 1-line block ×3, first 2 shown]
	v_add_f64 v[71:72], v[71:72], v[75:76]
	v_mul_f64 v[75:76], v[51:52], -v[4:5]
	v_add_f64 v[69:70], v[69:70], v[73:74]
	v_mul_f64 v[73:74], v[6:7], v[51:52]
	global_store_dwordx4 v[31:32], v[8:11], off
	global_store_dwordx4 v[83:84], v[16:19], off
	;; [unrolled: 1-line block ×3, first 2 shown]
	v_fma_f64 v[75:76], -v[6:7], v[49:50], v[75:76]
	v_mov_b32_e32 v8, 0
	v_fma_f64 v[73:74], -v[4:5], v[49:50], v[73:74]
	v_mov_b32_e32 v10, 0
	v_mov_b32_e32 v9, 0
	;; [unrolled: 1-line block ×3, first 2 shown]
	v_add_f64 v[75:76], v[75:76], v[79:80]
	v_add_f64 v[73:74], v[73:74], v[77:78]
	global_store_dwordx4 v[91:92], v[73:76], off
	s_and_saveexec_b64 s[4:5], s[2:3]
	s_cbranch_execz .LBB329_16
; %bb.15:                               ;   in Loop: Header=BB329_5 Depth=1
	v_add_u32_e32 v31, v67, v66
	v_add_u32_e32 v29, s28, v31
	v_lshlrev_b64 v[8:9], 4, v[29:30]
	v_add_u32_e32 v29, s29, v31
	v_mov_b32_e32 v10, s9
	v_add_co_u32_e32 v69, vcc, s8, v8
	v_lshlrev_b64 v[16:17], 4, v[29:30]
	v_addc_co_u32_e32 v70, vcc, v10, v9, vcc
	v_mov_b32_e32 v18, s9
	v_add_co_u32_e32 v71, vcc, s8, v16
	global_load_dwordx4 v[8:11], v[69:70], off
	v_addc_co_u32_e32 v72, vcc, v18, v17, vcc
	global_load_dwordx4 v[16:19], v[71:72], off
	v_mul_f64 v[73:74], v[22:23], -v[4:5]
	v_mul_f64 v[75:76], v[6:7], v[22:23]
	v_mul_f64 v[77:78], v[0:1], v[22:23]
	v_mul_f64 v[79:80], v[22:23], -v[2:3]
	v_add_u32_e32 v29, s30, v31
	v_mov_b32_e32 v85, s9
	v_fma_f64 v[73:74], -v[6:7], v[20:21], v[73:74]
	v_fma_f64 v[75:76], -v[4:5], v[20:21], v[75:76]
	v_fma_f64 v[77:78], v[2:3], v[20:21], v[77:78]
	v_fma_f64 v[79:80], v[0:1], v[20:21], v[79:80]
	v_mul_f64 v[4:5], v[73:74], v[33:34]
	v_mul_f64 v[6:7], v[33:34], -v[75:76]
	v_mul_f64 v[32:33], v[39:40], -v[77:78]
	v_mul_f64 v[39:40], v[79:80], v[39:40]
	v_mul_f64 v[81:82], v[73:74], v[61:62]
	v_mul_f64 v[61:62], v[61:62], -v[75:76]
	v_mul_f64 v[83:84], v[63:64], -v[77:78]
	v_mul_f64 v[63:64], v[79:80], v[63:64]
	v_fma_f64 v[4:5], -v[75:76], v[37:38], v[4:5]
	v_fma_f64 v[6:7], -v[73:74], v[37:38], v[6:7]
	v_fma_f64 v[33:34], v[79:80], v[35:36], v[32:33]
	v_fma_f64 v[35:36], v[77:78], v[35:36], v[39:40]
	v_fma_f64 v[37:38], -v[75:76], v[57:58], v[81:82]
	v_fma_f64 v[39:40], -v[73:74], v[57:58], v[61:62]
	v_fma_f64 v[57:58], v[79:80], v[59:60], v[83:84]
	v_fma_f64 v[59:60], v[77:78], v[59:60], v[63:64]
	v_ashrrev_i32_e32 v32, 31, v31
	v_lshlrev_b64 v[61:62], 4, v[31:32]
	v_add_f64 v[4:5], v[4:5], -v[33:34]
	v_add_f64 v[6:7], v[6:7], -v[35:36]
	v_mov_b32_e32 v63, s9
	v_mov_b32_e32 v64, s15
	v_add_f64 v[32:33], v[37:38], -v[57:58]
	v_add_f64 v[34:35], v[39:40], -v[59:60]
	v_lshlrev_b64 v[36:37], 4, v[29:30]
	v_add_u32_e32 v29, s31, v31
	v_lshlrev_b64 v[38:39], 4, v[29:30]
	v_add_co_u32_e32 v31, vcc, s8, v36
	s_waitcnt vmcnt(1)
	v_add_f64 v[4:5], v[4:5], v[8:9]
	v_add_f64 v[6:7], v[6:7], v[10:11]
	s_waitcnt vmcnt(0)
	v_add_f64 v[8:9], v[32:33], v[16:17]
	v_add_f64 v[10:11], v[34:35], v[18:19]
	v_addc_co_u32_e32 v32, vcc, v85, v37, vcc
	v_add_co_u32_e32 v33, vcc, s8, v38
	v_addc_co_u32_e32 v34, vcc, v63, v39, vcc
	v_add_co_u32_e32 v16, vcc, s14, v61
	global_store_dwordx4 v[69:70], v[4:7], off
	global_store_dwordx4 v[71:72], v[8:11], off
	v_addc_co_u32_e32 v17, vcc, v64, v62, vcc
	global_load_dwordx4 v[4:7], v[31:32], off
	global_load_dwordx4 v[8:11], v[33:34], off
	v_mul_f64 v[35:36], v[2:3], -v[22:23]
	global_load_dwordx4 v[16:19], v[16:17], off
	v_mul_f64 v[2:3], v[2:3], v[20:21]
	v_mul_f64 v[37:38], v[79:80], v[47:48]
	v_fma_f64 v[20:21], v[20:21], v[0:1], v[35:36]
	v_mul_f64 v[35:36], v[47:48], -v[77:78]
	v_fma_f64 v[0:1], v[22:23], v[0:1], v[2:3]
	v_mul_f64 v[2:3], v[73:74], v[45:46]
	v_mul_f64 v[22:23], v[45:46], -v[75:76]
	v_mul_f64 v[45:46], v[73:74], v[51:52]
	v_mul_f64 v[47:48], v[51:52], -v[75:76]
	v_mul_f64 v[51:52], v[55:56], -v[77:78]
	v_mul_f64 v[39:40], v[14:15], v[20:21]
	v_mul_f64 v[55:56], v[79:80], v[55:56]
	v_mul_f64 v[14:15], v[14:15], -v[0:1]
	v_fma_f64 v[2:3], -v[75:76], v[41:42], v[2:3]
	v_fma_f64 v[22:23], -v[73:74], v[41:42], v[22:23]
	v_fma_f64 v[0:1], v[0:1], v[12:13], v[39:40]
	v_fma_f64 v[39:40], v[79:80], v[53:54], v[51:52]
	;; [unrolled: 1-line block ×5, first 2 shown]
	v_fma_f64 v[35:36], -v[75:76], v[49:50], v[45:46]
	v_fma_f64 v[37:38], -v[73:74], v[49:50], v[47:48]
	v_fma_f64 v[41:42], v[77:78], v[53:54], v[55:56]
	v_mul_f64 v[43:44], v[24:25], -v[0:1]
	v_mul_f64 v[24:25], v[24:25], v[12:13]
	v_add_f64 v[2:3], v[2:3], -v[14:15]
	v_add_f64 v[14:15], v[22:23], -v[20:21]
	;; [unrolled: 1-line block ×4, first 2 shown]
	v_fma_f64 v[12:13], v[12:13], v[26:27], v[43:44]
	v_fma_f64 v[24:25], v[0:1], v[26:27], v[24:25]
	s_waitcnt vmcnt(2)
	v_add_f64 v[0:1], v[2:3], v[4:5]
	v_add_f64 v[2:3], v[14:15], v[6:7]
	s_waitcnt vmcnt(1)
	v_add_f64 v[4:5], v[20:21], v[8:9]
	v_add_f64 v[6:7], v[22:23], v[10:11]
	s_waitcnt vmcnt(0)
	v_add_f64 v[10:11], v[16:17], -v[12:13]
	v_add_f64 v[8:9], v[18:19], -v[24:25]
	global_store_dwordx4 v[31:32], v[0:3], off
	global_store_dwordx4 v[33:34], v[4:7], off
.LBB329_16:                             ;   in Loop: Header=BB329_5 Depth=1
	s_or_b64 exec, exec, s[4:5]
	v_mov_b32_e32 v2, v8
	v_mov_b32_e32 v0, v10
	;; [unrolled: 1-line block ×4, first 2 shown]
                                        ; implicit-def: $vgpr4_vgpr5
                                        ; implicit-def: $vgpr16_vgpr17
                                        ; implicit-def: $vgpr8_vgpr9
                                        ; implicit-def: $vgpr31_vgpr32
                                        ; implicit-def: $vgpr33_vgpr34
                                        ; implicit-def: $vgpr24
                                        ; implicit-def: $vgpr37
                                        ; implicit-def: $vgpr35
.LBB329_17:                             ;   in Loop: Header=BB329_5 Depth=1
	s_or_saveexec_b64 s[2:3], s[20:21]
	v_mov_b32_e32 v10, s27
	s_xor_b64 exec, exec, s[2:3]
	s_cbranch_execz .LBB329_4
; %bb.18:                               ;   in Loop: Header=BB329_5 Depth=1
	v_mul_f64 v[10:11], v[2:3], v[2:3]
	v_mov_b32_e32 v25, v30
	v_lshlrev_b64 v[12:13], 4, v[24:25]
	v_mov_b32_e32 v22, s9
	v_mov_b32_e32 v38, v30
	;; [unrolled: 1-line block ×3, first 2 shown]
	v_lshlrev_b64 v[20:21], 4, v[37:38]
	v_mov_b32_e32 v36, v30
	v_fma_f64 v[14:15], v[0:1], v[0:1], v[10:11]
	v_lshlrev_b64 v[10:11], 4, v[29:30]
	v_mov_b32_e32 v29, s9
	v_add_co_u32_e32 v45, vcc, s8, v10
	v_addc_co_u32_e32 v46, vcc, v22, v11, vcc
	v_add_co_u32_e32 v47, vcc, s8, v12
	v_div_scale_f64 v[26:27], s[4:5], v[14:15], v[14:15], 1.0
	v_addc_co_u32_e32 v48, vcc, v23, v13, vcc
	v_lshlrev_b64 v[35:36], 4, v[35:36]
	v_add_co_u32_e32 v49, vcc, s8, v20
	v_addc_co_u32_e32 v50, vcc, v29, v21, vcc
	v_mov_b32_e32 v41, s9
	v_add_co_u32_e32 v53, vcc, s8, v35
	v_addc_co_u32_e32 v54, vcc, v41, v36, vcc
	global_load_dwordx4 v[10:13], v[45:46], off
	global_load_dwordx4 v[20:23], v[47:48], off
	;; [unrolled: 1-line block ×4, first 2 shown]
	v_rcp_f64_e32 v[24:25], v[26:27]
	v_div_scale_f64 v[35:36], vcc, 1.0, v[14:15], 1.0
	v_fma_f64 v[51:52], -v[26:27], v[24:25], 1.0
	v_fma_f64 v[24:25], v[24:25], v[51:52], v[24:25]
	v_fma_f64 v[51:52], -v[26:27], v[24:25], 1.0
	v_fma_f64 v[24:25], v[24:25], v[51:52], v[24:25]
	v_mul_f64 v[51:52], v[35:36], v[24:25]
	v_fma_f64 v[26:27], -v[26:27], v[51:52], v[35:36]
	v_div_fmas_f64 v[24:25], v[26:27], v[24:25], v[51:52]
	v_fma_f64 v[26:27], v[0:1], 0, -v[2:3]
	v_fma_f64 v[0:1], v[2:3], 0, v[0:1]
	v_div_fixup_f64 v[14:15], v[24:25], v[14:15], 1.0
	v_mul_f64 v[35:36], v[26:27], v[14:15]
	v_mul_f64 v[14:15], v[0:1], v[14:15]
	s_waitcnt vmcnt(3)
	v_mul_f64 v[0:1], v[35:36], -v[12:13]
	v_mul_f64 v[2:3], v[35:36], v[10:11]
	s_waitcnt vmcnt(2)
	v_mul_f64 v[51:52], v[35:36], -v[22:23]
	;; [unrolled: 3-line block ×4, first 2 shown]
	v_mul_f64 v[63:64], v[35:36], v[41:42]
	v_fma_f64 v[24:25], v[10:11], v[14:15], v[0:1]
	v_fma_f64 v[26:27], v[12:13], v[14:15], v[2:3]
	;; [unrolled: 1-line block ×8, first 2 shown]
	global_store_dwordx4 v[45:46], v[24:27], off
	global_store_dwordx4 v[47:48], v[20:23], off
	global_store_dwordx4 v[49:50], v[10:13], off
	global_store_dwordx4 v[53:54], v[0:3], off
	s_and_saveexec_b64 s[4:5], s[0:1]
	s_cbranch_execz .LBB329_3
; %bb.19:                               ;   in Loop: Header=BB329_5 Depth=1
	v_add_u32_e32 v51, v65, v66
	v_add_u32_e32 v29, s28, v51
	v_lshlrev_b64 v[37:38], 4, v[29:30]
	v_mov_b32_e32 v29, s9
	v_add_co_u32_e32 v45, vcc, s8, v37
	v_addc_co_u32_e32 v46, vcc, v29, v38, vcc
	v_add_u32_e32 v29, s29, v51
	v_lshlrev_b64 v[41:42], 4, v[29:30]
	v_mov_b32_e32 v29, s9
	v_add_co_u32_e32 v47, vcc, s8, v41
	global_load_dwordx4 v[37:40], v[45:46], off
	v_addc_co_u32_e32 v48, vcc, v29, v42, vcc
	global_load_dwordx4 v[41:44], v[47:48], off
	v_add_u32_e32 v29, s30, v51
	v_lshlrev_b64 v[49:50], 4, v[29:30]
	v_add_u32_e32 v29, s31, v51
	v_mov_b32_e32 v53, s9
	v_lshlrev_b64 v[51:52], 4, v[29:30]
	v_mov_b32_e32 v54, s9
	s_waitcnt vmcnt(1)
	v_fma_f64 v[37:38], -v[4:5], v[24:25], v[37:38]
	v_fma_f64 v[39:40], -v[6:7], v[24:25], v[39:40]
	s_waitcnt vmcnt(0)
	v_fma_f64 v[41:42], -v[4:5], v[20:21], v[41:42]
	v_fma_f64 v[43:44], -v[6:7], v[20:21], v[43:44]
	v_fma_f64 v[24:25], v[6:7], v[26:27], v[37:38]
	v_fma_f64 v[26:27], -v[4:5], v[26:27], v[39:40]
	v_add_co_u32_e32 v37, vcc, s8, v49
	v_fma_f64 v[20:21], v[6:7], v[22:23], v[41:42]
	v_fma_f64 v[22:23], -v[4:5], v[22:23], v[43:44]
	v_addc_co_u32_e32 v38, vcc, v53, v50, vcc
	v_add_co_u32_e32 v39, vcc, s8, v51
	global_store_dwordx4 v[45:46], v[24:27], off
	v_addc_co_u32_e32 v40, vcc, v54, v52, vcc
	global_load_dwordx4 v[24:27], v[37:38], off
	s_nop 0
	global_store_dwordx4 v[47:48], v[20:23], off
	global_load_dwordx4 v[20:23], v[39:40], off
	s_waitcnt vmcnt(2)
	v_fma_f64 v[24:25], -v[4:5], v[10:11], v[24:25]
	v_fma_f64 v[26:27], -v[6:7], v[10:11], v[26:27]
	s_waitcnt vmcnt(0)
	v_fma_f64 v[20:21], -v[4:5], v[0:1], v[20:21]
	v_fma_f64 v[22:23], -v[6:7], v[0:1], v[22:23]
	v_fma_f64 v[10:11], v[6:7], v[12:13], v[24:25]
	v_fma_f64 v[12:13], -v[4:5], v[12:13], v[26:27]
	v_fma_f64 v[0:1], v[6:7], v[2:3], v[20:21]
	v_fma_f64 v[2:3], -v[4:5], v[2:3], v[22:23]
	global_store_dwordx4 v[37:38], v[10:13], off
	global_store_dwordx4 v[39:40], v[0:3], off
	s_branch .LBB329_3
.LBB329_20:
	s_or_b64 exec, exec, s[18:19]
	s_branch .LBB329_22
.LBB329_21:
	v_mov_b32_e32 v66, 0
.LBB329_22:
	v_subrev_u32_e32 v2, s22, v66
	v_add_u32_e32 v0, v2, v28
	v_ashrrev_i32_e32 v1, 31, v0
	v_lshlrev_b64 v[0:1], 2, v[0:1]
	s_waitcnt lgkmcnt(0)
	v_mov_b32_e32 v3, s17
	v_add_co_u32_e32 v0, vcc, s16, v0
	v_addc_co_u32_e32 v1, vcc, v3, v1, vcc
	s_waitcnt vmcnt(0)
	buffer_wbinvl1_vol
	global_load_dword v0, v[0:1], off
	s_waitcnt vmcnt(0)
	v_mul_lo_u32 v0, v0, s22
	v_sub_u32_e32 v8, v2, v0
	v_cmp_lt_i32_e32 vcc, -1, v8
	s_and_b64 exec, exec, vcc
	s_cbranch_execz .LBB329_29
; %bb.23:
	s_lshl_b32 s4, s24, 2
	s_add_i32 s5, s4, s23
	s_add_i32 s6, s5, s23
	;; [unrolled: 1-line block ×3, first 2 shown]
	s_lshl_b32 s12, s22, 1
	s_mov_b64 s[0:1], 0
	v_mov_b32_e32 v9, s17
	v_mov_b32_e32 v10, s11
	;; [unrolled: 1-line block ×3, first 2 shown]
	s_branch .LBB329_25
.LBB329_24:                             ;   in Loop: Header=BB329_25 Depth=1
	s_or_b64 exec, exec, s[2:3]
	v_sub_u32_e32 v8, v8, v4
	v_cmp_gt_i32_e32 vcc, 0, v8
	s_or_b64 s[0:1], vcc, s[0:1]
	s_andn2_b64 exec, exec, s[0:1]
	s_cbranch_execz .LBB329_29
.LBB329_25:                             ; =>This Inner Loop Header: Depth=1
	v_add_u32_e32 v6, v8, v28
	v_ashrrev_i32_e32 v7, 31, v6
	s_waitcnt vmcnt(0)
	v_lshlrev_b64 v[0:1], 2, v[6:7]
	v_add_co_u32_e32 v0, vcc, s16, v0
	v_addc_co_u32_e32 v1, vcc, v9, v1, vcc
	global_load_dword v4, v[0:1], off
	v_lshlrev_b64 v[0:1], 4, v[6:7]
	v_add_co_u32_e32 v0, vcc, s10, v0
	v_addc_co_u32_e32 v1, vcc, v10, v1, vcc
	global_load_dwordx4 v[0:3], v[0:1], off
	s_waitcnt vmcnt(1)
	v_cmp_ne_u32_e32 vcc, 1, v4
	s_and_saveexec_b64 s[2:3], vcc
	s_xor_b64 s[2:3], exec, s[2:3]
	s_cbranch_execz .LBB329_27
; %bb.26:                               ;   in Loop: Header=BB329_25 Depth=1
	v_add_u32_e32 v7, v65, v8
	v_add_u32_e32 v4, s4, v7
	v_lshlrev_b64 v[11:12], 4, v[4:5]
	v_mov_b32_e32 v4, s9
	v_add_co_u32_e32 v11, vcc, s8, v11
	v_addc_co_u32_e32 v12, vcc, v4, v12, vcc
	v_add_u32_e32 v4, s5, v7
	v_lshlrev_b64 v[19:20], 4, v[4:5]
	v_add_u32_e32 v4, s6, v7
	v_lshlrev_b64 v[23:24], 4, v[4:5]
	;; [unrolled: 2-line block ×4, first 2 shown]
	v_mov_b32_e32 v4, s9
	v_add_co_u32_e32 v33, vcc, s8, v15
	v_addc_co_u32_e32 v34, vcc, v4, v16, vcc
	global_load_dwordx4 v[11:14], v[11:12], off
	v_add_co_u32_e32 v19, vcc, s8, v19
	global_load_dwordx4 v[15:18], v[33:34], off
	v_addc_co_u32_e32 v20, vcc, v4, v20, vcc
	global_load_dwordx4 v[19:22], v[19:20], off
	v_mov_b32_e32 v7, s9
	v_add_co_u32_e32 v35, vcc, s8, v23
	v_addc_co_u32_e32 v36, vcc, v7, v24, vcc
	v_add_u32_e32 v4, s5, v6
	v_mov_b32_e32 v27, s9
	v_add_co_u32_e32 v37, vcc, s8, v25
	v_lshlrev_b64 v[39:40], 4, v[4:5]
	v_addc_co_u32_e32 v38, vcc, v27, v26, vcc
	v_mov_b32_e32 v41, s9
	global_load_dwordx4 v[23:26], v[35:36], off
	global_load_dwordx4 v[29:32], v[37:38], off
	v_add_co_u32_e32 v35, vcc, s8, v39
	v_addc_co_u32_e32 v36, vcc, v41, v40, vcc
	v_add_u32_e32 v4, s6, v6
	s_waitcnt vmcnt(3)
	v_fma_f64 v[15:16], -v[0:1], v[11:12], v[15:16]
	v_fma_f64 v[17:18], -v[2:3], v[11:12], v[17:18]
	v_fma_f64 v[15:16], v[2:3], v[13:14], v[15:16]
	v_fma_f64 v[17:18], -v[0:1], v[13:14], v[17:18]
	global_store_dwordx4 v[33:34], v[15:18], off
	global_load_dwordx4 v[15:18], v[35:36], off
	v_lshlrev_b64 v[33:34], 4, v[4:5]
	v_add_u32_e32 v4, s7, v6
	v_add_co_u32_e32 v33, vcc, s8, v33
	v_addc_co_u32_e32 v34, vcc, v7, v34, vcc
	v_lshlrev_b64 v[6:7], 4, v[4:5]
	v_subrev_u32_e32 v4, s22, v8
	v_add_co_u32_e32 v6, vcc, s8, v6
	v_addc_co_u32_e32 v7, vcc, v27, v7, vcc
	v_mov_b32_e32 v27, s11
	s_waitcnt vmcnt(0)
	v_fma_f64 v[15:16], -v[0:1], v[19:20], v[15:16]
	v_fma_f64 v[17:18], -v[2:3], v[19:20], v[17:18]
	v_fma_f64 v[15:16], v[2:3], v[21:22], v[15:16]
	v_fma_f64 v[17:18], -v[0:1], v[21:22], v[17:18]
	global_store_dwordx4 v[35:36], v[15:18], off
	global_load_dwordx4 v[15:18], v[33:34], off
	v_mov_b32_e32 v36, s9
	s_waitcnt vmcnt(0)
	v_fma_f64 v[15:16], -v[0:1], v[23:24], v[15:16]
	v_fma_f64 v[17:18], -v[2:3], v[23:24], v[17:18]
	v_fma_f64 v[15:16], v[2:3], v[25:26], v[15:16]
	v_fma_f64 v[17:18], -v[0:1], v[25:26], v[17:18]
	global_store_dwordx4 v[33:34], v[15:18], off
	global_load_dwordx4 v[15:18], v[6:7], off
	v_add_u32_e32 v33, v4, v28
	v_ashrrev_i32_e32 v34, 31, v33
	v_lshlrev_b64 v[34:35], 4, v[33:34]
	v_add_u32_e32 v4, s4, v33
	v_add_co_u32_e32 v34, vcc, s10, v34
	v_addc_co_u32_e32 v35, vcc, v27, v35, vcc
	s_waitcnt vmcnt(0)
	v_fma_f64 v[15:16], -v[0:1], v[29:30], v[15:16]
	v_fma_f64 v[17:18], -v[2:3], v[29:30], v[17:18]
	v_fma_f64 v[15:16], v[2:3], v[31:32], v[15:16]
	v_fma_f64 v[17:18], -v[0:1], v[31:32], v[17:18]
	global_load_dwordx4 v[0:3], v[34:35], off
	v_lshlrev_b64 v[34:35], 4, v[4:5]
	v_add_u32_e32 v4, s5, v33
	v_add_co_u32_e32 v34, vcc, s8, v34
	v_addc_co_u32_e32 v35, vcc, v36, v35, vcc
	global_store_dwordx4 v[6:7], v[15:18], off
	global_load_dwordx4 v[15:18], v[34:35], off
	s_waitcnt vmcnt(0)
	v_fma_f64 v[6:7], -v[0:1], v[11:12], v[15:16]
	v_fma_f64 v[15:16], -v[2:3], v[11:12], v[17:18]
	v_mov_b32_e32 v17, s9
	v_fma_f64 v[11:12], v[2:3], v[13:14], v[6:7]
	v_fma_f64 v[13:14], -v[0:1], v[13:14], v[15:16]
	v_lshlrev_b64 v[6:7], 4, v[4:5]
	v_mov_b32_e32 v15, s9
	v_add_co_u32_e32 v6, vcc, s8, v6
	v_addc_co_u32_e32 v7, vcc, v15, v7, vcc
	v_add_u32_e32 v4, s6, v33
	global_store_dwordx4 v[34:35], v[11:14], off
	global_load_dwordx4 v[11:14], v[6:7], off
	v_lshlrev_b64 v[15:16], 4, v[4:5]
	v_add_u32_e32 v4, s7, v33
	v_add_co_u32_e32 v15, vcc, s8, v15
	v_addc_co_u32_e32 v16, vcc, v17, v16, vcc
	s_waitcnt vmcnt(0)
	v_fma_f64 v[11:12], -v[0:1], v[19:20], v[11:12]
	v_fma_f64 v[13:14], -v[2:3], v[19:20], v[13:14]
	v_fma_f64 v[11:12], v[2:3], v[21:22], v[11:12]
	v_fma_f64 v[13:14], -v[0:1], v[21:22], v[13:14]
	global_store_dwordx4 v[6:7], v[11:14], off
	global_load_dwordx4 v[11:14], v[15:16], off
	s_waitcnt vmcnt(0)
	v_fma_f64 v[6:7], -v[0:1], v[23:24], v[11:12]
	v_fma_f64 v[13:14], -v[2:3], v[23:24], v[13:14]
	v_fma_f64 v[11:12], v[2:3], v[25:26], v[6:7]
	v_fma_f64 v[13:14], -v[0:1], v[25:26], v[13:14]
	v_lshlrev_b64 v[6:7], 4, v[4:5]
	v_add_co_u32_e32 v6, vcc, s8, v6
	v_addc_co_u32_e32 v7, vcc, v17, v7, vcc
	global_store_dwordx4 v[15:16], v[11:14], off
	global_load_dwordx4 v[11:14], v[6:7], off
	s_waitcnt vmcnt(0)
	v_fma_f64 v[11:12], -v[0:1], v[29:30], v[11:12]
	v_fma_f64 v[13:14], -v[2:3], v[29:30], v[13:14]
	v_fma_f64 v[11:12], v[2:3], v[31:32], v[11:12]
	v_fma_f64 v[13:14], -v[0:1], v[31:32], v[13:14]
                                        ; implicit-def: $vgpr0_vgpr1
	global_store_dwordx4 v[6:7], v[11:14], off
                                        ; implicit-def: $vgpr6
.LBB329_27:                             ;   in Loop: Header=BB329_25 Depth=1
	s_or_saveexec_b64 s[2:3], s[2:3]
	v_mov_b32_e32 v4, s12
	s_xor_b64 exec, exec, s[2:3]
	s_cbranch_execz .LBB329_24
; %bb.28:                               ;   in Loop: Header=BB329_25 Depth=1
	v_add_u32_e32 v7, v65, v8
	v_add_u32_e32 v4, s4, v7
	v_lshlrev_b64 v[11:12], 4, v[4:5]
	v_mov_b32_e32 v4, s9
	v_add_co_u32_e32 v19, vcc, s8, v11
	v_addc_co_u32_e32 v20, vcc, v4, v12, vcc
	v_add_u32_e32 v4, s4, v6
	v_lshlrev_b64 v[11:12], 4, v[4:5]
	v_mov_b32_e32 v4, s9
	v_add_co_u32_e32 v21, vcc, s8, v11
	v_addc_co_u32_e32 v22, vcc, v4, v12, vcc
	global_load_dwordx4 v[11:14], v[19:20], off
	global_load_dwordx4 v[15:18], v[21:22], off
	v_add_u32_e32 v4, s5, v7
	v_lshlrev_b64 v[19:20], 4, v[4:5]
	v_add_u32_e32 v4, s5, v6
	v_mov_b32_e32 v25, s9
	v_lshlrev_b64 v[23:24], 4, v[4:5]
	v_add_co_u32_e32 v19, vcc, s8, v19
	v_addc_co_u32_e32 v20, vcc, v25, v20, vcc
	v_mov_b32_e32 v26, s9
	v_add_co_u32_e32 v23, vcc, s8, v23
	v_addc_co_u32_e32 v24, vcc, v26, v24, vcc
	v_add_u32_e32 v4, s6, v7
	s_waitcnt vmcnt(0)
	v_fma_f64 v[15:16], -v[0:1], v[11:12], v[15:16]
	v_fma_f64 v[17:18], -v[2:3], v[11:12], v[17:18]
	v_fma_f64 v[11:12], v[2:3], v[13:14], v[15:16]
	v_fma_f64 v[13:14], -v[0:1], v[13:14], v[17:18]
	global_store_dwordx4 v[21:22], v[11:14], off
	global_load_dwordx4 v[11:14], v[19:20], off
	s_nop 0
	global_load_dwordx4 v[15:18], v[23:24], off
	v_lshlrev_b64 v[19:20], 4, v[4:5]
	v_add_u32_e32 v4, s6, v6
	v_lshlrev_b64 v[21:22], 4, v[4:5]
	v_add_co_u32_e32 v19, vcc, s8, v19
	v_addc_co_u32_e32 v20, vcc, v25, v20, vcc
	v_add_co_u32_e32 v21, vcc, s8, v21
	v_addc_co_u32_e32 v22, vcc, v26, v22, vcc
	v_add_u32_e32 v4, s7, v7
	s_waitcnt vmcnt(0)
	v_fma_f64 v[15:16], -v[0:1], v[11:12], v[15:16]
	v_fma_f64 v[17:18], -v[2:3], v[11:12], v[17:18]
	v_fma_f64 v[11:12], v[2:3], v[13:14], v[15:16]
	v_fma_f64 v[13:14], -v[0:1], v[13:14], v[17:18]
	global_store_dwordx4 v[23:24], v[11:14], off
	global_load_dwordx4 v[11:14], v[19:20], off
	s_nop 0
	global_load_dwordx4 v[15:18], v[21:22], off
	v_lshlrev_b64 v[19:20], 4, v[4:5]
	v_add_u32_e32 v4, s7, v6
	v_mov_b32_e32 v23, s9
	v_lshlrev_b64 v[6:7], 4, v[4:5]
	v_add_co_u32_e32 v19, vcc, s8, v19
	v_addc_co_u32_e32 v20, vcc, v23, v20, vcc
	v_mov_b32_e32 v24, s9
	v_add_co_u32_e32 v6, vcc, s8, v6
	v_addc_co_u32_e32 v7, vcc, v24, v7, vcc
	v_mov_b32_e32 v4, s22
	s_waitcnt vmcnt(0)
	v_fma_f64 v[15:16], -v[0:1], v[11:12], v[15:16]
	v_fma_f64 v[17:18], -v[2:3], v[11:12], v[17:18]
	v_fma_f64 v[11:12], v[2:3], v[13:14], v[15:16]
	v_fma_f64 v[13:14], -v[0:1], v[13:14], v[17:18]
	global_store_dwordx4 v[21:22], v[11:14], off
	global_load_dwordx4 v[11:14], v[19:20], off
	s_nop 0
	global_load_dwordx4 v[15:18], v[6:7], off
	s_waitcnt vmcnt(0)
	v_fma_f64 v[15:16], -v[0:1], v[11:12], v[15:16]
	v_fma_f64 v[17:18], -v[2:3], v[11:12], v[17:18]
	v_fma_f64 v[11:12], v[2:3], v[13:14], v[15:16]
	v_fma_f64 v[13:14], -v[0:1], v[13:14], v[17:18]
	global_store_dwordx4 v[6:7], v[11:14], off
	s_branch .LBB329_24
.LBB329_29:
	s_endpgm
	.section	.rodata,"a",@progbits
	.p2align	6, 0x0
	.amdhsa_kernel _ZN9rocsparseL19gtsv_LBM_rhs_kernelILj256ELj64ELj4E21rocsparse_complex_numIdEEEviiiPKT2_S5_S5_PS3_S5_PKi
		.amdhsa_group_segment_fixed_size 0
		.amdhsa_private_segment_fixed_size 0
		.amdhsa_kernarg_size 64
		.amdhsa_user_sgpr_count 6
		.amdhsa_user_sgpr_private_segment_buffer 1
		.amdhsa_user_sgpr_dispatch_ptr 0
		.amdhsa_user_sgpr_queue_ptr 0
		.amdhsa_user_sgpr_kernarg_segment_ptr 1
		.amdhsa_user_sgpr_dispatch_id 0
		.amdhsa_user_sgpr_flat_scratch_init 0
		.amdhsa_user_sgpr_private_segment_size 0
		.amdhsa_uses_dynamic_stack 0
		.amdhsa_system_sgpr_private_segment_wavefront_offset 0
		.amdhsa_system_sgpr_workgroup_id_x 1
		.amdhsa_system_sgpr_workgroup_id_y 1
		.amdhsa_system_sgpr_workgroup_id_z 0
		.amdhsa_system_sgpr_workgroup_info 0
		.amdhsa_system_vgpr_workitem_id 0
		.amdhsa_next_free_vgpr 93
		.amdhsa_next_free_sgpr 32
		.amdhsa_reserve_vcc 1
		.amdhsa_reserve_flat_scratch 0
		.amdhsa_float_round_mode_32 0
		.amdhsa_float_round_mode_16_64 0
		.amdhsa_float_denorm_mode_32 3
		.amdhsa_float_denorm_mode_16_64 3
		.amdhsa_dx10_clamp 1
		.amdhsa_ieee_mode 1
		.amdhsa_fp16_overflow 0
		.amdhsa_exception_fp_ieee_invalid_op 0
		.amdhsa_exception_fp_denorm_src 0
		.amdhsa_exception_fp_ieee_div_zero 0
		.amdhsa_exception_fp_ieee_overflow 0
		.amdhsa_exception_fp_ieee_underflow 0
		.amdhsa_exception_fp_ieee_inexact 0
		.amdhsa_exception_int_div_zero 0
	.end_amdhsa_kernel
	.section	.text._ZN9rocsparseL19gtsv_LBM_rhs_kernelILj256ELj64ELj4E21rocsparse_complex_numIdEEEviiiPKT2_S5_S5_PS3_S5_PKi,"axG",@progbits,_ZN9rocsparseL19gtsv_LBM_rhs_kernelILj256ELj64ELj4E21rocsparse_complex_numIdEEEviiiPKT2_S5_S5_PS3_S5_PKi,comdat
.Lfunc_end329:
	.size	_ZN9rocsparseL19gtsv_LBM_rhs_kernelILj256ELj64ELj4E21rocsparse_complex_numIdEEEviiiPKT2_S5_S5_PS3_S5_PKi, .Lfunc_end329-_ZN9rocsparseL19gtsv_LBM_rhs_kernelILj256ELj64ELj4E21rocsparse_complex_numIdEEEviiiPKT2_S5_S5_PS3_S5_PKi
                                        ; -- End function
	.set _ZN9rocsparseL19gtsv_LBM_rhs_kernelILj256ELj64ELj4E21rocsparse_complex_numIdEEEviiiPKT2_S5_S5_PS3_S5_PKi.num_vgpr, 93
	.set _ZN9rocsparseL19gtsv_LBM_rhs_kernelILj256ELj64ELj4E21rocsparse_complex_numIdEEEviiiPKT2_S5_S5_PS3_S5_PKi.num_agpr, 0
	.set _ZN9rocsparseL19gtsv_LBM_rhs_kernelILj256ELj64ELj4E21rocsparse_complex_numIdEEEviiiPKT2_S5_S5_PS3_S5_PKi.numbered_sgpr, 32
	.set _ZN9rocsparseL19gtsv_LBM_rhs_kernelILj256ELj64ELj4E21rocsparse_complex_numIdEEEviiiPKT2_S5_S5_PS3_S5_PKi.num_named_barrier, 0
	.set _ZN9rocsparseL19gtsv_LBM_rhs_kernelILj256ELj64ELj4E21rocsparse_complex_numIdEEEviiiPKT2_S5_S5_PS3_S5_PKi.private_seg_size, 0
	.set _ZN9rocsparseL19gtsv_LBM_rhs_kernelILj256ELj64ELj4E21rocsparse_complex_numIdEEEviiiPKT2_S5_S5_PS3_S5_PKi.uses_vcc, 1
	.set _ZN9rocsparseL19gtsv_LBM_rhs_kernelILj256ELj64ELj4E21rocsparse_complex_numIdEEEviiiPKT2_S5_S5_PS3_S5_PKi.uses_flat_scratch, 0
	.set _ZN9rocsparseL19gtsv_LBM_rhs_kernelILj256ELj64ELj4E21rocsparse_complex_numIdEEEviiiPKT2_S5_S5_PS3_S5_PKi.has_dyn_sized_stack, 0
	.set _ZN9rocsparseL19gtsv_LBM_rhs_kernelILj256ELj64ELj4E21rocsparse_complex_numIdEEEviiiPKT2_S5_S5_PS3_S5_PKi.has_recursion, 0
	.set _ZN9rocsparseL19gtsv_LBM_rhs_kernelILj256ELj64ELj4E21rocsparse_complex_numIdEEEviiiPKT2_S5_S5_PS3_S5_PKi.has_indirect_call, 0
	.section	.AMDGPU.csdata,"",@progbits
; Kernel info:
; codeLenInByte = 5184
; TotalNumSgprs: 36
; NumVgprs: 93
; ScratchSize: 0
; MemoryBound: 1
; FloatMode: 240
; IeeeMode: 1
; LDSByteSize: 0 bytes/workgroup (compile time only)
; SGPRBlocks: 4
; VGPRBlocks: 23
; NumSGPRsForWavesPerEU: 36
; NumVGPRsForWavesPerEU: 93
; Occupancy: 2
; WaveLimiterHint : 0
; COMPUTE_PGM_RSRC2:SCRATCH_EN: 0
; COMPUTE_PGM_RSRC2:USER_SGPR: 6
; COMPUTE_PGM_RSRC2:TRAP_HANDLER: 0
; COMPUTE_PGM_RSRC2:TGID_X_EN: 1
; COMPUTE_PGM_RSRC2:TGID_Y_EN: 1
; COMPUTE_PGM_RSRC2:TGID_Z_EN: 0
; COMPUTE_PGM_RSRC2:TIDIG_COMP_CNT: 0
	.section	.text._ZN9rocsparseL19gtsv_LBM_rhs_kernelILj256ELj64ELj2E21rocsparse_complex_numIdEEEviiiPKT2_S5_S5_PS3_S5_PKi,"axG",@progbits,_ZN9rocsparseL19gtsv_LBM_rhs_kernelILj256ELj64ELj2E21rocsparse_complex_numIdEEEviiiPKT2_S5_S5_PS3_S5_PKi,comdat
	.globl	_ZN9rocsparseL19gtsv_LBM_rhs_kernelILj256ELj64ELj2E21rocsparse_complex_numIdEEEviiiPKT2_S5_S5_PS3_S5_PKi ; -- Begin function _ZN9rocsparseL19gtsv_LBM_rhs_kernelILj256ELj64ELj2E21rocsparse_complex_numIdEEEviiiPKT2_S5_S5_PS3_S5_PKi
	.p2align	8
	.type	_ZN9rocsparseL19gtsv_LBM_rhs_kernelILj256ELj64ELj2E21rocsparse_complex_numIdEEEviiiPKT2_S5_S5_PS3_S5_PKi,@function
_ZN9rocsparseL19gtsv_LBM_rhs_kernelILj256ELj64ELj2E21rocsparse_complex_numIdEEEviiiPKT2_S5_S5_PS3_S5_PKi: ; @_ZN9rocsparseL19gtsv_LBM_rhs_kernelILj256ELj64ELj2E21rocsparse_complex_numIdEEEviiiPKT2_S5_S5_PS3_S5_PKi
; %bb.0:
	s_load_dword s25, s[4:5], 0x0
	v_lshl_or_b32 v24, s6, 8, v0
	s_waitcnt lgkmcnt(0)
	s_lshr_b32 s24, s25, 6
	v_cmp_gt_i32_e32 vcc, s24, v24
	s_and_saveexec_b64 s[0:1], vcc
	s_cbranch_execz .LBB330_29
; %bb.1:
	s_load_dwordx4 s[8:11], s[4:5], 0x28
	s_load_dwordx2 s[16:17], s[4:5], 0x38
	s_cmp_lt_i32 s25, 1
	v_add_u32_e32 v47, s24, v24
	s_mul_i32 s26, s7, s25
	s_cbranch_scc1 .LBB330_21
; %bb.2:
	s_load_dwordx4 s[12:15], s[4:5], 0x10
	s_load_dwordx2 s[18:19], s[4:5], 0x20
	v_ashrrev_i32_e32 v25, 31, v24
	v_lshlrev_b64 v[0:1], 4, v[24:25]
	s_lshl_b32 s30, s26, 1
	s_waitcnt lgkmcnt(0)
	v_mov_b32_e32 v2, s15
	v_add_co_u32_e32 v0, vcc, s14, v0
	v_addc_co_u32_e32 v1, vcc, v2, v1, vcc
	global_load_dwordx4 v[4:7], v[0:1], off
	s_mul_i32 s27, s24, 63
	s_mul_i32 s28, s24, 62
	s_lshl_b32 s29, s24, 1
	v_add_u32_e32 v49, s24, v47
	s_add_i32 s31, s30, s25
	v_mov_b32_e32 v26, 0
	s_mov_b64 s[20:21], 0
	v_mov_b32_e32 v50, s19
	v_mov_b32_e32 v48, 0
	s_branch .LBB330_5
.LBB330_3:                              ;   in Loop: Header=BB330_5 Depth=1
	s_or_b64 exec, exec, s[4:5]
	v_fma_f64 v[2:3], v[2:3], v[8:9], v[29:30]
	v_fma_f64 v[0:1], v[0:1], v[8:9], v[27:28]
	v_mul_f64 v[4:5], v[20:21], -v[2:3]
	v_mul_f64 v[6:7], v[20:21], v[0:1]
	v_fma_f64 v[0:1], v[0:1], v[10:11], v[4:5]
	v_fma_f64 v[2:3], v[2:3], v[10:11], v[6:7]
	v_mov_b32_e32 v10, s24
	v_add_f64 v[4:5], v[12:13], -v[0:1]
	v_add_f64 v[6:7], v[14:15], -v[2:3]
.LBB330_4:                              ;   in Loop: Header=BB330_5 Depth=1
	s_or_b64 exec, exec, s[2:3]
	v_add_u32_e32 v48, v10, v48
	v_cmp_le_i32_e32 vcc, s25, v48
	s_or_b64 s[20:21], vcc, s[20:21]
	s_andn2_b64 exec, exec, s[20:21]
	s_cbranch_execz .LBB330_20
.LBB330_5:                              ; =>This Inner Loop Header: Depth=1
	v_add_u32_e32 v31, v48, v24
	v_ashrrev_i32_e32 v32, 31, v31
	v_lshlrev_b64 v[0:1], 4, v[31:32]
	v_mov_b32_e32 v12, 0
	v_add_co_u32_e32 v0, vcc, s18, v0
	v_addc_co_u32_e32 v1, vcc, v50, v1, vcc
	global_load_dwordx4 v[8:11], v[0:1], off
	v_mov_b32_e32 v0, 0
	v_mov_b32_e32 v2, 0
	v_mov_b32_e32 v13, 0
	v_mov_b32_e32 v1, 0
	v_mov_b32_e32 v3, 0
	v_cmp_gt_u32_e64 s[0:1], s27, v48
	s_and_saveexec_b64 s[2:3], s[0:1]
	s_cbranch_execz .LBB330_7
; %bb.6:                                ;   in Loop: Header=BB330_5 Depth=1
	v_add_u32_e32 v0, v47, v48
	v_ashrrev_i32_e32 v1, 31, v0
	v_lshlrev_b64 v[0:1], 4, v[0:1]
	v_mov_b32_e32 v2, s13
	v_add_co_u32_e32 v0, vcc, s12, v0
	v_addc_co_u32_e32 v1, vcc, v2, v1, vcc
	global_load_dwordx4 v[0:3], v[0:1], off
.LBB330_7:                              ;   in Loop: Header=BB330_5 Depth=1
	s_or_b64 exec, exec, s[2:3]
	v_mov_b32_e32 v14, 0
	v_mov_b32_e32 v15, 0
	s_and_saveexec_b64 s[2:3], s[0:1]
	s_cbranch_execz .LBB330_9
; %bb.8:                                ;   in Loop: Header=BB330_5 Depth=1
	v_add_u32_e32 v12, v47, v48
	v_ashrrev_i32_e32 v13, 31, v12
	v_lshlrev_b64 v[12:13], 4, v[12:13]
	v_mov_b32_e32 v14, s15
	v_add_co_u32_e32 v12, vcc, s14, v12
	v_addc_co_u32_e32 v13, vcc, v14, v13, vcc
	global_load_dwordx4 v[12:15], v[12:13], off
.LBB330_9:                              ;   in Loop: Header=BB330_5 Depth=1
	s_or_b64 exec, exec, s[2:3]
	v_mov_b32_e32 v20, 0
	v_mov_b32_e32 v16, 0
	;; [unrolled: 1-line block ×6, first 2 shown]
	s_and_saveexec_b64 s[2:3], s[0:1]
	s_cbranch_execz .LBB330_11
; %bb.10:                               ;   in Loop: Header=BB330_5 Depth=1
	v_add_u32_e32 v16, v47, v48
	v_ashrrev_i32_e32 v17, 31, v16
	v_lshlrev_b64 v[16:17], 4, v[16:17]
	v_mov_b32_e32 v18, s19
	v_add_co_u32_e32 v16, vcc, s18, v16
	v_addc_co_u32_e32 v17, vcc, v18, v17, vcc
	global_load_dwordx4 v[16:19], v[16:17], off
.LBB330_11:                             ;   in Loop: Header=BB330_5 Depth=1
	s_or_b64 exec, exec, s[2:3]
	v_mov_b32_e32 v22, 0
	v_mov_b32_e32 v23, 0
	v_cmp_gt_u32_e64 s[2:3], s28, v48
	s_and_saveexec_b64 s[4:5], s[2:3]
	s_cbranch_execz .LBB330_13
; %bb.12:                               ;   in Loop: Header=BB330_5 Depth=1
	v_add_u32_e32 v20, v49, v48
	v_ashrrev_i32_e32 v21, 31, v20
	v_lshlrev_b64 v[20:21], 4, v[20:21]
	v_mov_b32_e32 v22, s13
	v_add_co_u32_e32 v20, vcc, s12, v20
	v_addc_co_u32_e32 v21, vcc, v22, v21, vcc
	global_load_dwordx4 v[20:23], v[20:21], off
.LBB330_13:                             ;   in Loop: Header=BB330_5 Depth=1
	s_or_b64 exec, exec, s[4:5]
	v_lshlrev_b64 v[27:28], 2, v[31:32]
	v_mov_b32_e32 v25, s17
	v_add_co_u32_e32 v27, vcc, s16, v27
	v_addc_co_u32_e32 v28, vcc, v25, v28, vcc
	global_load_dword v32, v[27:28], off
	s_waitcnt vmcnt(1)
	v_mul_f64 v[27:28], v[10:11], -v[2:3]
	v_mul_f64 v[29:30], v[10:11], v[0:1]
	v_cmp_ne_u32_e32 vcc, s27, v48
	v_add_u32_e32 v25, s30, v31
	v_add_u32_e32 v31, s31, v31
	s_waitcnt vmcnt(0)
	v_cmp_ne_u32_e64 s[4:5], 1, v32
	s_and_b64 s[4:5], vcc, s[4:5]
	s_and_saveexec_b64 s[6:7], s[4:5]
	s_xor_b64 s[22:23], exec, s[6:7]
	s_cbranch_execz .LBB330_17
; %bb.14:                               ;   in Loop: Header=BB330_5 Depth=1
	v_mul_f64 v[32:33], v[4:5], v[14:15]
	v_mul_f64 v[34:35], v[14:15], -v[6:7]
	v_fma_f64 v[29:30], v[2:3], v[8:9], v[29:30]
	v_fma_f64 v[27:28], v[0:1], v[8:9], v[27:28]
	v_lshlrev_b64 v[39:40], 4, v[25:26]
	v_mov_b32_e32 v53, s9
	v_add_u32_e32 v54, v47, v48
	v_add_u32_e32 v25, s30, v54
	v_fma_f64 v[32:33], v[6:7], v[12:13], v[32:33]
	v_fma_f64 v[34:35], v[4:5], v[12:13], v[34:35]
	v_mov_b32_e32 v58, s9
	v_mov_b32_e32 v57, s9
	v_mov_b32_e32 v64, s9
	v_add_f64 v[29:30], v[32:33], -v[29:30]
	v_add_f64 v[27:28], v[34:35], -v[27:28]
	v_mul_f64 v[32:33], v[29:30], v[29:30]
	v_fma_f64 v[35:36], v[27:28], v[27:28], v[32:33]
	v_mov_b32_e32 v32, v26
	v_lshlrev_b64 v[43:44], 4, v[31:32]
	v_div_scale_f64 v[41:42], s[4:5], v[35:36], v[35:36], 1.0
	v_div_scale_f64 v[45:46], vcc, 1.0, v[35:36], 1.0
	v_add_co_u32_e64 v55, s[4:5], s8, v39
	v_addc_co_u32_e64 v56, s[4:5], v53, v40, s[4:5]
	v_lshlrev_b64 v[39:40], 4, v[25:26]
	v_add_u32_e32 v25, s31, v54
	v_add_co_u32_e64 v61, s[6:7], s8, v39
	v_addc_co_u32_e64 v62, s[6:7], v58, v40, s[6:7]
	v_add_co_u32_e64 v59, s[4:5], s8, v43
	v_rcp_f64_e32 v[33:34], v[41:42]
	v_addc_co_u32_e64 v60, s[4:5], v57, v44, s[4:5]
	v_lshlrev_b64 v[43:44], 4, v[25:26]
	v_add_co_u32_e64 v63, s[4:5], s8, v43
	v_addc_co_u32_e64 v64, s[4:5], v64, v44, s[4:5]
	v_fma_f64 v[37:38], -v[41:42], v[33:34], 1.0
	v_fma_f64 v[37:38], v[33:34], v[37:38], v[33:34]
	global_load_dwordx4 v[31:34], v[55:56], off
	v_fma_f64 v[51:52], -v[41:42], v[37:38], 1.0
	v_fma_f64 v[51:52], v[37:38], v[51:52], v[37:38]
	global_load_dwordx4 v[37:40], v[61:62], off
	v_mul_f64 v[53:54], v[45:46], v[51:52]
	v_fma_f64 v[45:46], -v[41:42], v[53:54], v[45:46]
	global_load_dwordx4 v[41:44], v[59:60], off
	v_div_fmas_f64 v[45:46], v[45:46], v[51:52], v[53:54]
	global_load_dwordx4 v[51:54], v[63:64], off
	v_div_fixup_f64 v[35:36], v[45:46], v[35:36], 1.0
	v_fma_f64 v[45:46], v[27:28], 0, -v[29:30]
	v_fma_f64 v[27:28], v[29:30], 0, v[27:28]
	v_mul_f64 v[29:30], v[45:46], v[35:36]
	v_mul_f64 v[27:28], v[27:28], v[35:36]
	s_waitcnt vmcnt(3)
	v_mul_f64 v[35:36], v[29:30], -v[33:34]
	v_mul_f64 v[45:46], v[29:30], v[31:32]
	v_fma_f64 v[31:32], v[31:32], v[27:28], v[35:36]
	v_fma_f64 v[35:36], v[33:34], v[27:28], v[45:46]
	s_waitcnt vmcnt(2)
	v_mul_f64 v[33:34], v[29:30], -v[39:40]
	v_mul_f64 v[45:46], v[29:30], v[37:38]
	v_fma_f64 v[33:34], v[37:38], v[27:28], v[33:34]
	v_fma_f64 v[37:38], v[39:40], v[27:28], v[45:46]
	;; [unrolled: 5-line block ×3, first 2 shown]
	s_waitcnt vmcnt(0)
	v_mul_f64 v[41:42], v[29:30], -v[53:54]
	v_mul_f64 v[45:46], v[29:30], v[51:52]
	v_mul_f64 v[57:58], v[43:44], -v[14:15]
	v_fma_f64 v[41:42], v[51:52], v[27:28], v[41:42]
	v_mul_f64 v[51:52], v[35:36], -v[14:15]
	v_fma_f64 v[45:46], v[53:54], v[27:28], v[45:46]
	v_mul_f64 v[53:54], v[12:13], v[35:36]
	v_fma_f64 v[57:58], v[12:13], v[39:40], v[57:58]
	v_fma_f64 v[51:52], v[12:13], v[31:32], v[51:52]
	v_mul_f64 v[12:13], v[12:13], v[43:44]
	v_fma_f64 v[53:54], v[14:15], v[31:32], v[53:54]
	v_fma_f64 v[65:66], v[14:15], v[39:40], v[12:13]
	v_mul_f64 v[12:13], v[37:38], -v[10:11]
	v_mul_f64 v[14:15], v[8:9], v[37:38]
	v_fma_f64 v[12:13], v[8:9], v[33:34], v[12:13]
	v_fma_f64 v[14:15], v[10:11], v[33:34], v[14:15]
	v_add_f64 v[12:13], v[51:52], -v[12:13]
	v_mul_f64 v[51:52], v[45:46], -v[10:11]
	v_add_f64 v[14:15], v[53:54], -v[14:15]
	v_mul_f64 v[53:54], v[35:36], -v[0:1]
	v_fma_f64 v[51:52], v[8:9], v[41:42], v[51:52]
	v_mul_f64 v[8:9], v[8:9], v[45:46]
	global_store_dwordx4 v[55:56], v[12:15], off
	v_mul_f64 v[55:56], v[37:38], -v[6:7]
	v_mul_f64 v[14:15], v[2:3], v[35:36]
	v_fma_f64 v[53:54], -v[2:3], v[31:32], v[53:54]
	v_fma_f64 v[8:9], v[10:11], v[41:42], v[8:9]
	v_add_f64 v[10:11], v[57:58], -v[51:52]
	v_fma_f64 v[51:52], v[4:5], v[33:34], v[55:56]
	v_fma_f64 v[14:15], -v[0:1], v[31:32], v[14:15]
	v_mul_f64 v[55:56], v[2:3], v[43:44]
	v_mul_f64 v[57:58], v[4:5], v[45:46]
	v_add_f64 v[12:13], v[65:66], -v[8:9]
	v_mul_f64 v[8:9], v[4:5], v[37:38]
	v_add_f64 v[51:52], v[14:15], v[51:52]
	v_mul_f64 v[14:15], v[45:46], -v[6:7]
	v_fma_f64 v[55:56], -v[0:1], v[39:40], v[55:56]
	v_fma_f64 v[57:58], v[6:7], v[41:42], v[57:58]
	global_store_dwordx4 v[59:60], v[10:13], off
	v_fma_f64 v[8:9], v[6:7], v[33:34], v[8:9]
	v_mov_b32_e32 v10, 0
	v_mov_b32_e32 v11, 0
	v_fma_f64 v[14:15], v[4:5], v[41:42], v[14:15]
	v_add_f64 v[53:54], v[53:54], v[8:9]
	v_mul_f64 v[8:9], v[43:44], -v[0:1]
	v_add_f64 v[55:56], v[55:56], v[14:15]
	v_fma_f64 v[8:9], -v[2:3], v[39:40], v[8:9]
	v_add_f64 v[57:58], v[8:9], v[57:58]
	v_mov_b32_e32 v8, 0
	v_mov_b32_e32 v9, 0
	global_store_dwordx4 v[61:62], v[51:54], off
	global_store_dwordx4 v[63:64], v[55:58], off
	s_and_saveexec_b64 s[4:5], s[2:3]
	s_cbranch_execz .LBB330_16
; %bb.15:                               ;   in Loop: Header=BB330_5 Depth=1
	v_add_u32_e32 v51, v49, v48
	v_add_u32_e32 v25, s30, v51
	v_lshlrev_b64 v[8:9], 4, v[25:26]
	v_mov_b32_e32 v10, s9
	v_add_co_u32_e32 v55, vcc, s8, v8
	v_add_u32_e32 v25, s31, v51
	v_addc_co_u32_e32 v56, vcc, v10, v9, vcc
	v_lshlrev_b64 v[8:9], 4, v[25:26]
	v_ashrrev_i32_e32 v52, 31, v51
	v_add_co_u32_e32 v57, vcc, s8, v8
	v_lshlrev_b64 v[51:52], 4, v[51:52]
	v_addc_co_u32_e32 v58, vcc, v10, v9, vcc
	v_mov_b32_e32 v25, s15
	v_add_co_u32_e32 v51, vcc, s14, v51
	v_addc_co_u32_e32 v52, vcc, v25, v52, vcc
	global_load_dwordx4 v[8:11], v[55:56], off
	global_load_dwordx4 v[12:15], v[57:58], off
	v_mul_f64 v[59:60], v[22:23], -v[0:1]
	global_load_dwordx4 v[51:54], v[51:52], off
	v_mul_f64 v[61:62], v[2:3], v[22:23]
	v_mul_f64 v[63:64], v[4:5], v[22:23]
	v_mul_f64 v[65:66], v[22:23], -v[6:7]
	v_mul_f64 v[67:68], v[6:7], -v[22:23]
	v_mul_f64 v[69:70], v[6:7], v[20:21]
	v_fma_f64 v[2:3], -v[2:3], v[20:21], v[59:60]
	v_fma_f64 v[0:1], -v[0:1], v[20:21], v[61:62]
	v_fma_f64 v[6:7], v[6:7], v[20:21], v[63:64]
	v_fma_f64 v[59:60], v[4:5], v[20:21], v[65:66]
	;; [unrolled: 1-line block ×4, first 2 shown]
	v_mul_f64 v[22:23], v[2:3], v[35:36]
	v_mul_f64 v[65:66], v[2:3], v[43:44]
	v_mul_f64 v[35:36], v[35:36], -v[0:1]
	v_mul_f64 v[61:62], v[37:38], -v[6:7]
	v_mul_f64 v[37:38], v[59:60], v[37:38]
	v_mul_f64 v[63:64], v[18:19], v[20:21]
	v_mul_f64 v[18:19], v[18:19], -v[4:5]
	v_mul_f64 v[43:44], v[43:44], -v[0:1]
	v_mul_f64 v[67:68], v[45:46], -v[6:7]
	v_mul_f64 v[45:46], v[59:60], v[45:46]
	v_fma_f64 v[22:23], -v[0:1], v[31:32], v[22:23]
	v_fma_f64 v[31:32], -v[2:3], v[31:32], v[35:36]
	;; [unrolled: 1-line block ×3, first 2 shown]
	v_fma_f64 v[4:5], v[4:5], v[16:17], v[63:64]
	v_fma_f64 v[16:17], v[20:21], v[16:17], v[18:19]
	;; [unrolled: 1-line block ×4, first 2 shown]
	v_fma_f64 v[2:3], -v[2:3], v[39:40], v[43:44]
	v_fma_f64 v[33:34], v[59:60], v[41:42], v[67:68]
	v_fma_f64 v[6:7], v[6:7], v[41:42], v[45:46]
	v_mul_f64 v[35:36], v[29:30], -v[4:5]
	v_mul_f64 v[29:30], v[29:30], v[16:17]
	v_add_f64 v[18:19], v[22:23], -v[18:19]
	v_add_f64 v[20:21], v[31:32], -v[20:21]
	;; [unrolled: 1-line block ×4, first 2 shown]
	v_fma_f64 v[16:17], v[16:17], v[27:28], v[35:36]
	v_fma_f64 v[27:28], v[4:5], v[27:28], v[29:30]
	s_waitcnt vmcnt(2)
	v_add_f64 v[0:1], v[18:19], v[8:9]
	v_add_f64 v[2:3], v[20:21], v[10:11]
	s_waitcnt vmcnt(1)
	v_add_f64 v[4:5], v[22:23], v[12:13]
	s_waitcnt vmcnt(0)
	v_add_f64 v[10:11], v[51:52], -v[16:17]
	v_add_f64 v[8:9], v[53:54], -v[27:28]
	v_add_f64 v[6:7], v[6:7], v[14:15]
	global_store_dwordx4 v[55:56], v[0:3], off
	global_store_dwordx4 v[57:58], v[4:7], off
.LBB330_16:                             ;   in Loop: Header=BB330_5 Depth=1
	s_or_b64 exec, exec, s[4:5]
	v_mov_b32_e32 v6, v8
	v_mov_b32_e32 v4, v10
	;; [unrolled: 1-line block ×4, first 2 shown]
                                        ; implicit-def: $vgpr0_vgpr1
                                        ; implicit-def: $vgpr12_vgpr13
                                        ; implicit-def: $vgpr8_vgpr9
                                        ; implicit-def: $vgpr27_vgpr28
                                        ; implicit-def: $vgpr29_vgpr30
                                        ; implicit-def: $vgpr31
.LBB330_17:                             ;   in Loop: Header=BB330_5 Depth=1
	s_or_saveexec_b64 s[2:3], s[22:23]
	v_mov_b32_e32 v10, s29
	s_xor_b64 exec, exec, s[2:3]
	s_cbranch_execz .LBB330_4
; %bb.18:                               ;   in Loop: Header=BB330_5 Depth=1
	v_mul_f64 v[10:11], v[6:7], v[6:7]
	v_lshlrev_b64 v[16:17], 4, v[25:26]
	v_mov_b32_e32 v32, v26
	v_mov_b32_e32 v18, s9
	v_lshlrev_b64 v[31:32], 4, v[31:32]
	v_add_co_u32_e32 v35, vcc, s8, v16
	v_addc_co_u32_e32 v36, vcc, v18, v17, vcc
	v_fma_f64 v[10:11], v[4:5], v[4:5], v[10:11]
	v_mov_b32_e32 v25, s9
	v_add_co_u32_e32 v39, vcc, s8, v31
	v_addc_co_u32_e32 v40, vcc, v25, v32, vcc
	global_load_dwordx4 v[16:19], v[35:36], off
	global_load_dwordx4 v[31:34], v[39:40], off
	v_div_scale_f64 v[20:21], s[4:5], v[10:11], v[10:11], 1.0
	v_rcp_f64_e32 v[22:23], v[20:21]
	v_fma_f64 v[37:38], -v[20:21], v[22:23], 1.0
	v_fma_f64 v[22:23], v[22:23], v[37:38], v[22:23]
	v_div_scale_f64 v[37:38], vcc, 1.0, v[10:11], 1.0
	v_fma_f64 v[41:42], -v[20:21], v[22:23], 1.0
	v_fma_f64 v[22:23], v[22:23], v[41:42], v[22:23]
	v_mul_f64 v[41:42], v[37:38], v[22:23]
	v_fma_f64 v[20:21], -v[20:21], v[41:42], v[37:38]
	v_div_fmas_f64 v[20:21], v[20:21], v[22:23], v[41:42]
	v_fma_f64 v[22:23], v[4:5], 0, -v[6:7]
	v_fma_f64 v[4:5], v[6:7], 0, v[4:5]
	v_div_fixup_f64 v[10:11], v[20:21], v[10:11], 1.0
	v_mul_f64 v[20:21], v[22:23], v[10:11]
	v_mul_f64 v[10:11], v[4:5], v[10:11]
	s_waitcnt vmcnt(1)
	v_mul_f64 v[4:5], v[20:21], -v[18:19]
	v_mul_f64 v[6:7], v[20:21], v[16:17]
	s_waitcnt vmcnt(0)
	v_mul_f64 v[22:23], v[20:21], -v[33:34]
	v_mul_f64 v[37:38], v[20:21], v[31:32]
	v_fma_f64 v[16:17], v[16:17], v[10:11], v[4:5]
	v_fma_f64 v[18:19], v[18:19], v[10:11], v[6:7]
	v_fma_f64 v[4:5], v[31:32], v[10:11], v[22:23]
	v_fma_f64 v[6:7], v[33:34], v[10:11], v[37:38]
	global_store_dwordx4 v[35:36], v[16:19], off
	global_store_dwordx4 v[39:40], v[4:7], off
	s_and_saveexec_b64 s[4:5], s[0:1]
	s_cbranch_execz .LBB330_3
; %bb.19:                               ;   in Loop: Header=BB330_5 Depth=1
	v_add_u32_e32 v35, v47, v48
	v_add_u32_e32 v25, s30, v35
	v_lshlrev_b64 v[22:23], 4, v[25:26]
	v_mov_b32_e32 v25, s9
	v_add_co_u32_e32 v22, vcc, s8, v22
	v_addc_co_u32_e32 v23, vcc, v25, v23, vcc
	v_add_u32_e32 v25, s31, v35
	v_lshlrev_b64 v[35:36], 4, v[25:26]
	v_mov_b32_e32 v25, s9
	v_add_co_u32_e32 v39, vcc, s8, v35
	global_load_dwordx4 v[31:34], v[22:23], off
	v_addc_co_u32_e32 v40, vcc, v25, v36, vcc
	global_load_dwordx4 v[35:38], v[39:40], off
	s_waitcnt vmcnt(1)
	v_fma_f64 v[31:32], -v[0:1], v[16:17], v[31:32]
	v_fma_f64 v[33:34], -v[2:3], v[16:17], v[33:34]
	s_waitcnt vmcnt(0)
	v_fma_f64 v[35:36], -v[0:1], v[4:5], v[35:36]
	v_fma_f64 v[37:38], -v[2:3], v[4:5], v[37:38]
	v_fma_f64 v[16:17], v[2:3], v[18:19], v[31:32]
	v_fma_f64 v[18:19], -v[0:1], v[18:19], v[33:34]
	v_fma_f64 v[4:5], v[2:3], v[6:7], v[35:36]
	v_fma_f64 v[6:7], -v[0:1], v[6:7], v[37:38]
	global_store_dwordx4 v[22:23], v[16:19], off
	global_store_dwordx4 v[39:40], v[4:7], off
	s_branch .LBB330_3
.LBB330_20:
	s_or_b64 exec, exec, s[20:21]
	s_branch .LBB330_22
.LBB330_21:
	v_mov_b32_e32 v48, 0
.LBB330_22:
	v_subrev_u32_e32 v2, s24, v48
	v_add_u32_e32 v0, v2, v24
	v_ashrrev_i32_e32 v1, 31, v0
	v_lshlrev_b64 v[0:1], 2, v[0:1]
	s_waitcnt lgkmcnt(0)
	v_mov_b32_e32 v3, s17
	v_add_co_u32_e32 v0, vcc, s16, v0
	v_addc_co_u32_e32 v1, vcc, v3, v1, vcc
	s_waitcnt vmcnt(0)
	buffer_wbinvl1_vol
	global_load_dword v0, v[0:1], off
	s_waitcnt vmcnt(0)
	v_mul_lo_u32 v0, v0, s24
	v_sub_u32_e32 v8, v2, v0
	v_cmp_lt_i32_e32 vcc, -1, v8
	s_and_b64 exec, exec, vcc
	s_cbranch_execz .LBB330_29
; %bb.23:
	s_lshl_b32 s4, s26, 1
	s_add_i32 s5, s4, s25
	s_lshl_b32 s6, s24, 1
	s_mov_b64 s[0:1], 0
	v_mov_b32_e32 v9, s17
	v_mov_b32_e32 v10, s11
	;; [unrolled: 1-line block ×3, first 2 shown]
	s_branch .LBB330_25
.LBB330_24:                             ;   in Loop: Header=BB330_25 Depth=1
	s_or_b64 exec, exec, s[2:3]
	v_sub_u32_e32 v8, v8, v4
	v_cmp_gt_i32_e32 vcc, 0, v8
	s_or_b64 s[0:1], vcc, s[0:1]
	s_andn2_b64 exec, exec, s[0:1]
	s_cbranch_execz .LBB330_29
.LBB330_25:                             ; =>This Inner Loop Header: Depth=1
	v_add_u32_e32 v6, v8, v24
	v_ashrrev_i32_e32 v7, 31, v6
	s_waitcnt vmcnt(0)
	v_lshlrev_b64 v[0:1], 2, v[6:7]
	v_add_co_u32_e32 v0, vcc, s16, v0
	v_addc_co_u32_e32 v1, vcc, v9, v1, vcc
	global_load_dword v4, v[0:1], off
	v_lshlrev_b64 v[0:1], 4, v[6:7]
	v_add_co_u32_e32 v0, vcc, s10, v0
	v_addc_co_u32_e32 v1, vcc, v10, v1, vcc
	global_load_dwordx4 v[0:3], v[0:1], off
	s_waitcnt vmcnt(1)
	v_cmp_ne_u32_e32 vcc, 1, v4
	s_and_saveexec_b64 s[2:3], vcc
	s_xor_b64 s[2:3], exec, s[2:3]
	s_cbranch_execz .LBB330_27
; %bb.26:                               ;   in Loop: Header=BB330_25 Depth=1
	v_add_u32_e32 v7, v47, v8
	v_add_u32_e32 v4, s4, v7
	v_lshlrev_b64 v[11:12], 4, v[4:5]
	v_mov_b32_e32 v4, s9
	v_add_co_u32_e32 v11, vcc, s8, v11
	v_addc_co_u32_e32 v12, vcc, v4, v12, vcc
	v_add_u32_e32 v4, s5, v7
	v_lshlrev_b64 v[19:20], 4, v[4:5]
	v_add_u32_e32 v4, s4, v6
	v_lshlrev_b64 v[15:16], 4, v[4:5]
	v_mov_b32_e32 v4, s9
	v_add_co_u32_e32 v25, vcc, s8, v15
	v_addc_co_u32_e32 v26, vcc, v4, v16, vcc
	global_load_dwordx4 v[11:14], v[11:12], off
	v_add_co_u32_e32 v19, vcc, s8, v19
	global_load_dwordx4 v[15:18], v[25:26], off
	v_addc_co_u32_e32 v20, vcc, v4, v20, vcc
	global_load_dwordx4 v[19:22], v[19:20], off
	v_add_u32_e32 v4, s5, v6
	v_lshlrev_b64 v[6:7], 4, v[4:5]
	v_mov_b32_e32 v23, s9
	v_add_co_u32_e32 v6, vcc, s8, v6
	v_addc_co_u32_e32 v7, vcc, v23, v7, vcc
	v_subrev_u32_e32 v4, s24, v8
	v_mov_b32_e32 v23, s11
	v_mov_b32_e32 v28, s9
	s_waitcnt vmcnt(1)
	v_fma_f64 v[15:16], -v[0:1], v[11:12], v[15:16]
	v_fma_f64 v[17:18], -v[2:3], v[11:12], v[17:18]
	v_fma_f64 v[15:16], v[2:3], v[13:14], v[15:16]
	v_fma_f64 v[17:18], -v[0:1], v[13:14], v[17:18]
	global_store_dwordx4 v[25:26], v[15:18], off
	global_load_dwordx4 v[15:18], v[6:7], off
	v_add_u32_e32 v25, v4, v24
	v_ashrrev_i32_e32 v26, 31, v25
	v_lshlrev_b64 v[26:27], 4, v[25:26]
	v_add_u32_e32 v4, s4, v25
	v_add_co_u32_e32 v26, vcc, s10, v26
	v_addc_co_u32_e32 v27, vcc, v23, v27, vcc
	s_waitcnt vmcnt(0)
	v_fma_f64 v[15:16], -v[0:1], v[19:20], v[15:16]
	v_fma_f64 v[17:18], -v[2:3], v[19:20], v[17:18]
	v_fma_f64 v[15:16], v[2:3], v[21:22], v[15:16]
	v_fma_f64 v[17:18], -v[0:1], v[21:22], v[17:18]
	global_load_dwordx4 v[0:3], v[26:27], off
	v_lshlrev_b64 v[26:27], 4, v[4:5]
	v_add_u32_e32 v4, s5, v25
	v_add_co_u32_e32 v26, vcc, s8, v26
	v_addc_co_u32_e32 v27, vcc, v28, v27, vcc
	global_store_dwordx4 v[6:7], v[15:18], off
	global_load_dwordx4 v[15:18], v[26:27], off
	s_waitcnt vmcnt(0)
	v_fma_f64 v[6:7], -v[0:1], v[11:12], v[15:16]
	v_fma_f64 v[15:16], -v[2:3], v[11:12], v[17:18]
	v_fma_f64 v[11:12], v[2:3], v[13:14], v[6:7]
	v_fma_f64 v[13:14], -v[0:1], v[13:14], v[15:16]
	v_lshlrev_b64 v[6:7], 4, v[4:5]
	v_mov_b32_e32 v15, s9
	v_add_co_u32_e32 v6, vcc, s8, v6
	v_addc_co_u32_e32 v7, vcc, v15, v7, vcc
	global_store_dwordx4 v[26:27], v[11:14], off
	global_load_dwordx4 v[11:14], v[6:7], off
	s_waitcnt vmcnt(0)
	v_fma_f64 v[11:12], -v[0:1], v[19:20], v[11:12]
	v_fma_f64 v[13:14], -v[2:3], v[19:20], v[13:14]
	v_fma_f64 v[11:12], v[2:3], v[21:22], v[11:12]
	v_fma_f64 v[13:14], -v[0:1], v[21:22], v[13:14]
                                        ; implicit-def: $vgpr0_vgpr1
	global_store_dwordx4 v[6:7], v[11:14], off
                                        ; implicit-def: $vgpr6
.LBB330_27:                             ;   in Loop: Header=BB330_25 Depth=1
	s_or_saveexec_b64 s[2:3], s[2:3]
	v_mov_b32_e32 v4, s6
	s_xor_b64 exec, exec, s[2:3]
	s_cbranch_execz .LBB330_24
; %bb.28:                               ;   in Loop: Header=BB330_25 Depth=1
	v_add_u32_e32 v7, v47, v8
	v_add_u32_e32 v4, s4, v7
	v_lshlrev_b64 v[11:12], 4, v[4:5]
	v_mov_b32_e32 v4, s9
	v_add_co_u32_e32 v19, vcc, s8, v11
	v_addc_co_u32_e32 v20, vcc, v4, v12, vcc
	v_add_u32_e32 v4, s4, v6
	v_lshlrev_b64 v[11:12], 4, v[4:5]
	v_mov_b32_e32 v4, s9
	v_add_co_u32_e32 v21, vcc, s8, v11
	v_addc_co_u32_e32 v22, vcc, v4, v12, vcc
	global_load_dwordx4 v[11:14], v[19:20], off
	global_load_dwordx4 v[15:18], v[21:22], off
	v_add_u32_e32 v4, s5, v7
	v_lshlrev_b64 v[19:20], 4, v[4:5]
	v_add_u32_e32 v4, s5, v6
	v_mov_b32_e32 v23, s9
	v_lshlrev_b64 v[6:7], 4, v[4:5]
	v_add_co_u32_e32 v19, vcc, s8, v19
	v_addc_co_u32_e32 v20, vcc, v23, v20, vcc
	v_mov_b32_e32 v25, s9
	v_add_co_u32_e32 v6, vcc, s8, v6
	v_addc_co_u32_e32 v7, vcc, v25, v7, vcc
	v_mov_b32_e32 v4, s24
	s_waitcnt vmcnt(0)
	v_fma_f64 v[15:16], -v[0:1], v[11:12], v[15:16]
	v_fma_f64 v[17:18], -v[2:3], v[11:12], v[17:18]
	v_fma_f64 v[11:12], v[2:3], v[13:14], v[15:16]
	v_fma_f64 v[13:14], -v[0:1], v[13:14], v[17:18]
	global_store_dwordx4 v[21:22], v[11:14], off
	global_load_dwordx4 v[11:14], v[19:20], off
	s_nop 0
	global_load_dwordx4 v[15:18], v[6:7], off
	s_waitcnt vmcnt(0)
	v_fma_f64 v[15:16], -v[0:1], v[11:12], v[15:16]
	v_fma_f64 v[17:18], -v[2:3], v[11:12], v[17:18]
	v_fma_f64 v[11:12], v[2:3], v[13:14], v[15:16]
	v_fma_f64 v[13:14], -v[0:1], v[13:14], v[17:18]
	global_store_dwordx4 v[6:7], v[11:14], off
	s_branch .LBB330_24
.LBB330_29:
	s_endpgm
	.section	.rodata,"a",@progbits
	.p2align	6, 0x0
	.amdhsa_kernel _ZN9rocsparseL19gtsv_LBM_rhs_kernelILj256ELj64ELj2E21rocsparse_complex_numIdEEEviiiPKT2_S5_S5_PS3_S5_PKi
		.amdhsa_group_segment_fixed_size 0
		.amdhsa_private_segment_fixed_size 0
		.amdhsa_kernarg_size 64
		.amdhsa_user_sgpr_count 6
		.amdhsa_user_sgpr_private_segment_buffer 1
		.amdhsa_user_sgpr_dispatch_ptr 0
		.amdhsa_user_sgpr_queue_ptr 0
		.amdhsa_user_sgpr_kernarg_segment_ptr 1
		.amdhsa_user_sgpr_dispatch_id 0
		.amdhsa_user_sgpr_flat_scratch_init 0
		.amdhsa_user_sgpr_private_segment_size 0
		.amdhsa_uses_dynamic_stack 0
		.amdhsa_system_sgpr_private_segment_wavefront_offset 0
		.amdhsa_system_sgpr_workgroup_id_x 1
		.amdhsa_system_sgpr_workgroup_id_y 1
		.amdhsa_system_sgpr_workgroup_id_z 0
		.amdhsa_system_sgpr_workgroup_info 0
		.amdhsa_system_vgpr_workitem_id 0
		.amdhsa_next_free_vgpr 71
		.amdhsa_next_free_sgpr 32
		.amdhsa_reserve_vcc 1
		.amdhsa_reserve_flat_scratch 0
		.amdhsa_float_round_mode_32 0
		.amdhsa_float_round_mode_16_64 0
		.amdhsa_float_denorm_mode_32 3
		.amdhsa_float_denorm_mode_16_64 3
		.amdhsa_dx10_clamp 1
		.amdhsa_ieee_mode 1
		.amdhsa_fp16_overflow 0
		.amdhsa_exception_fp_ieee_invalid_op 0
		.amdhsa_exception_fp_denorm_src 0
		.amdhsa_exception_fp_ieee_div_zero 0
		.amdhsa_exception_fp_ieee_overflow 0
		.amdhsa_exception_fp_ieee_underflow 0
		.amdhsa_exception_fp_ieee_inexact 0
		.amdhsa_exception_int_div_zero 0
	.end_amdhsa_kernel
	.section	.text._ZN9rocsparseL19gtsv_LBM_rhs_kernelILj256ELj64ELj2E21rocsparse_complex_numIdEEEviiiPKT2_S5_S5_PS3_S5_PKi,"axG",@progbits,_ZN9rocsparseL19gtsv_LBM_rhs_kernelILj256ELj64ELj2E21rocsparse_complex_numIdEEEviiiPKT2_S5_S5_PS3_S5_PKi,comdat
.Lfunc_end330:
	.size	_ZN9rocsparseL19gtsv_LBM_rhs_kernelILj256ELj64ELj2E21rocsparse_complex_numIdEEEviiiPKT2_S5_S5_PS3_S5_PKi, .Lfunc_end330-_ZN9rocsparseL19gtsv_LBM_rhs_kernelILj256ELj64ELj2E21rocsparse_complex_numIdEEEviiiPKT2_S5_S5_PS3_S5_PKi
                                        ; -- End function
	.set _ZN9rocsparseL19gtsv_LBM_rhs_kernelILj256ELj64ELj2E21rocsparse_complex_numIdEEEviiiPKT2_S5_S5_PS3_S5_PKi.num_vgpr, 71
	.set _ZN9rocsparseL19gtsv_LBM_rhs_kernelILj256ELj64ELj2E21rocsparse_complex_numIdEEEviiiPKT2_S5_S5_PS3_S5_PKi.num_agpr, 0
	.set _ZN9rocsparseL19gtsv_LBM_rhs_kernelILj256ELj64ELj2E21rocsparse_complex_numIdEEEviiiPKT2_S5_S5_PS3_S5_PKi.numbered_sgpr, 32
	.set _ZN9rocsparseL19gtsv_LBM_rhs_kernelILj256ELj64ELj2E21rocsparse_complex_numIdEEEviiiPKT2_S5_S5_PS3_S5_PKi.num_named_barrier, 0
	.set _ZN9rocsparseL19gtsv_LBM_rhs_kernelILj256ELj64ELj2E21rocsparse_complex_numIdEEEviiiPKT2_S5_S5_PS3_S5_PKi.private_seg_size, 0
	.set _ZN9rocsparseL19gtsv_LBM_rhs_kernelILj256ELj64ELj2E21rocsparse_complex_numIdEEEviiiPKT2_S5_S5_PS3_S5_PKi.uses_vcc, 1
	.set _ZN9rocsparseL19gtsv_LBM_rhs_kernelILj256ELj64ELj2E21rocsparse_complex_numIdEEEviiiPKT2_S5_S5_PS3_S5_PKi.uses_flat_scratch, 0
	.set _ZN9rocsparseL19gtsv_LBM_rhs_kernelILj256ELj64ELj2E21rocsparse_complex_numIdEEEviiiPKT2_S5_S5_PS3_S5_PKi.has_dyn_sized_stack, 0
	.set _ZN9rocsparseL19gtsv_LBM_rhs_kernelILj256ELj64ELj2E21rocsparse_complex_numIdEEEviiiPKT2_S5_S5_PS3_S5_PKi.has_recursion, 0
	.set _ZN9rocsparseL19gtsv_LBM_rhs_kernelILj256ELj64ELj2E21rocsparse_complex_numIdEEEviiiPKT2_S5_S5_PS3_S5_PKi.has_indirect_call, 0
	.section	.AMDGPU.csdata,"",@progbits
; Kernel info:
; codeLenInByte = 3396
; TotalNumSgprs: 36
; NumVgprs: 71
; ScratchSize: 0
; MemoryBound: 1
; FloatMode: 240
; IeeeMode: 1
; LDSByteSize: 0 bytes/workgroup (compile time only)
; SGPRBlocks: 4
; VGPRBlocks: 17
; NumSGPRsForWavesPerEU: 36
; NumVGPRsForWavesPerEU: 71
; Occupancy: 3
; WaveLimiterHint : 0
; COMPUTE_PGM_RSRC2:SCRATCH_EN: 0
; COMPUTE_PGM_RSRC2:USER_SGPR: 6
; COMPUTE_PGM_RSRC2:TRAP_HANDLER: 0
; COMPUTE_PGM_RSRC2:TGID_X_EN: 1
; COMPUTE_PGM_RSRC2:TGID_Y_EN: 1
; COMPUTE_PGM_RSRC2:TGID_Z_EN: 0
; COMPUTE_PGM_RSRC2:TIDIG_COMP_CNT: 0
	.section	.text._ZN9rocsparseL19gtsv_LBM_rhs_kernelILj256ELj64ELj1E21rocsparse_complex_numIdEEEviiiPKT2_S5_S5_PS3_S5_PKi,"axG",@progbits,_ZN9rocsparseL19gtsv_LBM_rhs_kernelILj256ELj64ELj1E21rocsparse_complex_numIdEEEviiiPKT2_S5_S5_PS3_S5_PKi,comdat
	.globl	_ZN9rocsparseL19gtsv_LBM_rhs_kernelILj256ELj64ELj1E21rocsparse_complex_numIdEEEviiiPKT2_S5_S5_PS3_S5_PKi ; -- Begin function _ZN9rocsparseL19gtsv_LBM_rhs_kernelILj256ELj64ELj1E21rocsparse_complex_numIdEEEviiiPKT2_S5_S5_PS3_S5_PKi
	.p2align	8
	.type	_ZN9rocsparseL19gtsv_LBM_rhs_kernelILj256ELj64ELj1E21rocsparse_complex_numIdEEEviiiPKT2_S5_S5_PS3_S5_PKi,@function
_ZN9rocsparseL19gtsv_LBM_rhs_kernelILj256ELj64ELj1E21rocsparse_complex_numIdEEEviiiPKT2_S5_S5_PS3_S5_PKi: ; @_ZN9rocsparseL19gtsv_LBM_rhs_kernelILj256ELj64ELj1E21rocsparse_complex_numIdEEEviiiPKT2_S5_S5_PS3_S5_PKi
; %bb.0:
	s_load_dword s24, s[4:5], 0x0
	v_lshl_or_b32 v24, s6, 8, v0
	s_waitcnt lgkmcnt(0)
	s_lshr_b32 s22, s24, 6
	v_cmp_gt_i32_e32 vcc, s22, v24
	s_and_saveexec_b64 s[0:1], vcc
	s_cbranch_execz .LBB331_29
; %bb.1:
	s_load_dwordx4 s[8:11], s[4:5], 0x28
	s_load_dwordx2 s[16:17], s[4:5], 0x38
	s_cmp_lt_i32 s24, 1
	s_mul_i32 s23, s24, s7
	s_cbranch_scc1 .LBB331_21
; %bb.2:
	s_load_dwordx4 s[12:15], s[4:5], 0x10
	s_load_dwordx2 s[6:7], s[4:5], 0x20
	v_ashrrev_i32_e32 v25, 31, v24
	v_lshlrev_b64 v[0:1], 4, v[24:25]
	v_add_u32_e32 v40, s22, v24
	s_waitcnt lgkmcnt(0)
	v_mov_b32_e32 v2, s15
	v_add_co_u32_e32 v0, vcc, s14, v0
	v_addc_co_u32_e32 v1, vcc, v2, v1, vcc
	global_load_dwordx4 v[0:3], v[0:1], off
	s_mul_i32 s25, s22, 63
	s_mul_i32 s26, s22, 62
	s_lshl_b32 s27, s22, 1
	v_add_u32_e32 v41, s22, v40
	v_add_u32_e32 v42, s23, v40
	v_mov_b32_e32 v26, 0
	s_mov_b64 s[18:19], 0
	v_mov_b32_e32 v43, s7
	v_mov_b32_e32 v39, 0
	s_branch .LBB331_5
.LBB331_3:                              ;   in Loop: Header=BB331_5 Depth=1
	s_or_b64 exec, exec, s[4:5]
	v_fma_f64 v[0:1], v[6:7], v[8:9], v[30:31]
	v_fma_f64 v[2:3], v[4:5], v[8:9], v[28:29]
	v_mul_f64 v[4:5], v[16:17], -v[0:1]
	v_mul_f64 v[6:7], v[16:17], v[2:3]
	v_fma_f64 v[2:3], v[2:3], v[10:11], v[4:5]
	v_fma_f64 v[4:5], v[0:1], v[10:11], v[6:7]
	v_mov_b32_e32 v10, s22
	v_add_f64 v[0:1], v[12:13], -v[2:3]
	v_add_f64 v[2:3], v[14:15], -v[4:5]
.LBB331_4:                              ;   in Loop: Header=BB331_5 Depth=1
	s_or_b64 exec, exec, s[2:3]
	v_add_u32_e32 v39, v10, v39
	v_cmp_le_i32_e32 vcc, s24, v39
	s_or_b64 s[18:19], vcc, s[18:19]
	s_andn2_b64 exec, exec, s[18:19]
	s_cbranch_execz .LBB331_20
.LBB331_5:                              ; =>This Inner Loop Header: Depth=1
	v_add_u32_e32 v27, v39, v24
	v_ashrrev_i32_e32 v28, 31, v27
	v_lshlrev_b64 v[4:5], 4, v[27:28]
	v_mov_b32_e32 v12, 0
	v_add_co_u32_e32 v4, vcc, s6, v4
	v_addc_co_u32_e32 v5, vcc, v43, v5, vcc
	global_load_dwordx4 v[8:11], v[4:5], off
	v_mov_b32_e32 v4, 0
	v_mov_b32_e32 v6, 0
	v_cmp_gt_u32_e64 s[0:1], s25, v39
	v_mov_b32_e32 v13, 0
	v_mov_b32_e32 v5, 0
	;; [unrolled: 1-line block ×3, first 2 shown]
	v_add_u32_e32 v22, v40, v39
	s_and_saveexec_b64 s[2:3], s[0:1]
	s_cbranch_execz .LBB331_7
; %bb.6:                                ;   in Loop: Header=BB331_5 Depth=1
	v_ashrrev_i32_e32 v23, 31, v22
	v_lshlrev_b64 v[4:5], 4, v[22:23]
	v_mov_b32_e32 v6, s13
	v_add_co_u32_e32 v4, vcc, s12, v4
	v_addc_co_u32_e32 v5, vcc, v6, v5, vcc
	global_load_dwordx4 v[4:7], v[4:5], off
.LBB331_7:                              ;   in Loop: Header=BB331_5 Depth=1
	s_or_b64 exec, exec, s[2:3]
	v_mov_b32_e32 v14, 0
	v_mov_b32_e32 v15, 0
	s_and_saveexec_b64 s[2:3], s[0:1]
	s_cbranch_execz .LBB331_9
; %bb.8:                                ;   in Loop: Header=BB331_5 Depth=1
	v_ashrrev_i32_e32 v23, 31, v22
	v_lshlrev_b64 v[12:13], 4, v[22:23]
	v_mov_b32_e32 v14, s15
	v_add_co_u32_e32 v12, vcc, s14, v12
	v_addc_co_u32_e32 v13, vcc, v14, v13, vcc
	global_load_dwordx4 v[12:15], v[12:13], off
.LBB331_9:                              ;   in Loop: Header=BB331_5 Depth=1
	s_or_b64 exec, exec, s[2:3]
	v_mov_b32_e32 v20, 0
	v_mov_b32_e32 v16, 0
	;; [unrolled: 1-line block ×6, first 2 shown]
	s_and_saveexec_b64 s[2:3], s[0:1]
	s_cbranch_execz .LBB331_11
; %bb.10:                               ;   in Loop: Header=BB331_5 Depth=1
	v_ashrrev_i32_e32 v23, 31, v22
	v_lshlrev_b64 v[16:17], 4, v[22:23]
	v_mov_b32_e32 v18, s7
	v_add_co_u32_e32 v16, vcc, s6, v16
	v_addc_co_u32_e32 v17, vcc, v18, v17, vcc
	global_load_dwordx4 v[16:19], v[16:17], off
.LBB331_11:                             ;   in Loop: Header=BB331_5 Depth=1
	s_or_b64 exec, exec, s[2:3]
	v_mov_b32_e32 v22, 0
	v_mov_b32_e32 v23, 0
	v_cmp_gt_u32_e64 s[2:3], s26, v39
	s_and_saveexec_b64 s[4:5], s[2:3]
	s_cbranch_execz .LBB331_13
; %bb.12:                               ;   in Loop: Header=BB331_5 Depth=1
	v_add_u32_e32 v20, v41, v39
	v_ashrrev_i32_e32 v21, 31, v20
	v_lshlrev_b64 v[20:21], 4, v[20:21]
	v_mov_b32_e32 v22, s13
	v_add_co_u32_e32 v20, vcc, s12, v20
	v_addc_co_u32_e32 v21, vcc, v22, v21, vcc
	global_load_dwordx4 v[20:23], v[20:21], off
.LBB331_13:                             ;   in Loop: Header=BB331_5 Depth=1
	s_or_b64 exec, exec, s[4:5]
	v_lshlrev_b64 v[28:29], 2, v[27:28]
	v_mov_b32_e32 v25, s17
	v_add_co_u32_e32 v28, vcc, s16, v28
	v_addc_co_u32_e32 v29, vcc, v25, v29, vcc
	global_load_dword v25, v[28:29], off
	s_waitcnt vmcnt(1)
	v_mul_f64 v[28:29], v[10:11], -v[6:7]
	v_mul_f64 v[30:31], v[10:11], v[4:5]
	v_cmp_ne_u32_e32 vcc, s25, v39
	s_waitcnt vmcnt(0)
	v_cmp_ne_u32_e64 s[4:5], 1, v25
	s_and_b64 s[4:5], vcc, s[4:5]
	v_add_u32_e32 v25, s23, v27
	s_and_saveexec_b64 s[20:21], s[4:5]
	s_xor_b64 s[20:21], exec, s[20:21]
	s_cbranch_execz .LBB331_17
; %bb.14:                               ;   in Loop: Header=BB331_5 Depth=1
	v_mul_f64 v[32:33], v[0:1], v[14:15]
	v_mul_f64 v[34:35], v[14:15], -v[2:3]
	v_fma_f64 v[30:31], v[6:7], v[8:9], v[30:31]
	v_fma_f64 v[27:28], v[4:5], v[8:9], v[28:29]
	v_lshlrev_b64 v[46:47], 4, v[25:26]
	v_add_u32_e32 v25, v42, v39
	v_mov_b32_e32 v51, s9
	v_fma_f64 v[32:33], v[2:3], v[12:13], v[32:33]
	v_fma_f64 v[34:35], v[0:1], v[12:13], v[34:35]
	v_add_f64 v[29:30], v[32:33], -v[30:31]
	v_add_f64 v[27:28], v[34:35], -v[27:28]
	v_mul_f64 v[31:32], v[29:30], v[29:30]
	v_fma_f64 v[31:32], v[27:28], v[27:28], v[31:32]
	v_div_scale_f64 v[37:38], s[4:5], v[31:32], v[31:32], 1.0
	v_div_scale_f64 v[44:45], vcc, 1.0, v[31:32], 1.0
	v_add_co_u32_e64 v50, s[4:5], s8, v46
	v_addc_co_u32_e64 v51, s[4:5], v51, v47, s[4:5]
	v_rcp_f64_e32 v[33:34], v[37:38]
	v_fma_f64 v[35:36], -v[37:38], v[33:34], 1.0
	v_fma_f64 v[33:34], v[33:34], v[35:36], v[33:34]
	v_fma_f64 v[35:36], -v[37:38], v[33:34], 1.0
	v_fma_f64 v[48:49], v[33:34], v[35:36], v[33:34]
	v_lshlrev_b64 v[33:34], 4, v[25:26]
	v_mov_b32_e32 v35, s9
	v_add_co_u32_e64 v54, s[4:5], s8, v33
	v_addc_co_u32_e64 v55, s[4:5], v35, v34, s[4:5]
	global_load_dwordx4 v[33:36], v[50:51], off
	v_mul_f64 v[52:53], v[44:45], v[48:49]
	v_fma_f64 v[37:38], -v[37:38], v[52:53], v[44:45]
	global_load_dwordx4 v[44:47], v[54:55], off
	v_div_fmas_f64 v[37:38], v[37:38], v[48:49], v[52:53]
	v_fma_f64 v[48:49], v[27:28], 0, -v[29:30]
	v_fma_f64 v[29:30], v[29:30], 0, v[27:28]
	v_div_fixup_f64 v[31:32], v[37:38], v[31:32], 1.0
	v_mul_f64 v[27:28], v[48:49], v[31:32]
	v_mul_f64 v[29:30], v[29:30], v[31:32]
	s_waitcnt vmcnt(1)
	v_mul_f64 v[31:32], v[27:28], v[33:34]
	v_mul_f64 v[48:49], v[27:28], -v[35:36]
	v_fma_f64 v[31:32], v[35:36], v[29:30], v[31:32]
	v_fma_f64 v[33:34], v[33:34], v[29:30], v[48:49]
	s_waitcnt vmcnt(0)
	v_mul_f64 v[37:38], v[27:28], v[44:45]
	v_mul_f64 v[52:53], v[27:28], -v[46:47]
	v_mul_f64 v[48:49], v[12:13], v[31:32]
	v_fma_f64 v[35:36], v[46:47], v[29:30], v[37:38]
	v_mul_f64 v[46:47], v[31:32], -v[14:15]
	v_fma_f64 v[37:38], v[44:45], v[29:30], v[52:53]
	v_fma_f64 v[14:15], v[14:15], v[33:34], v[48:49]
	v_mul_f64 v[48:49], v[31:32], -v[4:5]
	v_mul_f64 v[44:45], v[35:36], -v[10:11]
	v_mul_f64 v[52:53], v[8:9], v[35:36]
	v_fma_f64 v[12:13], v[12:13], v[33:34], v[46:47]
	v_mul_f64 v[46:47], v[6:7], v[31:32]
	v_fma_f64 v[48:49], -v[6:7], v[33:34], v[48:49]
	v_fma_f64 v[8:9], v[8:9], v[37:38], v[44:45]
	v_fma_f64 v[10:11], v[10:11], v[37:38], v[52:53]
	v_mul_f64 v[44:45], v[35:36], -v[2:3]
	v_mul_f64 v[52:53], v[0:1], v[35:36]
	v_fma_f64 v[46:47], -v[4:5], v[33:34], v[46:47]
	v_add_f64 v[12:13], v[12:13], -v[8:9]
	v_add_f64 v[14:15], v[14:15], -v[10:11]
	v_fma_f64 v[44:45], v[0:1], v[37:38], v[44:45]
	v_fma_f64 v[52:53], v[2:3], v[37:38], v[52:53]
	v_mov_b32_e32 v10, 0
	v_mov_b32_e32 v8, 0
	;; [unrolled: 1-line block ×4, first 2 shown]
	v_add_f64 v[44:45], v[46:47], v[44:45]
	v_add_f64 v[46:47], v[48:49], v[52:53]
	global_store_dwordx4 v[50:51], v[12:15], off
	global_store_dwordx4 v[54:55], v[44:47], off
	s_and_saveexec_b64 s[4:5], s[2:3]
	s_cbranch_execz .LBB331_16
; %bb.15:                               ;   in Loop: Header=BB331_5 Depth=1
	v_add_u32_e32 v12, v41, v39
	v_add_u32_e32 v25, s23, v12
	v_lshlrev_b64 v[8:9], 4, v[25:26]
	v_ashrrev_i32_e32 v13, 31, v12
	v_mov_b32_e32 v10, s9
	v_add_co_u32_e32 v44, vcc, s8, v8
	v_lshlrev_b64 v[12:13], 4, v[12:13]
	v_addc_co_u32_e32 v45, vcc, v10, v9, vcc
	v_mov_b32_e32 v14, s15
	v_add_co_u32_e32 v12, vcc, s14, v12
	v_addc_co_u32_e32 v13, vcc, v14, v13, vcc
	global_load_dwordx4 v[8:11], v[44:45], off
	v_mul_f64 v[46:47], v[2:3], -v[22:23]
	global_load_dwordx4 v[12:15], v[12:13], off
	v_mul_f64 v[48:49], v[2:3], v[20:21]
	v_mul_f64 v[50:51], v[22:23], -v[4:5]
	v_mul_f64 v[52:53], v[6:7], v[22:23]
	v_mul_f64 v[54:55], v[0:1], v[22:23]
	v_mul_f64 v[56:57], v[22:23], -v[2:3]
	v_fma_f64 v[46:47], v[20:21], v[0:1], v[46:47]
	v_fma_f64 v[22:23], v[22:23], v[0:1], v[48:49]
	v_fma_f64 v[6:7], -v[6:7], v[20:21], v[50:51]
	v_fma_f64 v[4:5], -v[4:5], v[20:21], v[52:53]
	v_fma_f64 v[2:3], v[2:3], v[20:21], v[54:55]
	v_fma_f64 v[0:1], v[0:1], v[20:21], v[56:57]
	v_mul_f64 v[20:21], v[18:19], v[46:47]
	v_mul_f64 v[18:19], v[18:19], -v[22:23]
	v_mul_f64 v[48:49], v[6:7], v[31:32]
	v_mul_f64 v[31:32], v[31:32], -v[4:5]
	v_mul_f64 v[50:51], v[35:36], -v[2:3]
	v_mul_f64 v[35:36], v[0:1], v[35:36]
	v_fma_f64 v[20:21], v[22:23], v[16:17], v[20:21]
	v_fma_f64 v[16:17], v[46:47], v[16:17], v[18:19]
	v_fma_f64 v[4:5], -v[4:5], v[33:34], v[48:49]
	v_fma_f64 v[6:7], -v[6:7], v[33:34], v[31:32]
	v_fma_f64 v[0:1], v[0:1], v[37:38], v[50:51]
	v_fma_f64 v[2:3], v[2:3], v[37:38], v[35:36]
	v_mul_f64 v[18:19], v[27:28], -v[20:21]
	v_mul_f64 v[22:23], v[27:28], v[16:17]
	v_add_f64 v[0:1], v[4:5], -v[0:1]
	v_add_f64 v[2:3], v[6:7], -v[2:3]
	v_fma_f64 v[4:5], v[16:17], v[29:30], v[18:19]
	v_fma_f64 v[6:7], v[20:21], v[29:30], v[22:23]
	s_waitcnt vmcnt(1)
	v_add_f64 v[0:1], v[0:1], v[8:9]
	v_add_f64 v[2:3], v[2:3], v[10:11]
	s_waitcnt vmcnt(0)
	v_add_f64 v[8:9], v[12:13], -v[4:5]
	v_add_f64 v[10:11], v[14:15], -v[6:7]
	global_store_dwordx4 v[44:45], v[0:3], off
.LBB331_16:                             ;   in Loop: Header=BB331_5 Depth=1
	s_or_b64 exec, exec, s[4:5]
	v_mov_b32_e32 v2, v10
	v_mov_b32_e32 v0, v8
	;; [unrolled: 1-line block ×4, first 2 shown]
                                        ; implicit-def: $vgpr4_vgpr5
                                        ; implicit-def: $vgpr12_vgpr13
                                        ; implicit-def: $vgpr8_vgpr9
                                        ; implicit-def: $vgpr28_vgpr29
                                        ; implicit-def: $vgpr30_vgpr31
.LBB331_17:                             ;   in Loop: Header=BB331_5 Depth=1
	s_or_saveexec_b64 s[2:3], s[20:21]
	v_mov_b32_e32 v10, s27
	s_xor_b64 exec, exec, s[2:3]
	s_cbranch_execz .LBB331_4
; %bb.18:                               ;   in Loop: Header=BB331_5 Depth=1
	v_mul_f64 v[10:11], v[2:3], v[2:3]
	v_lshlrev_b64 v[18:19], 4, v[25:26]
	v_mov_b32_e32 v20, s9
	v_add_co_u32_e32 v32, vcc, s8, v18
	v_addc_co_u32_e32 v33, vcc, v20, v19, vcc
	global_load_dwordx4 v[18:21], v[32:33], off
	v_fma_f64 v[10:11], v[0:1], v[0:1], v[10:11]
	v_div_scale_f64 v[16:17], s[4:5], v[10:11], v[10:11], 1.0
	v_rcp_f64_e32 v[22:23], v[16:17]
	v_fma_f64 v[34:35], -v[16:17], v[22:23], 1.0
	v_fma_f64 v[22:23], v[22:23], v[34:35], v[22:23]
	v_div_scale_f64 v[34:35], vcc, 1.0, v[10:11], 1.0
	v_fma_f64 v[36:37], -v[16:17], v[22:23], 1.0
	v_fma_f64 v[22:23], v[22:23], v[36:37], v[22:23]
	v_mul_f64 v[36:37], v[34:35], v[22:23]
	v_fma_f64 v[16:17], -v[16:17], v[36:37], v[34:35]
	v_div_fmas_f64 v[16:17], v[16:17], v[22:23], v[36:37]
	v_fma_f64 v[22:23], v[0:1], 0, -v[2:3]
	v_fma_f64 v[0:1], v[2:3], 0, v[0:1]
	v_div_fixup_f64 v[10:11], v[16:17], v[10:11], 1.0
	v_mul_f64 v[16:17], v[22:23], v[10:11]
	v_mul_f64 v[10:11], v[0:1], v[10:11]
	s_waitcnt vmcnt(0)
	v_mul_f64 v[0:1], v[16:17], -v[20:21]
	v_mul_f64 v[2:3], v[16:17], v[18:19]
	v_fma_f64 v[0:1], v[18:19], v[10:11], v[0:1]
	v_fma_f64 v[2:3], v[20:21], v[10:11], v[2:3]
	global_store_dwordx4 v[32:33], v[0:3], off
	s_and_saveexec_b64 s[4:5], s[0:1]
	s_cbranch_execz .LBB331_3
; %bb.19:                               ;   in Loop: Header=BB331_5 Depth=1
	v_add_u32_e32 v25, v42, v39
	v_lshlrev_b64 v[18:19], 4, v[25:26]
	v_mov_b32_e32 v20, s9
	v_add_co_u32_e32 v22, vcc, s8, v18
	v_addc_co_u32_e32 v23, vcc, v20, v19, vcc
	global_load_dwordx4 v[18:21], v[22:23], off
	s_waitcnt vmcnt(0)
	v_fma_f64 v[18:19], -v[4:5], v[0:1], v[18:19]
	v_fma_f64 v[20:21], -v[6:7], v[0:1], v[20:21]
	v_fma_f64 v[0:1], v[6:7], v[2:3], v[18:19]
	v_fma_f64 v[2:3], -v[4:5], v[2:3], v[20:21]
	global_store_dwordx4 v[22:23], v[0:3], off
	s_branch .LBB331_3
.LBB331_20:
	s_or_b64 exec, exec, s[18:19]
	s_branch .LBB331_22
.LBB331_21:
	v_mov_b32_e32 v39, 0
.LBB331_22:
	v_subrev_u32_e32 v2, s22, v39
	v_add_u32_e32 v0, v2, v24
	v_ashrrev_i32_e32 v1, 31, v0
	v_lshlrev_b64 v[0:1], 2, v[0:1]
	s_waitcnt lgkmcnt(0)
	v_mov_b32_e32 v3, s17
	v_add_co_u32_e32 v0, vcc, s16, v0
	v_addc_co_u32_e32 v1, vcc, v3, v1, vcc
	s_waitcnt vmcnt(0)
	buffer_wbinvl1_vol
	global_load_dword v0, v[0:1], off
	s_waitcnt vmcnt(0)
	v_mul_lo_u32 v0, v0, s22
	v_sub_u32_e32 v8, v2, v0
	v_cmp_lt_i32_e32 vcc, -1, v8
	s_and_b64 exec, exec, vcc
	s_cbranch_execz .LBB331_29
; %bb.23:
	s_add_i32 s0, s23, s22
	v_add_u32_e32 v9, s0, v24
	s_lshl_b32 s4, s22, 1
	s_mov_b64 s[0:1], 0
	v_mov_b32_e32 v10, s17
	v_mov_b32_e32 v11, s11
	;; [unrolled: 1-line block ×3, first 2 shown]
	s_branch .LBB331_25
.LBB331_24:                             ;   in Loop: Header=BB331_25 Depth=1
	s_or_b64 exec, exec, s[2:3]
	v_sub_u32_e32 v8, v8, v4
	v_cmp_gt_i32_e32 vcc, 0, v8
	s_or_b64 s[0:1], vcc, s[0:1]
	s_andn2_b64 exec, exec, s[0:1]
	s_cbranch_execz .LBB331_29
.LBB331_25:                             ; =>This Inner Loop Header: Depth=1
	v_add_u32_e32 v6, v8, v24
	v_ashrrev_i32_e32 v7, 31, v6
	s_waitcnt vmcnt(0)
	v_lshlrev_b64 v[0:1], 2, v[6:7]
	v_add_co_u32_e32 v0, vcc, s16, v0
	v_addc_co_u32_e32 v1, vcc, v10, v1, vcc
	global_load_dword v4, v[0:1], off
	v_lshlrev_b64 v[0:1], 4, v[6:7]
	v_add_co_u32_e32 v0, vcc, s10, v0
	v_addc_co_u32_e32 v1, vcc, v11, v1, vcc
	global_load_dwordx4 v[0:3], v[0:1], off
	s_waitcnt vmcnt(1)
	v_cmp_ne_u32_e32 vcc, 1, v4
	s_and_saveexec_b64 s[2:3], vcc
	s_xor_b64 s[2:3], exec, s[2:3]
	s_cbranch_execz .LBB331_27
; %bb.26:                               ;   in Loop: Header=BB331_25 Depth=1
	v_add_u32_e32 v4, v9, v8
	v_lshlrev_b64 v[12:13], 4, v[4:5]
	v_mov_b32_e32 v4, s9
	v_add_co_u32_e32 v20, vcc, s8, v12
	v_addc_co_u32_e32 v21, vcc, v4, v13, vcc
	v_add_u32_e32 v4, s23, v6
	v_lshlrev_b64 v[6:7], 4, v[4:5]
	v_mov_b32_e32 v4, s9
	v_add_co_u32_e32 v6, vcc, s8, v6
	v_addc_co_u32_e32 v7, vcc, v4, v7, vcc
	global_load_dwordx4 v[12:15], v[20:21], off
	global_load_dwordx4 v[16:19], v[6:7], off
	v_subrev_u32_e32 v4, s22, v8
	v_add_u32_e32 v20, v4, v24
	v_ashrrev_i32_e32 v21, 31, v20
	v_add_u32_e32 v4, s23, v20
	v_lshlrev_b64 v[20:21], 4, v[20:21]
	v_mov_b32_e32 v25, s11
	v_lshlrev_b64 v[22:23], 4, v[4:5]
	v_mov_b32_e32 v26, s9
	s_waitcnt vmcnt(0)
	v_fma_f64 v[16:17], -v[0:1], v[12:13], v[16:17]
	v_fma_f64 v[18:19], -v[2:3], v[12:13], v[18:19]
	v_fma_f64 v[16:17], v[2:3], v[14:15], v[16:17]
	v_fma_f64 v[18:19], -v[0:1], v[14:15], v[18:19]
	v_add_co_u32_e32 v0, vcc, s10, v20
	v_addc_co_u32_e32 v1, vcc, v25, v21, vcc
	v_add_co_u32_e32 v20, vcc, s8, v22
	v_addc_co_u32_e32 v21, vcc, v26, v23, vcc
	global_store_dwordx4 v[6:7], v[16:19], off
	global_load_dwordx4 v[0:3], v[0:1], off
	s_nop 0
	global_load_dwordx4 v[16:19], v[20:21], off
	s_waitcnt vmcnt(0)
	v_fma_f64 v[6:7], -v[0:1], v[12:13], v[16:17]
	v_fma_f64 v[16:17], -v[2:3], v[12:13], v[18:19]
	v_fma_f64 v[12:13], v[2:3], v[14:15], v[6:7]
	v_fma_f64 v[14:15], -v[0:1], v[14:15], v[16:17]
                                        ; implicit-def: $vgpr6
                                        ; implicit-def: $vgpr0_vgpr1
	global_store_dwordx4 v[20:21], v[12:15], off
.LBB331_27:                             ;   in Loop: Header=BB331_25 Depth=1
	s_or_saveexec_b64 s[2:3], s[2:3]
	v_mov_b32_e32 v4, s4
	s_xor_b64 exec, exec, s[2:3]
	s_cbranch_execz .LBB331_24
; %bb.28:                               ;   in Loop: Header=BB331_25 Depth=1
	v_add_u32_e32 v4, v9, v8
	v_lshlrev_b64 v[12:13], 4, v[4:5]
	v_mov_b32_e32 v4, s9
	v_add_co_u32_e32 v20, vcc, s8, v12
	v_addc_co_u32_e32 v21, vcc, v4, v13, vcc
	v_add_u32_e32 v4, s23, v6
	v_lshlrev_b64 v[6:7], 4, v[4:5]
	v_mov_b32_e32 v4, s9
	v_add_co_u32_e32 v6, vcc, s8, v6
	v_addc_co_u32_e32 v7, vcc, v4, v7, vcc
	global_load_dwordx4 v[12:15], v[20:21], off
	global_load_dwordx4 v[16:19], v[6:7], off
	v_mov_b32_e32 v4, s22
	s_waitcnt vmcnt(0)
	v_fma_f64 v[16:17], -v[0:1], v[12:13], v[16:17]
	v_fma_f64 v[18:19], -v[2:3], v[12:13], v[18:19]
	v_fma_f64 v[12:13], v[2:3], v[14:15], v[16:17]
	v_fma_f64 v[14:15], -v[0:1], v[14:15], v[18:19]
	global_store_dwordx4 v[6:7], v[12:15], off
	s_branch .LBB331_24
.LBB331_29:
	s_endpgm
	.section	.rodata,"a",@progbits
	.p2align	6, 0x0
	.amdhsa_kernel _ZN9rocsparseL19gtsv_LBM_rhs_kernelILj256ELj64ELj1E21rocsparse_complex_numIdEEEviiiPKT2_S5_S5_PS3_S5_PKi
		.amdhsa_group_segment_fixed_size 0
		.amdhsa_private_segment_fixed_size 0
		.amdhsa_kernarg_size 64
		.amdhsa_user_sgpr_count 6
		.amdhsa_user_sgpr_private_segment_buffer 1
		.amdhsa_user_sgpr_dispatch_ptr 0
		.amdhsa_user_sgpr_queue_ptr 0
		.amdhsa_user_sgpr_kernarg_segment_ptr 1
		.amdhsa_user_sgpr_dispatch_id 0
		.amdhsa_user_sgpr_flat_scratch_init 0
		.amdhsa_user_sgpr_private_segment_size 0
		.amdhsa_uses_dynamic_stack 0
		.amdhsa_system_sgpr_private_segment_wavefront_offset 0
		.amdhsa_system_sgpr_workgroup_id_x 1
		.amdhsa_system_sgpr_workgroup_id_y 1
		.amdhsa_system_sgpr_workgroup_id_z 0
		.amdhsa_system_sgpr_workgroup_info 0
		.amdhsa_system_vgpr_workitem_id 0
		.amdhsa_next_free_vgpr 58
		.amdhsa_next_free_sgpr 28
		.amdhsa_reserve_vcc 1
		.amdhsa_reserve_flat_scratch 0
		.amdhsa_float_round_mode_32 0
		.amdhsa_float_round_mode_16_64 0
		.amdhsa_float_denorm_mode_32 3
		.amdhsa_float_denorm_mode_16_64 3
		.amdhsa_dx10_clamp 1
		.amdhsa_ieee_mode 1
		.amdhsa_fp16_overflow 0
		.amdhsa_exception_fp_ieee_invalid_op 0
		.amdhsa_exception_fp_denorm_src 0
		.amdhsa_exception_fp_ieee_div_zero 0
		.amdhsa_exception_fp_ieee_overflow 0
		.amdhsa_exception_fp_ieee_underflow 0
		.amdhsa_exception_fp_ieee_inexact 0
		.amdhsa_exception_int_div_zero 0
	.end_amdhsa_kernel
	.section	.text._ZN9rocsparseL19gtsv_LBM_rhs_kernelILj256ELj64ELj1E21rocsparse_complex_numIdEEEviiiPKT2_S5_S5_PS3_S5_PKi,"axG",@progbits,_ZN9rocsparseL19gtsv_LBM_rhs_kernelILj256ELj64ELj1E21rocsparse_complex_numIdEEEviiiPKT2_S5_S5_PS3_S5_PKi,comdat
.Lfunc_end331:
	.size	_ZN9rocsparseL19gtsv_LBM_rhs_kernelILj256ELj64ELj1E21rocsparse_complex_numIdEEEviiiPKT2_S5_S5_PS3_S5_PKi, .Lfunc_end331-_ZN9rocsparseL19gtsv_LBM_rhs_kernelILj256ELj64ELj1E21rocsparse_complex_numIdEEEviiiPKT2_S5_S5_PS3_S5_PKi
                                        ; -- End function
	.set _ZN9rocsparseL19gtsv_LBM_rhs_kernelILj256ELj64ELj1E21rocsparse_complex_numIdEEEviiiPKT2_S5_S5_PS3_S5_PKi.num_vgpr, 58
	.set _ZN9rocsparseL19gtsv_LBM_rhs_kernelILj256ELj64ELj1E21rocsparse_complex_numIdEEEviiiPKT2_S5_S5_PS3_S5_PKi.num_agpr, 0
	.set _ZN9rocsparseL19gtsv_LBM_rhs_kernelILj256ELj64ELj1E21rocsparse_complex_numIdEEEviiiPKT2_S5_S5_PS3_S5_PKi.numbered_sgpr, 28
	.set _ZN9rocsparseL19gtsv_LBM_rhs_kernelILj256ELj64ELj1E21rocsparse_complex_numIdEEEviiiPKT2_S5_S5_PS3_S5_PKi.num_named_barrier, 0
	.set _ZN9rocsparseL19gtsv_LBM_rhs_kernelILj256ELj64ELj1E21rocsparse_complex_numIdEEEviiiPKT2_S5_S5_PS3_S5_PKi.private_seg_size, 0
	.set _ZN9rocsparseL19gtsv_LBM_rhs_kernelILj256ELj64ELj1E21rocsparse_complex_numIdEEEviiiPKT2_S5_S5_PS3_S5_PKi.uses_vcc, 1
	.set _ZN9rocsparseL19gtsv_LBM_rhs_kernelILj256ELj64ELj1E21rocsparse_complex_numIdEEEviiiPKT2_S5_S5_PS3_S5_PKi.uses_flat_scratch, 0
	.set _ZN9rocsparseL19gtsv_LBM_rhs_kernelILj256ELj64ELj1E21rocsparse_complex_numIdEEEviiiPKT2_S5_S5_PS3_S5_PKi.has_dyn_sized_stack, 0
	.set _ZN9rocsparseL19gtsv_LBM_rhs_kernelILj256ELj64ELj1E21rocsparse_complex_numIdEEEviiiPKT2_S5_S5_PS3_S5_PKi.has_recursion, 0
	.set _ZN9rocsparseL19gtsv_LBM_rhs_kernelILj256ELj64ELj1E21rocsparse_complex_numIdEEEviiiPKT2_S5_S5_PS3_S5_PKi.has_indirect_call, 0
	.section	.AMDGPU.csdata,"",@progbits
; Kernel info:
; codeLenInByte = 2460
; TotalNumSgprs: 32
; NumVgprs: 58
; ScratchSize: 0
; MemoryBound: 1
; FloatMode: 240
; IeeeMode: 1
; LDSByteSize: 0 bytes/workgroup (compile time only)
; SGPRBlocks: 3
; VGPRBlocks: 14
; NumSGPRsForWavesPerEU: 32
; NumVGPRsForWavesPerEU: 58
; Occupancy: 4
; WaveLimiterHint : 0
; COMPUTE_PGM_RSRC2:SCRATCH_EN: 0
; COMPUTE_PGM_RSRC2:USER_SGPR: 6
; COMPUTE_PGM_RSRC2:TRAP_HANDLER: 0
; COMPUTE_PGM_RSRC2:TGID_X_EN: 1
; COMPUTE_PGM_RSRC2:TGID_Y_EN: 1
; COMPUTE_PGM_RSRC2:TGID_Z_EN: 0
; COMPUTE_PGM_RSRC2:TIDIG_COMP_CNT: 0
	.section	.text._ZN9rocsparseL29gtsv_spike_block_level_kernelILj256ELj64E21rocsparse_complex_numIdEEEviiiPT1_PKS3_S6_S4_S4_S4_S4_S4_,"axG",@progbits,_ZN9rocsparseL29gtsv_spike_block_level_kernelILj256ELj64E21rocsparse_complex_numIdEEEviiiPT1_PKS3_S6_S4_S4_S4_S4_S4_,comdat
	.globl	_ZN9rocsparseL29gtsv_spike_block_level_kernelILj256ELj64E21rocsparse_complex_numIdEEEviiiPT1_PKS3_S6_S4_S4_S4_S4_S4_ ; -- Begin function _ZN9rocsparseL29gtsv_spike_block_level_kernelILj256ELj64E21rocsparse_complex_numIdEEEviiiPT1_PKS3_S6_S4_S4_S4_S4_S4_
	.p2align	8
	.type	_ZN9rocsparseL29gtsv_spike_block_level_kernelILj256ELj64E21rocsparse_complex_numIdEEEviiiPT1_PKS3_S6_S4_S4_S4_S4_S4_,@function
_ZN9rocsparseL29gtsv_spike_block_level_kernelILj256ELj64E21rocsparse_complex_numIdEEEviiiPT1_PKS3_S6_S4_S4_S4_S4_S4_: ; @_ZN9rocsparseL29gtsv_spike_block_level_kernelILj256ELj64E21rocsparse_complex_numIdEEEviiiPT1_PKS3_S6_S4_S4_S4_S4_S4_
; %bb.0:
	s_load_dword s12, s[4:5], 0x0
	s_load_dwordx2 s[8:9], s[4:5], 0x18
	v_lshl_or_b32 v13, s6, 8, v0
	v_mov_b32_e32 v1, 0
	v_mov_b32_e32 v5, 0
	s_waitcnt lgkmcnt(0)
	s_lshr_b32 s20, s12, 6
	v_mov_b32_e32 v7, 0
	v_mov_b32_e32 v2, 0
	;; [unrolled: 1-line block ×4, first 2 shown]
	v_cmp_gt_i32_e64 s[0:1], s20, v13
	s_and_saveexec_b64 s[2:3], s[0:1]
	s_cbranch_execz .LBB332_2
; %bb.1:
	v_ashrrev_i32_e32 v14, 31, v13
	v_lshlrev_b64 v[3:4], 4, v[13:14]
	v_mov_b32_e32 v5, s9
	v_add_co_u32_e32 v3, vcc, s8, v3
	v_addc_co_u32_e32 v4, vcc, v5, v4, vcc
	global_load_dwordx4 v[5:8], v[3:4], off
.LBB332_2:
	s_or_b64 exec, exec, s[2:3]
	s_load_dwordx2 s[2:3], s[4:5], 0x20
	v_lshlrev_b32_e32 v15, 4, v0
	v_mov_b32_e32 v3, 0
	v_or_b32_e32 v16, 0x2000, v15
	v_mov_b32_e32 v4, 0
	s_waitcnt vmcnt(0)
	ds_write_b128 v15, v[5:8] offset:8192
	s_and_saveexec_b64 s[10:11], s[0:1]
	s_cbranch_execz .LBB332_4
; %bb.3:
	v_mad_u64_u32 v[1:2], s[14:15], s20, 63, v[13:14]
	v_mov_b32_e32 v2, 0
	v_mov_b32_e32 v3, s9
	v_lshlrev_b64 v[1:2], 4, v[1:2]
	v_add_co_u32_e32 v1, vcc, s8, v1
	v_addc_co_u32_e32 v2, vcc, v3, v2, vcc
	global_load_dwordx4 v[1:4], v[1:2], off
.LBB332_4:
	s_or_b64 exec, exec, s[10:11]
	v_mov_b32_e32 v5, 0
	v_mov_b32_e32 v9, 0
	;; [unrolled: 1-line block ×6, first 2 shown]
	s_waitcnt vmcnt(0)
	ds_write_b128 v16, v[1:4] offset:4096
	s_and_saveexec_b64 s[8:9], s[0:1]
	s_cbranch_execz .LBB332_6
; %bb.5:
	v_ashrrev_i32_e32 v14, 31, v13
	v_lshlrev_b64 v[1:2], 4, v[13:14]
	s_waitcnt lgkmcnt(0)
	v_mov_b32_e32 v3, s3
	v_add_co_u32_e32 v1, vcc, s2, v1
	v_addc_co_u32_e32 v2, vcc, v3, v2, vcc
	global_load_dwordx4 v[9:12], v[1:2], off
.LBB332_6:
	s_or_b64 exec, exec, s[8:9]
	s_load_dwordx2 s[16:17], s[4:5], 0x10
	v_mov_b32_e32 v7, 0
	v_mov_b32_e32 v8, 0
	s_waitcnt vmcnt(0)
	ds_write_b128 v15, v[9:12]
	s_and_saveexec_b64 s[8:9], s[0:1]
	s_cbranch_execz .LBB332_8
; %bb.7:
	v_mad_u64_u32 v[1:2], s[10:11], s20, 63, v[13:14]
	v_mov_b32_e32 v2, 0
	s_waitcnt lgkmcnt(0)
	v_mov_b32_e32 v3, s3
	v_lshlrev_b64 v[1:2], 4, v[1:2]
	v_add_co_u32_e32 v1, vcc, s2, v1
	v_addc_co_u32_e32 v2, vcc, v3, v2, vcc
	global_load_dwordx4 v[5:8], v[1:2], off
.LBB332_8:
	s_or_b64 exec, exec, s[8:9]
	s_waitcnt vmcnt(0)
	ds_write_b128 v15, v[5:8] offset:4096
	v_mov_b32_e32 v1, 0
	s_mul_i32 s22, s12, s7
	v_mov_b32_e32 v3, 0
	v_mov_b32_e32 v5, 0
	v_mov_b32_e32 v2, 0
	v_mov_b32_e32 v4, 0
	v_mov_b32_e32 v6, 0
	v_add_u32_e32 v7, s22, v13
	s_waitcnt lgkmcnt(0)
	s_and_saveexec_b64 s[2:3], s[0:1]
	s_cbranch_execz .LBB332_10
; %bb.9:
	v_ashrrev_i32_e32 v8, 31, v7
	v_lshlrev_b64 v[3:4], 4, v[7:8]
	v_mov_b32_e32 v5, s17
	v_add_co_u32_e32 v3, vcc, s16, v3
	v_addc_co_u32_e32 v4, vcc, v5, v4, vcc
	global_load_dwordx4 v[3:6], v[3:4], off
.LBB332_10:
	s_or_b64 exec, exec, s[2:3]
	s_load_dwordx2 s[2:3], s[4:5], 0x48
	s_load_dwordx8 s[8:15], s[4:5], 0x28
	s_waitcnt vmcnt(0)
	ds_write_b128 v15, v[3:6] offset:16384
	v_mov_b32_e32 v3, 0
	v_or_b32_e32 v9, 0x4000, v15
	v_mov_b32_e32 v4, 0
	s_mul_i32 s21, s20, 63
	s_and_saveexec_b64 s[18:19], s[0:1]
	s_cbranch_execz .LBB332_12
; %bb.11:
	s_mul_i32 s23, s20, 63
	s_add_i32 s23, s23, s22
	v_add_u32_e32 v1, s23, v13
	v_mov_b32_e32 v2, 0
	v_lshlrev_b64 v[1:2], 4, v[1:2]
	v_mov_b32_e32 v3, s17
	v_add_co_u32_e32 v1, vcc, s16, v1
	v_addc_co_u32_e32 v2, vcc, v3, v2, vcc
	global_load_dwordx4 v[1:4], v[1:2], off
.LBB332_12:
	s_or_b64 exec, exec, s[18:19]
	v_add_u32_e32 v8, 0x1000, v16
	v_or_b32_e32 v6, 0x1000, v15
	v_add_u32_e32 v5, 0x1000, v9
	s_mov_b32 s22, 2
	s_waitcnt vmcnt(0)
	ds_write_b128 v9, v[1:4] offset:4096
	s_waitcnt lgkmcnt(0)
	s_barrier
	s_branch .LBB332_14
.LBB332_13:                             ;   in Loop: Header=BB332_14 Depth=1
	s_or_b64 exec, exec, s[18:19]
	s_lshl_b32 s18, s22, 1
	s_cmpk_lt_u32 s22, 0x81
	s_mov_b32 s22, s18
	s_waitcnt lgkmcnt(0)
	s_barrier
	s_cbranch_scc0 .LBB332_16
.LBB332_14:                             ; =>This Inner Loop Header: Depth=1
	s_ff1_i32_b32 s18, s22
	s_lshr_b32 s18, 0x100, s18
	v_cmp_gt_u32_e32 vcc, s18, v0
	s_and_saveexec_b64 s[18:19], vcc
	s_cbranch_execz .LBB332_13
; %bb.15:                               ;   in Loop: Header=BB332_14 Depth=1
	v_mul_lo_u32 v12, s22, v0
	s_lshr_b32 s23, s22, 1
	v_add_u32_e32 v14, s23, v12
	v_lshlrev_b32_e32 v63, 4, v14
	ds_read_b128 v[1:4], v63 offset:8192
	ds_read_b128 v[17:20], v63 offset:4080
	ds_read_b128 v[21:24], v63
	ds_read_b128 v[25:28], v63 offset:12272
	v_add_lshl_u32 v14, v14, s23, 4
	v_lshlrev_b32_e32 v12, 4, v12
	s_waitcnt lgkmcnt(2)
	v_mul_f64 v[10:11], v[19:20], v[1:2]
	v_mul_f64 v[29:30], v[19:20], -v[3:4]
	s_waitcnt lgkmcnt(1)
	v_mul_f64 v[55:56], v[23:24], -v[19:20]
	v_mul_f64 v[57:58], v[17:18], v[23:24]
	s_waitcnt lgkmcnt(0)
	v_mul_f64 v[59:60], v[3:4], -v[27:28]
	v_fma_f64 v[10:11], v[3:4], v[17:18], v[10:11]
	v_fma_f64 v[29:30], v[1:2], v[17:18], v[29:30]
	v_add_f64 v[10:11], -v[10:11], 0
	v_add_f64 v[41:42], -v[29:30], 1.0
	v_mul_f64 v[29:30], v[10:11], v[10:11]
	v_fma_f64 v[61:62], v[41:42], 0, -v[10:11]
	v_fma_f64 v[10:11], v[10:11], 0, v[41:42]
	v_fma_f64 v[43:44], v[41:42], v[41:42], v[29:30]
	;; [unrolled: 1-line block ×3, first 2 shown]
	v_div_scale_f64 v[29:30], s[24:25], v[43:44], v[43:44], 1.0
	v_rcp_f64_e32 v[31:32], v[29:30]
	v_fma_f64 v[33:34], -v[29:30], v[31:32], 1.0
	v_fma_f64 v[31:32], v[31:32], v[33:34], v[31:32]
	v_div_scale_f64 v[33:34], vcc, 1.0, v[43:44], 1.0
	v_fma_f64 v[35:36], -v[29:30], v[31:32], 1.0
	v_fma_f64 v[31:32], v[31:32], v[35:36], v[31:32]
	v_mul_f64 v[35:36], v[33:34], v[31:32]
	v_fma_f64 v[29:30], -v[29:30], v[35:36], v[33:34]
	v_div_fmas_f64 v[45:46], v[29:30], v[31:32], v[35:36]
	ds_read_b128 v[29:32], v63 offset:16384
	ds_read_b128 v[33:36], v63 offset:20464
	;; [unrolled: 1-line block ×3, first 2 shown]
	s_waitcnt lgkmcnt(2)
	v_mul_f64 v[47:48], v[17:18], v[31:32]
	v_mul_f64 v[49:50], v[31:32], -v[19:20]
	s_waitcnt lgkmcnt(1)
	v_mul_f64 v[51:52], v[3:4], -v[35:36]
	v_mul_f64 v[53:54], v[3:4], v[33:34]
	v_mul_f64 v[3:4], v[3:4], v[25:26]
	v_fma_f64 v[47:48], v[19:20], v[29:30], v[47:48]
	v_fma_f64 v[19:20], v[19:20], v[21:22], v[57:58]
	;; [unrolled: 1-line block ×3, first 2 shown]
	v_div_fixup_f64 v[43:44], v[45:46], v[43:44], 1.0
	v_fma_f64 v[45:46], v[17:18], v[29:30], v[49:50]
	v_fma_f64 v[49:50], v[35:36], v[1:2], v[53:54]
	;; [unrolled: 1-line block ×3, first 2 shown]
	v_add_f64 v[17:18], v[35:36], -v[47:48]
	v_add_f64 v[47:48], v[29:30], -v[51:52]
	v_mul_f64 v[35:36], v[61:62], v[43:44]
	v_add_f64 v[33:34], v[33:34], -v[45:46]
	v_mul_f64 v[10:11], v[10:11], v[43:44]
	v_add_f64 v[45:46], v[31:32], -v[49:50]
	v_fma_f64 v[29:30], v[25:26], v[1:2], v[59:60]
	v_mul_f64 v[51:52], v[35:36], v[19:20]
	v_mul_f64 v[31:32], v[35:36], v[33:34]
	v_mul_f64 v[53:54], v[19:20], -v[10:11]
	v_mul_f64 v[19:20], v[35:36], v[3:4]
	v_mul_f64 v[55:56], v[3:4], -v[10:11]
	v_mul_f64 v[57:58], v[27:28], -v[35:36]
	v_mul_f64 v[27:28], v[10:11], v[27:28]
	v_mul_f64 v[1:2], v[35:36], -v[17:18]
	;; [unrolled: 3-line block ×3, first 2 shown]
	v_mul_f64 v[49:50], v[47:48], v[35:36]
	v_fma_f64 v[3:4], v[17:18], v[10:11], v[31:32]
	v_fma_f64 v[17:18], -v[10:11], v[29:30], v[19:20]
	v_fma_f64 v[19:20], -v[35:36], v[29:30], v[55:56]
	v_fma_f64 v[23:24], v[10:11], v[25:26], v[57:58]
	v_fma_f64 v[25:26], v[35:36], v[25:26], v[27:28]
	v_fma_f64 v[27:28], -v[10:11], v[41:42], v[51:52]
	v_fma_f64 v[29:30], -v[35:36], v[41:42], v[53:54]
	v_fma_f64 v[1:2], v[33:34], v[10:11], v[1:2]
	v_fma_f64 v[31:32], v[10:11], v[21:22], v[59:60]
	;; [unrolled: 1-line block ×5, first 2 shown]
	ds_write_b128 v63, v[17:20] offset:8192
	ds_write_b128 v63, v[23:26] offset:12272
	ds_read_b128 v[21:24], v12
	ds_read_b128 v[45:48], v12 offset:8192
	ds_write_b128 v63, v[27:30] offset:4080
	ds_write_b128 v63, v[31:34]
	ds_read_b128 v[25:28], v12
	ds_write_b128 v63, v[1:4] offset:20464
	ds_write_b128 v63, v[41:44] offset:16384
	s_waitcnt lgkmcnt(6)
	v_mul_f64 v[10:11], v[43:44], -v[23:24]
	v_mul_f64 v[29:30], v[43:44], v[21:22]
	ds_read_b128 v[1:4], v12 offset:16384
	s_waitcnt lgkmcnt(3)
	v_mul_f64 v[35:36], v[19:20], -v[27:28]
	v_mul_f64 v[19:20], v[19:20], v[25:26]
	v_mul_f64 v[43:44], v[33:34], v[27:28]
	v_mul_f64 v[33:34], v[33:34], -v[25:26]
	v_fma_f64 v[10:11], v[21:22], v[41:42], v[10:11]
	v_fma_f64 v[21:22], v[23:24], v[41:42], v[29:30]
	;; [unrolled: 1-line block ×4, first 2 shown]
	v_fma_f64 v[17:18], -v[25:26], v[31:32], v[43:44]
	v_fma_f64 v[19:20], -v[27:28], v[31:32], v[33:34]
	s_waitcnt lgkmcnt(0)
	v_add_f64 v[1:2], v[1:2], -v[10:11]
	v_add_f64 v[3:4], v[3:4], -v[21:22]
	ds_write_b128 v12, v[17:20]
	ds_write_b128 v12, v[1:4] offset:16384
	v_add_f64 v[21:22], v[45:46], -v[23:24]
	v_add_f64 v[23:24], v[47:48], -v[29:30]
	ds_read_b128 v[1:4], v63 offset:20464
	ds_read_b128 v[17:20], v63 offset:4080
	s_waitcnt lgkmcnt(1)
	v_mul_f64 v[10:11], v[3:4], -v[39:40]
	v_mul_f64 v[3:4], v[3:4], v[37:38]
	ds_write_b128 v12, v[21:24] offset:8192
	ds_read_b128 v[21:24], v14 offset:12272
	ds_read_b128 v[25:28], v14 offset:4080
	;; [unrolled: 1-line block ×4, first 2 shown]
	s_waitcnt lgkmcnt(3)
	v_mul_f64 v[41:42], v[23:24], -v[19:20]
	v_mul_f64 v[43:44], v[23:24], v[17:18]
	v_fma_f64 v[10:11], v[37:38], v[1:2], v[10:11]
	v_fma_f64 v[3:4], v[39:40], v[1:2], v[3:4]
	s_waitcnt lgkmcnt(1)
	v_mul_f64 v[45:46], v[23:24], v[31:32]
	v_mul_f64 v[31:32], v[31:32], -v[21:22]
	v_fma_f64 v[37:38], v[17:18], v[21:22], v[41:42]
	v_fma_f64 v[39:40], v[19:20], v[21:22], v[43:44]
	s_waitcnt lgkmcnt(0)
	v_add_f64 v[17:18], v[33:34], -v[10:11]
	v_add_f64 v[19:20], v[35:36], -v[3:4]
	v_fma_f64 v[1:2], -v[21:22], v[29:30], v[45:46]
	v_fma_f64 v[3:4], -v[23:24], v[29:30], v[31:32]
	v_add_f64 v[25:26], v[25:26], -v[37:38]
	v_add_f64 v[27:28], v[27:28], -v[39:40]
	ds_write_b128 v14, v[17:20] offset:20464
	ds_write_b128 v14, v[25:28] offset:4080
	ds_write_b128 v14, v[1:4] offset:12272
	s_branch .LBB332_13
.LBB332_16:
	s_and_saveexec_b64 s[18:19], s[0:1]
	s_cbranch_execnz .LBB332_19
; %bb.17:
	s_or_b64 exec, exec, s[18:19]
	v_cmp_eq_u32_e32 vcc, 0, v0
	s_and_saveexec_b64 s[0:1], vcc
	s_cbranch_execnz .LBB332_23
.LBB332_18:
	s_endpgm
.LBB332_19:
	s_cmp_eq_u32 s7, 0
	s_cbranch_scc1 .LBB332_27
; %bb.20:
	s_mul_i32 s20, s20, 63
	s_cbranch_execnz .LBB332_22
.LBB332_21:
	v_ashrrev_i32_e32 v14, 31, v13
	ds_read2_b64 v[1:4], v16 offset1:1
	v_lshlrev_b64 v[10:11], 4, v[13:14]
	v_mov_b32_e32 v12, s9
	v_add_co_u32_e32 v20, vcc, s8, v10
	v_addc_co_u32_e32 v21, vcc, v12, v11, vcc
	ds_read2_b64 v[16:19], v8 offset1:1
	s_waitcnt lgkmcnt(1)
	global_store_dwordx4 v[20:21], v[1:4], off
	v_mov_b32_e32 v8, s11
	v_add_u32_e32 v1, s21, v13
	v_mov_b32_e32 v2, 0
	v_lshlrev_b64 v[20:21], 4, v[1:2]
	v_mov_b32_e32 v2, s9
	v_add_co_u32_e32 v1, vcc, s8, v20
	v_addc_co_u32_e32 v2, vcc, v2, v21, vcc
	s_waitcnt lgkmcnt(0)
	global_store_dwordx4 v[1:2], v[16:19], off
	ds_read2_b64 v[1:4], v15 offset1:1
	v_add_co_u32_e32 v14, vcc, s10, v10
	v_addc_co_u32_e32 v15, vcc, v8, v11, vcc
	ds_read2_b64 v[10:13], v6 offset1:1
	s_waitcnt lgkmcnt(1)
	global_store_dwordx4 v[14:15], v[1:4], off
	s_mov_b32 s20, s21
	v_mov_b32_e32 v2, s11
	v_add_co_u32_e32 v1, vcc, s10, v20
	v_addc_co_u32_e32 v2, vcc, v2, v21, vcc
	s_waitcnt lgkmcnt(0)
	global_store_dwordx4 v[1:2], v[10:13], off
.LBB332_22:
	v_ashrrev_i32_e32 v8, 31, v7
	ds_read2_b64 v[1:4], v9 offset1:1
	v_lshlrev_b64 v[10:11], 4, v[7:8]
	v_mov_b32_e32 v6, s17
	v_add_co_u32_e32 v12, vcc, s16, v10
	v_addc_co_u32_e32 v13, vcc, v6, v11, vcc
	ds_read2_b64 v[8:11], v5 offset1:1
	s_waitcnt lgkmcnt(1)
	global_store_dwordx4 v[12:13], v[1:4], off
	s_nop 0
	v_add_u32_e32 v1, s20, v7
	v_mov_b32_e32 v2, 0
	v_lshlrev_b64 v[1:2], 4, v[1:2]
	v_mov_b32_e32 v3, s17
	v_add_co_u32_e32 v1, vcc, s16, v1
	v_addc_co_u32_e32 v2, vcc, v3, v2, vcc
	s_waitcnt lgkmcnt(0)
	global_store_dwordx4 v[1:2], v[8:11], off
	s_or_b64 exec, exec, s[18:19]
	v_cmp_eq_u32_e32 vcc, 0, v0
	s_and_saveexec_b64 s[0:1], vcc
	s_cbranch_execz .LBB332_18
.LBB332_23:
	s_cmp_eq_u32 s7, 0
	s_cbranch_scc1 .LBB332_28
; %bb.24:
	s_load_dword s8, s[4:5], 0x50
	s_cbranch_execnz .LBB332_26
.LBB332_25:
	v_mov_b32_e32 v8, 0
	ds_read_b128 v[0:3], v8 offset:8192
	ds_read_b128 v[4:7], v8 offset:16368
	s_waitcnt lgkmcnt(0)
	s_load_dword s8, s[4:5], 0x50
	s_mov_b32 s0, s7
	s_ashr_i32 s7, s6, 31
	s_lshl_b64 s[10:11], s[6:7], 4
	s_mov_b32 s7, s0
	s_add_u32 s0, s14, s10
	s_addc_u32 s1, s15, s11
	global_store_dwordx4 v8, v[0:3], s[0:1]
	s_waitcnt lgkmcnt(0)
	s_add_i32 s0, s8, s6
	s_mov_b32 s1, 0
	s_lshl_b64 s[0:1], s[0:1], 4
	s_add_u32 s4, s14, s0
	s_addc_u32 s5, s15, s1
	ds_read_b128 v[0:3], v8
	global_store_dwordx4 v8, v[4:7], s[4:5]
	ds_read_b128 v[4:7], v8 offset:8176
	s_add_u32 s4, s2, s10
	s_addc_u32 s5, s3, s11
	s_add_u32 s0, s2, s0
	s_addc_u32 s1, s3, s1
	s_waitcnt lgkmcnt(1)
	global_store_dwordx4 v8, v[0:3], s[4:5]
	s_waitcnt lgkmcnt(0)
	global_store_dwordx4 v8, v[4:7], s[0:1]
.LBB332_26:
	s_waitcnt lgkmcnt(0)
	s_mul_i32 s0, s8, s7
	s_lshl_b32 s0, s0, 1
	s_add_i32 s0, s0, s6
	s_mov_b32 s1, 0
	v_mov_b32_e32 v8, 0
	s_lshl_b64 s[2:3], s[0:1], 4
	ds_read_b128 v[0:3], v8 offset:16384
	ds_read_b128 v[4:7], v8 offset:24560
	s_add_u32 s2, s12, s2
	s_addc_u32 s3, s13, s3
	s_add_i32 s0, s0, s8
	s_lshl_b64 s[0:1], s[0:1], 4
	s_add_u32 s0, s12, s0
	s_addc_u32 s1, s13, s1
	s_waitcnt lgkmcnt(1)
	global_store_dwordx4 v8, v[0:3], s[2:3]
	s_waitcnt lgkmcnt(0)
	global_store_dwordx4 v8, v[4:7], s[0:1]
	s_endpgm
.LBB332_27:
                                        ; implicit-def: $sgpr20
	s_branch .LBB332_21
.LBB332_28:
                                        ; implicit-def: $sgpr8
	s_branch .LBB332_25
	.section	.rodata,"a",@progbits
	.p2align	6, 0x0
	.amdhsa_kernel _ZN9rocsparseL29gtsv_spike_block_level_kernelILj256ELj64E21rocsparse_complex_numIdEEEviiiPT1_PKS3_S6_S4_S4_S4_S4_S4_
		.amdhsa_group_segment_fixed_size 24576
		.amdhsa_private_segment_fixed_size 0
		.amdhsa_kernarg_size 336
		.amdhsa_user_sgpr_count 6
		.amdhsa_user_sgpr_private_segment_buffer 1
		.amdhsa_user_sgpr_dispatch_ptr 0
		.amdhsa_user_sgpr_queue_ptr 0
		.amdhsa_user_sgpr_kernarg_segment_ptr 1
		.amdhsa_user_sgpr_dispatch_id 0
		.amdhsa_user_sgpr_flat_scratch_init 0
		.amdhsa_user_sgpr_private_segment_size 0
		.amdhsa_uses_dynamic_stack 0
		.amdhsa_system_sgpr_private_segment_wavefront_offset 0
		.amdhsa_system_sgpr_workgroup_id_x 1
		.amdhsa_system_sgpr_workgroup_id_y 1
		.amdhsa_system_sgpr_workgroup_id_z 0
		.amdhsa_system_sgpr_workgroup_info 0
		.amdhsa_system_vgpr_workitem_id 0
		.amdhsa_next_free_vgpr 85
		.amdhsa_next_free_sgpr 98
		.amdhsa_reserve_vcc 1
		.amdhsa_reserve_flat_scratch 0
		.amdhsa_float_round_mode_32 0
		.amdhsa_float_round_mode_16_64 0
		.amdhsa_float_denorm_mode_32 3
		.amdhsa_float_denorm_mode_16_64 3
		.amdhsa_dx10_clamp 1
		.amdhsa_ieee_mode 1
		.amdhsa_fp16_overflow 0
		.amdhsa_exception_fp_ieee_invalid_op 0
		.amdhsa_exception_fp_denorm_src 0
		.amdhsa_exception_fp_ieee_div_zero 0
		.amdhsa_exception_fp_ieee_overflow 0
		.amdhsa_exception_fp_ieee_underflow 0
		.amdhsa_exception_fp_ieee_inexact 0
		.amdhsa_exception_int_div_zero 0
	.end_amdhsa_kernel
	.section	.text._ZN9rocsparseL29gtsv_spike_block_level_kernelILj256ELj64E21rocsparse_complex_numIdEEEviiiPT1_PKS3_S6_S4_S4_S4_S4_S4_,"axG",@progbits,_ZN9rocsparseL29gtsv_spike_block_level_kernelILj256ELj64E21rocsparse_complex_numIdEEEviiiPT1_PKS3_S6_S4_S4_S4_S4_S4_,comdat
.Lfunc_end332:
	.size	_ZN9rocsparseL29gtsv_spike_block_level_kernelILj256ELj64E21rocsparse_complex_numIdEEEviiiPT1_PKS3_S6_S4_S4_S4_S4_S4_, .Lfunc_end332-_ZN9rocsparseL29gtsv_spike_block_level_kernelILj256ELj64E21rocsparse_complex_numIdEEEviiiPT1_PKS3_S6_S4_S4_S4_S4_S4_
                                        ; -- End function
	.set _ZN9rocsparseL29gtsv_spike_block_level_kernelILj256ELj64E21rocsparse_complex_numIdEEEviiiPT1_PKS3_S6_S4_S4_S4_S4_S4_.num_vgpr, 64
	.set _ZN9rocsparseL29gtsv_spike_block_level_kernelILj256ELj64E21rocsparse_complex_numIdEEEviiiPT1_PKS3_S6_S4_S4_S4_S4_S4_.num_agpr, 0
	.set _ZN9rocsparseL29gtsv_spike_block_level_kernelILj256ELj64E21rocsparse_complex_numIdEEEviiiPT1_PKS3_S6_S4_S4_S4_S4_S4_.numbered_sgpr, 26
	.set _ZN9rocsparseL29gtsv_spike_block_level_kernelILj256ELj64E21rocsparse_complex_numIdEEEviiiPT1_PKS3_S6_S4_S4_S4_S4_S4_.num_named_barrier, 0
	.set _ZN9rocsparseL29gtsv_spike_block_level_kernelILj256ELj64E21rocsparse_complex_numIdEEEviiiPT1_PKS3_S6_S4_S4_S4_S4_S4_.private_seg_size, 0
	.set _ZN9rocsparseL29gtsv_spike_block_level_kernelILj256ELj64E21rocsparse_complex_numIdEEEviiiPT1_PKS3_S6_S4_S4_S4_S4_S4_.uses_vcc, 1
	.set _ZN9rocsparseL29gtsv_spike_block_level_kernelILj256ELj64E21rocsparse_complex_numIdEEEviiiPT1_PKS3_S6_S4_S4_S4_S4_S4_.uses_flat_scratch, 0
	.set _ZN9rocsparseL29gtsv_spike_block_level_kernelILj256ELj64E21rocsparse_complex_numIdEEEviiiPT1_PKS3_S6_S4_S4_S4_S4_S4_.has_dyn_sized_stack, 0
	.set _ZN9rocsparseL29gtsv_spike_block_level_kernelILj256ELj64E21rocsparse_complex_numIdEEEviiiPT1_PKS3_S6_S4_S4_S4_S4_S4_.has_recursion, 0
	.set _ZN9rocsparseL29gtsv_spike_block_level_kernelILj256ELj64E21rocsparse_complex_numIdEEEviiiPT1_PKS3_S6_S4_S4_S4_S4_S4_.has_indirect_call, 0
	.section	.AMDGPU.csdata,"",@progbits
; Kernel info:
; codeLenInByte = 2364
; TotalNumSgprs: 30
; NumVgprs: 64
; ScratchSize: 0
; MemoryBound: 1
; FloatMode: 240
; IeeeMode: 1
; LDSByteSize: 24576 bytes/workgroup (compile time only)
; SGPRBlocks: 12
; VGPRBlocks: 21
; NumSGPRsForWavesPerEU: 102
; NumVGPRsForWavesPerEU: 85
; Occupancy: 2
; WaveLimiterHint : 0
; COMPUTE_PGM_RSRC2:SCRATCH_EN: 0
; COMPUTE_PGM_RSRC2:USER_SGPR: 6
; COMPUTE_PGM_RSRC2:TRAP_HANDLER: 0
; COMPUTE_PGM_RSRC2:TGID_X_EN: 1
; COMPUTE_PGM_RSRC2:TGID_Y_EN: 1
; COMPUTE_PGM_RSRC2:TGID_Z_EN: 0
; COMPUTE_PGM_RSRC2:TIDIG_COMP_CNT: 0
	.section	.text._ZN9rocsparseL33gtsv_solve_spike_propagate_kernelILj256ELj64E21rocsparse_complex_numIdEEEviiiPT1_PKS3_S6_S6_,"axG",@progbits,_ZN9rocsparseL33gtsv_solve_spike_propagate_kernelILj256ELj64E21rocsparse_complex_numIdEEEviiiPT1_PKS3_S6_S6_,comdat
	.globl	_ZN9rocsparseL33gtsv_solve_spike_propagate_kernelILj256ELj64E21rocsparse_complex_numIdEEEviiiPT1_PKS3_S6_S6_ ; -- Begin function _ZN9rocsparseL33gtsv_solve_spike_propagate_kernelILj256ELj64E21rocsparse_complex_numIdEEEviiiPT1_PKS3_S6_S6_
	.p2align	8
	.type	_ZN9rocsparseL33gtsv_solve_spike_propagate_kernelILj256ELj64E21rocsparse_complex_numIdEEEviiiPT1_PKS3_S6_S6_,@function
_ZN9rocsparseL33gtsv_solve_spike_propagate_kernelILj256ELj64E21rocsparse_complex_numIdEEEviiiPT1_PKS3_S6_S6_: ; @_ZN9rocsparseL33gtsv_solve_spike_propagate_kernelILj256ELj64E21rocsparse_complex_numIdEEEviiiPT1_PKS3_S6_S6_
; %bb.0:
	s_load_dword s10, s[4:5], 0x0
	v_lshl_or_b32 v9, s6, 8, v0
	v_lshlrev_b32_e32 v11, 4, v0
	s_waitcnt lgkmcnt(0)
	s_lshr_b32 s20, s10, 6
	v_cmp_gt_i32_e32 vcc, s20, v9
	v_cmp_le_i32_e64 s[0:1], s20, v9
	s_and_saveexec_b64 s[2:3], s[0:1]
	s_xor_b64 s[2:3], exec, s[2:3]
; %bb.1:
	v_mov_b32_e32 v1, 0
	v_mov_b32_e32 v2, v1
	;; [unrolled: 1-line block ×4, first 2 shown]
	ds_write_b128 v11, v[1:4] offset:16416
; %bb.2:
	s_or_saveexec_b64 s[8:9], s[2:3]
	v_mov_b32_e32 v1, 0
	v_mov_b32_e32 v3, 0
	;; [unrolled: 1-line block ×4, first 2 shown]
	v_ashrrev_i32_e32 v10, 31, v9
	s_xor_b64 exec, exec, s[8:9]
	s_cbranch_execz .LBB333_4
; %bb.3:
	s_load_dwordx2 s[12:13], s[4:5], 0x18
	v_lshlrev_b64 v[1:2], 4, v[9:10]
	v_mad_u64_u32 v[3:4], s[2:3], s20, 63, v[9:10]
	s_waitcnt lgkmcnt(0)
	v_mov_b32_e32 v4, s13
	v_add_co_u32_e64 v12, s[2:3], s12, v1
	v_addc_co_u32_e64 v13, s[2:3], v4, v2, s[2:3]
	v_mov_b32_e32 v4, 0
	v_lshlrev_b64 v[1:2], 4, v[3:4]
	v_mov_b32_e32 v3, s13
	v_add_co_u32_e64 v14, s[2:3], s12, v1
	v_addc_co_u32_e64 v15, s[2:3], v3, v2, s[2:3]
	global_load_dwordx4 v[5:8], v[12:13], off
	global_load_dwordx4 v[1:4], v[14:15], off
	s_waitcnt vmcnt(1)
	ds_write_b128 v11, v[5:8] offset:16416
.LBB333_4:
	s_or_b64 exec, exec, s[8:9]
	s_waitcnt vmcnt(0)
	ds_write_b128 v11, v[1:4] offset:20512
	s_and_saveexec_b64 s[2:3], s[0:1]
	s_xor_b64 s[0:1], exec, s[2:3]
; %bb.5:
	v_mov_b32_e32 v1, 0
	v_mov_b32_e32 v2, v1
	;; [unrolled: 1-line block ×4, first 2 shown]
	ds_write_b128 v11, v[1:4] offset:8224
; %bb.6:
	s_or_saveexec_b64 s[8:9], s[0:1]
	s_load_dwordx2 s[2:3], s[4:5], 0x10
	v_mov_b32_e32 v3, 0
	v_mov_b32_e32 v5, 0
	v_mov_b32_e32 v7, 0
	v_mov_b32_e32 v4, 0
	v_mov_b32_e32 v6, 0
	v_mov_b32_e32 v8, 0
	s_xor_b64 exec, exec, s[8:9]
	s_cbranch_execz .LBB333_8
; %bb.7:
	s_load_dwordx2 s[12:13], s[4:5], 0x20
	v_lshlrev_b64 v[1:2], 4, v[9:10]
	v_mad_u64_u32 v[5:6], s[0:1], s20, 63, v[9:10]
	s_waitcnt lgkmcnt(0)
	v_mov_b32_e32 v6, s13
	v_add_co_u32_e64 v1, s[0:1], s12, v1
	v_addc_co_u32_e64 v2, s[0:1], v6, v2, s[0:1]
	v_mov_b32_e32 v6, 0
	v_lshlrev_b64 v[5:6], 4, v[5:6]
	v_mov_b32_e32 v7, s13
	v_add_co_u32_e64 v16, s[0:1], s12, v5
	v_addc_co_u32_e64 v17, s[0:1], v7, v6, s[0:1]
	global_load_dwordx4 v[12:15], v[1:2], off
	global_load_dwordx4 v[5:8], v[16:17], off
	s_waitcnt vmcnt(1)
	ds_write_b128 v11, v[12:15] offset:8224
.LBB333_8:
	s_or_b64 exec, exec, s[8:9]
	v_mov_b32_e32 v1, 0
	v_mov_b32_e32 v2, 0
	s_mul_i32 s10, s10, s7
	s_waitcnt vmcnt(0)
	ds_write_b128 v11, v[5:8] offset:12320
	s_and_saveexec_b64 s[8:9], vcc
	s_cbranch_execz .LBB333_10
; %bb.9:
	s_mul_i32 s0, s20, 63
	s_add_i32 s0, s0, s10
	v_add_u32_e32 v1, s0, v9
	v_mov_b32_e32 v2, 0
	v_lshlrev_b64 v[1:2], 4, v[1:2]
	s_waitcnt lgkmcnt(0)
	v_mov_b32_e32 v3, s3
	v_add_co_u32_e64 v1, s[0:1], s2, v1
	v_addc_co_u32_e64 v2, s[0:1], v3, v2, s[0:1]
	global_load_dwordx4 v[1:4], v[1:2], off
.LBB333_10:
	s_or_b64 exec, exec, s[8:9]
	s_waitcnt vmcnt(0)
	ds_write_b128 v11, v[1:4] offset:16
	v_mov_b32_e32 v3, 0
	v_mov_b32_e32 v1, 0
	;; [unrolled: 1-line block ×4, first 2 shown]
	v_add_u32_e32 v5, s10, v9
	s_and_saveexec_b64 s[8:9], vcc
	s_cbranch_execz .LBB333_12
; %bb.11:
	v_ashrrev_i32_e32 v6, 31, v5
	v_lshlrev_b64 v[1:2], 4, v[5:6]
	s_waitcnt lgkmcnt(0)
	v_mov_b32_e32 v3, s3
	v_add_co_u32_e64 v1, s[0:1], s2, v1
	v_addc_co_u32_e64 v2, s[0:1], v3, v2, s[0:1]
	global_load_dwordx4 v[1:4], v[1:2], off
.LBB333_12:
	s_or_b64 exec, exec, s[8:9]
	v_cmp_eq_u32_e64 s[0:1], 0, v0
	s_waitcnt vmcnt(0)
	ds_write_b128 v11, v[1:4] offset:4112
	s_waitcnt lgkmcnt(0)
	s_barrier
	s_and_saveexec_b64 s[16:17], s[0:1]
	s_cbranch_execz .LBB333_18
; %bb.13:
	s_load_dword s21, s[4:5], 0x30
	s_load_dwordx2 s[18:19], s[4:5], 0x28
	s_cmp_lt_i32 s6, 1
	s_mov_b64 s[10:11], 0
	s_mov_b64 s[14:15], 0
	s_waitcnt lgkmcnt(0)
	s_mul_i32 s7, s7, s21
	s_mov_b64 s[12:13], 0
	s_cbranch_scc1 .LBB333_15
; %bb.14:
	s_lshl_b32 s4, s7, 1
	s_add_i32 s5, s6, s21
	s_add_i32 s4, s5, s4
	s_add_i32 s4, s4, -1
	s_mov_b32 s5, 0
	s_lshl_b64 s[4:5], s[4:5], 4
	s_add_u32 s4, s18, s4
	s_addc_u32 s5, s19, s5
	s_load_dwordx4 s[12:15], s[4:5], 0x0
.LBB333_15:
	s_add_i32 s4, s21, -1
	s_waitcnt lgkmcnt(0)
	v_mov_b32_e32 v6, s12
	v_mov_b32_e32 v7, s13
	;; [unrolled: 1-line block ×5, first 2 shown]
	s_cmp_ge_u32 s6, s4
	s_mov_b64 s[8:9], 0
	ds_write_b128 v1, v[6:9]
	s_cbranch_scc1 .LBB333_17
; %bb.16:
	s_lshl_b32 s4, s7, 1
	s_add_i32 s4, s6, s4
	s_add_i32 s4, s4, 1
	s_mov_b32 s5, 0
	s_lshl_b64 s[4:5], s[4:5], 4
	s_add_u32 s4, s18, s4
	s_addc_u32 s5, s19, s5
	s_load_dwordx4 s[8:11], s[4:5], 0x0
.LBB333_17:
	s_lshl_b32 s4, s7, 1
	s_add_i32 s4, s4, s6
	s_mov_b32 s5, 0
	s_lshl_b64 s[6:7], s[4:5], 4
	s_add_u32 s6, s18, s6
	s_addc_u32 s7, s19, s7
	s_add_i32 s4, s4, s21
	s_lshl_b64 s[4:5], s[4:5], 4
	s_add_u32 s4, s18, s4
	s_addc_u32 s5, s19, s5
	global_load_dwordx4 v[6:9], v1, s[6:7]
	global_load_dwordx4 v[12:15], v1, s[4:5]
	s_waitcnt lgkmcnt(0)
	v_mov_b32_e32 v16, s8
	v_mov_b32_e32 v17, s9
	;; [unrolled: 1-line block ×4, first 2 shown]
	ds_write_b128 v1, v[16:19] offset:8208
	s_waitcnt vmcnt(1)
	ds_write_b128 v1, v[6:9] offset:4112
	s_waitcnt vmcnt(0)
	ds_write_b128 v1, v[12:15] offset:4096
.LBB333_18:
	s_or_b64 exec, exec, s[16:17]
	v_add_u32_e32 v1, 16, v11
	v_add_u32_e32 v2, 0x1010, v11
	s_waitcnt lgkmcnt(0)
	s_barrier
	s_and_saveexec_b64 s[4:5], s[0:1]
	s_cbranch_execz .LBB333_20
; %bb.19:
	v_mov_b32_e32 v42, 0
	ds_read_b128 v[6:9], v42 offset:8208
	ds_read_b128 v[10:13], v42 offset:14352
	;; [unrolled: 1-line block ×5, first 2 shown]
	ds_read_b128 v[26:29], v42
	ds_read_b128 v[30:33], v42 offset:22544
	ds_read_b128 v[34:37], v42 offset:18464
	s_waitcnt lgkmcnt(6)
	v_mul_f64 v[3:4], v[8:9], -v[12:13]
	v_mul_f64 v[38:39], v[8:9], v[10:11]
	s_waitcnt lgkmcnt(5)
	v_mul_f64 v[40:41], v[8:9], -v[16:17]
	v_mul_f64 v[8:9], v[8:9], v[14:15]
	v_fma_f64 v[3:4], v[10:11], v[6:7], v[3:4]
	v_fma_f64 v[10:11], v[12:13], v[6:7], v[38:39]
	s_waitcnt lgkmcnt(1)
	v_mul_f64 v[12:13], v[28:29], -v[32:33]
	v_mul_f64 v[38:39], v[28:29], v[30:31]
	v_fma_f64 v[14:15], v[14:15], v[6:7], v[40:41]
	s_waitcnt lgkmcnt(0)
	v_mul_f64 v[40:41], v[28:29], -v[36:37]
	v_mul_f64 v[28:29], v[28:29], v[34:35]
	v_fma_f64 v[6:7], v[16:17], v[6:7], v[8:9]
	v_add_f64 v[3:4], v[22:23], -v[3:4]
	v_add_f64 v[8:9], v[24:25], -v[10:11]
	v_fma_f64 v[10:11], v[30:31], v[26:27], v[12:13]
	v_fma_f64 v[12:13], v[32:33], v[26:27], v[38:39]
	v_add_f64 v[14:15], v[18:19], -v[14:15]
	v_fma_f64 v[16:17], v[34:35], v[26:27], v[40:41]
	v_fma_f64 v[18:19], v[36:37], v[26:27], v[28:29]
	v_add_f64 v[20:21], v[20:21], -v[6:7]
	v_add_f64 v[6:7], v[3:4], -v[10:11]
	;; [unrolled: 1-line block ×5, first 2 shown]
	ds_write_b128 v42, v[6:9] offset:2048
	ds_write_b128 v42, v[10:13] offset:6160
.LBB333_20:
	s_or_b64 exec, exec, s[4:5]
	v_cmp_gt_u32_e64 s[0:1], 2, v0
	s_waitcnt lgkmcnt(0)
	s_barrier
	s_and_saveexec_b64 s[4:5], s[0:1]
	s_cbranch_execz .LBB333_22
; %bb.21:
	v_lshlrev_b32_e32 v42, 11, v0
	ds_read_b128 v[6:9], v42 offset:6160
	ds_read_b128 v[10:13], v42 offset:13328
	ds_read_b128 v[14:17], v42 offset:9248
	ds_read_b128 v[18:21], v42 offset:5136
	ds_read_b128 v[22:25], v42 offset:1024
	ds_read_b128 v[26:29], v42
	ds_read_b128 v[30:33], v42 offset:21520
	ds_read_b128 v[34:37], v42 offset:17440
	s_waitcnt lgkmcnt(6)
	v_mul_f64 v[3:4], v[8:9], -v[12:13]
	v_mul_f64 v[38:39], v[8:9], v[10:11]
	s_waitcnt lgkmcnt(5)
	v_mul_f64 v[40:41], v[8:9], -v[16:17]
	v_mul_f64 v[8:9], v[8:9], v[14:15]
	v_fma_f64 v[3:4], v[10:11], v[6:7], v[3:4]
	v_fma_f64 v[10:11], v[12:13], v[6:7], v[38:39]
	s_waitcnt lgkmcnt(1)
	v_mul_f64 v[12:13], v[28:29], -v[32:33]
	v_mul_f64 v[38:39], v[28:29], v[30:31]
	v_fma_f64 v[14:15], v[14:15], v[6:7], v[40:41]
	s_waitcnt lgkmcnt(0)
	v_mul_f64 v[40:41], v[28:29], -v[36:37]
	v_mul_f64 v[28:29], v[28:29], v[34:35]
	v_fma_f64 v[6:7], v[16:17], v[6:7], v[8:9]
	v_add_f64 v[3:4], v[22:23], -v[3:4]
	v_add_f64 v[8:9], v[24:25], -v[10:11]
	v_fma_f64 v[10:11], v[30:31], v[26:27], v[12:13]
	v_fma_f64 v[12:13], v[32:33], v[26:27], v[38:39]
	v_add_f64 v[14:15], v[18:19], -v[14:15]
	v_fma_f64 v[16:17], v[34:35], v[26:27], v[40:41]
	v_fma_f64 v[18:19], v[36:37], v[26:27], v[28:29]
	v_add_f64 v[20:21], v[20:21], -v[6:7]
	v_add_f64 v[6:7], v[3:4], -v[10:11]
	v_add_f64 v[8:9], v[8:9], -v[12:13]
	v_add_f64 v[10:11], v[14:15], -v[16:17]
	v_add_f64 v[12:13], v[20:21], -v[18:19]
	ds_write_b128 v42, v[6:9] offset:1024
	ds_write_b128 v42, v[10:13] offset:5136
.LBB333_22:
	s_or_b64 exec, exec, s[4:5]
	v_cmp_gt_u32_e64 s[0:1], 4, v0
	s_waitcnt lgkmcnt(0)
	s_barrier
	s_and_saveexec_b64 s[4:5], s[0:1]
	s_cbranch_execz .LBB333_24
; %bb.23:
	v_lshlrev_b32_e32 v42, 10, v0
	ds_read_b128 v[6:9], v42 offset:5136
	ds_read_b128 v[10:13], v42 offset:12816
	ds_read_b128 v[14:17], v42 offset:8736
	ds_read_b128 v[18:21], v42 offset:4624
	ds_read_b128 v[22:25], v42 offset:512
	ds_read_b128 v[26:29], v42
	ds_read_b128 v[30:33], v42 offset:21008
	ds_read_b128 v[34:37], v42 offset:16928
	s_waitcnt lgkmcnt(6)
	v_mul_f64 v[3:4], v[8:9], -v[12:13]
	v_mul_f64 v[38:39], v[8:9], v[10:11]
	s_waitcnt lgkmcnt(5)
	v_mul_f64 v[40:41], v[8:9], -v[16:17]
	v_mul_f64 v[8:9], v[8:9], v[14:15]
	v_fma_f64 v[3:4], v[10:11], v[6:7], v[3:4]
	v_fma_f64 v[10:11], v[12:13], v[6:7], v[38:39]
	s_waitcnt lgkmcnt(1)
	v_mul_f64 v[12:13], v[28:29], -v[32:33]
	v_mul_f64 v[38:39], v[28:29], v[30:31]
	v_fma_f64 v[14:15], v[14:15], v[6:7], v[40:41]
	s_waitcnt lgkmcnt(0)
	v_mul_f64 v[40:41], v[28:29], -v[36:37]
	v_mul_f64 v[28:29], v[28:29], v[34:35]
	v_fma_f64 v[6:7], v[16:17], v[6:7], v[8:9]
	v_add_f64 v[3:4], v[22:23], -v[3:4]
	v_add_f64 v[8:9], v[24:25], -v[10:11]
	v_fma_f64 v[10:11], v[30:31], v[26:27], v[12:13]
	v_fma_f64 v[12:13], v[32:33], v[26:27], v[38:39]
	v_add_f64 v[14:15], v[18:19], -v[14:15]
	v_fma_f64 v[16:17], v[34:35], v[26:27], v[40:41]
	v_fma_f64 v[18:19], v[36:37], v[26:27], v[28:29]
	v_add_f64 v[20:21], v[20:21], -v[6:7]
	v_add_f64 v[6:7], v[3:4], -v[10:11]
	v_add_f64 v[8:9], v[8:9], -v[12:13]
	v_add_f64 v[10:11], v[14:15], -v[16:17]
	v_add_f64 v[12:13], v[20:21], -v[18:19]
	ds_write_b128 v42, v[6:9] offset:512
	ds_write_b128 v42, v[10:13] offset:4624
.LBB333_24:
	;; [unrolled: 47-line block ×5, first 2 shown]
	s_or_b64 exec, exec, s[4:5]
	v_cmp_gt_u32_e64 s[0:1], 64, v0
	s_waitcnt lgkmcnt(0)
	s_barrier
	s_and_saveexec_b64 s[4:5], s[0:1]
	s_cbranch_execz .LBB333_32
; %bb.31:
	v_lshlrev_b32_e32 v42, 6, v0
	ds_read_b128 v[6:9], v42 offset:4176
	ds_read_b128 v[10:13], v42 offset:12336
	;; [unrolled: 1-line block ×4, first 2 shown]
	ds_read_b128 v[22:25], v42
	ds_read_b128 v[26:29], v42 offset:32
	ds_read_b128 v[30:33], v42 offset:20528
	;; [unrolled: 1-line block ×3, first 2 shown]
	s_waitcnt lgkmcnt(6)
	v_mul_f64 v[3:4], v[8:9], -v[12:13]
	v_mul_f64 v[38:39], v[8:9], v[10:11]
	s_waitcnt lgkmcnt(5)
	v_mul_f64 v[40:41], v[8:9], -v[16:17]
	v_mul_f64 v[8:9], v[8:9], v[14:15]
	v_fma_f64 v[3:4], v[10:11], v[6:7], v[3:4]
	v_fma_f64 v[10:11], v[12:13], v[6:7], v[38:39]
	s_waitcnt lgkmcnt(1)
	v_mul_f64 v[12:13], v[24:25], -v[32:33]
	v_mul_f64 v[38:39], v[24:25], v[30:31]
	v_fma_f64 v[14:15], v[14:15], v[6:7], v[40:41]
	s_waitcnt lgkmcnt(0)
	v_mul_f64 v[40:41], v[24:25], -v[36:37]
	v_mul_f64 v[24:25], v[24:25], v[34:35]
	v_fma_f64 v[6:7], v[16:17], v[6:7], v[8:9]
	v_add_f64 v[3:4], v[26:27], -v[3:4]
	v_add_f64 v[8:9], v[28:29], -v[10:11]
	v_fma_f64 v[10:11], v[30:31], v[22:23], v[12:13]
	v_fma_f64 v[12:13], v[32:33], v[22:23], v[38:39]
	v_add_f64 v[14:15], v[18:19], -v[14:15]
	v_fma_f64 v[16:17], v[34:35], v[22:23], v[40:41]
	v_fma_f64 v[18:19], v[36:37], v[22:23], v[24:25]
	v_add_f64 v[20:21], v[20:21], -v[6:7]
	v_add_f64 v[6:7], v[3:4], -v[10:11]
	;; [unrolled: 1-line block ×5, first 2 shown]
	ds_write_b128 v42, v[6:9] offset:32
	ds_write_b128 v42, v[10:13] offset:4144
.LBB333_32:
	s_or_b64 exec, exec, s[4:5]
	s_movk_i32 s0, 0x80
	v_cmp_gt_u32_e64 s[0:1], s0, v0
	s_waitcnt lgkmcnt(0)
	s_barrier
	s_and_saveexec_b64 s[4:5], s[0:1]
	s_cbranch_execz .LBB333_34
; %bb.33:
	v_lshlrev_b32_e32 v0, 5, v0
	ds_read_b128 v[6:9], v0 offset:4144
	ds_read_b128 v[10:13], v0 offset:12320
	;; [unrolled: 1-line block ×4, first 2 shown]
	ds_read_b128 v[22:25], v0
	ds_read_b128 v[26:29], v0 offset:16
	ds_read_b128 v[30:33], v0 offset:20512
	;; [unrolled: 1-line block ×3, first 2 shown]
	s_waitcnt lgkmcnt(6)
	v_mul_f64 v[3:4], v[8:9], -v[12:13]
	v_mul_f64 v[38:39], v[8:9], v[10:11]
	s_waitcnt lgkmcnt(5)
	v_mul_f64 v[40:41], v[8:9], -v[16:17]
	v_mul_f64 v[8:9], v[8:9], v[14:15]
	v_fma_f64 v[3:4], v[10:11], v[6:7], v[3:4]
	v_fma_f64 v[10:11], v[12:13], v[6:7], v[38:39]
	s_waitcnt lgkmcnt(1)
	v_mul_f64 v[12:13], v[24:25], -v[32:33]
	v_mul_f64 v[38:39], v[24:25], v[30:31]
	v_fma_f64 v[14:15], v[14:15], v[6:7], v[40:41]
	s_waitcnt lgkmcnt(0)
	v_mul_f64 v[40:41], v[24:25], -v[36:37]
	v_mul_f64 v[24:25], v[24:25], v[34:35]
	v_fma_f64 v[6:7], v[16:17], v[6:7], v[8:9]
	v_add_f64 v[3:4], v[26:27], -v[3:4]
	v_add_f64 v[8:9], v[28:29], -v[10:11]
	v_fma_f64 v[10:11], v[30:31], v[22:23], v[12:13]
	v_fma_f64 v[12:13], v[32:33], v[22:23], v[38:39]
	v_add_f64 v[14:15], v[18:19], -v[14:15]
	v_fma_f64 v[16:17], v[34:35], v[22:23], v[40:41]
	v_fma_f64 v[18:19], v[36:37], v[22:23], v[24:25]
	v_add_f64 v[20:21], v[20:21], -v[6:7]
	v_add_f64 v[6:7], v[3:4], -v[10:11]
	;; [unrolled: 1-line block ×5, first 2 shown]
	ds_write_b128 v0, v[6:9] offset:16
	ds_write_b128 v0, v[10:13] offset:4128
.LBB333_34:
	s_or_b64 exec, exec, s[4:5]
	s_waitcnt lgkmcnt(0)
	s_barrier
	s_and_saveexec_b64 s[0:1], vcc
	s_cbranch_execz .LBB333_36
; %bb.35:
	v_ashrrev_i32_e32 v6, 31, v5
	v_lshlrev_b64 v[3:4], 4, v[5:6]
	ds_read2_b64 v[6:9], v2 offset1:1
	v_mov_b32_e32 v0, s3
	v_add_co_u32_e32 v10, vcc, s2, v3
	v_addc_co_u32_e32 v11, vcc, v0, v4, vcc
	s_waitcnt lgkmcnt(0)
	v_mad_u64_u32 v[4:5], s[0:1], s20, 63, v[5:6]
	ds_read2_b64 v[0:3], v1 offset1:1
	v_mov_b32_e32 v5, 0
	v_lshlrev_b64 v[4:5], 4, v[4:5]
	global_store_dwordx4 v[10:11], v[6:9], off
	v_add_co_u32_e32 v4, vcc, s2, v4
	v_mov_b32_e32 v6, s3
	v_addc_co_u32_e32 v5, vcc, v6, v5, vcc
	s_waitcnt lgkmcnt(0)
	global_store_dwordx4 v[4:5], v[0:3], off
.LBB333_36:
	s_endpgm
	.section	.rodata,"a",@progbits
	.p2align	6, 0x0
	.amdhsa_kernel _ZN9rocsparseL33gtsv_solve_spike_propagate_kernelILj256ELj64E21rocsparse_complex_numIdEEEviiiPT1_PKS3_S6_S6_
		.amdhsa_group_segment_fixed_size 24608
		.amdhsa_private_segment_fixed_size 0
		.amdhsa_kernarg_size 304
		.amdhsa_user_sgpr_count 6
		.amdhsa_user_sgpr_private_segment_buffer 1
		.amdhsa_user_sgpr_dispatch_ptr 0
		.amdhsa_user_sgpr_queue_ptr 0
		.amdhsa_user_sgpr_kernarg_segment_ptr 1
		.amdhsa_user_sgpr_dispatch_id 0
		.amdhsa_user_sgpr_flat_scratch_init 0
		.amdhsa_user_sgpr_private_segment_size 0
		.amdhsa_uses_dynamic_stack 0
		.amdhsa_system_sgpr_private_segment_wavefront_offset 0
		.amdhsa_system_sgpr_workgroup_id_x 1
		.amdhsa_system_sgpr_workgroup_id_y 1
		.amdhsa_system_sgpr_workgroup_id_z 0
		.amdhsa_system_sgpr_workgroup_info 0
		.amdhsa_system_vgpr_workitem_id 0
		.amdhsa_next_free_vgpr 85
		.amdhsa_next_free_sgpr 98
		.amdhsa_reserve_vcc 1
		.amdhsa_reserve_flat_scratch 0
		.amdhsa_float_round_mode_32 0
		.amdhsa_float_round_mode_16_64 0
		.amdhsa_float_denorm_mode_32 3
		.amdhsa_float_denorm_mode_16_64 3
		.amdhsa_dx10_clamp 1
		.amdhsa_ieee_mode 1
		.amdhsa_fp16_overflow 0
		.amdhsa_exception_fp_ieee_invalid_op 0
		.amdhsa_exception_fp_denorm_src 0
		.amdhsa_exception_fp_ieee_div_zero 0
		.amdhsa_exception_fp_ieee_overflow 0
		.amdhsa_exception_fp_ieee_underflow 0
		.amdhsa_exception_fp_ieee_inexact 0
		.amdhsa_exception_int_div_zero 0
	.end_amdhsa_kernel
	.section	.text._ZN9rocsparseL33gtsv_solve_spike_propagate_kernelILj256ELj64E21rocsparse_complex_numIdEEEviiiPT1_PKS3_S6_S6_,"axG",@progbits,_ZN9rocsparseL33gtsv_solve_spike_propagate_kernelILj256ELj64E21rocsparse_complex_numIdEEEviiiPT1_PKS3_S6_S6_,comdat
.Lfunc_end333:
	.size	_ZN9rocsparseL33gtsv_solve_spike_propagate_kernelILj256ELj64E21rocsparse_complex_numIdEEEviiiPT1_PKS3_S6_S6_, .Lfunc_end333-_ZN9rocsparseL33gtsv_solve_spike_propagate_kernelILj256ELj64E21rocsparse_complex_numIdEEEviiiPT1_PKS3_S6_S6_
                                        ; -- End function
	.set _ZN9rocsparseL33gtsv_solve_spike_propagate_kernelILj256ELj64E21rocsparse_complex_numIdEEEviiiPT1_PKS3_S6_S6_.num_vgpr, 43
	.set _ZN9rocsparseL33gtsv_solve_spike_propagate_kernelILj256ELj64E21rocsparse_complex_numIdEEEviiiPT1_PKS3_S6_S6_.num_agpr, 0
	.set _ZN9rocsparseL33gtsv_solve_spike_propagate_kernelILj256ELj64E21rocsparse_complex_numIdEEEviiiPT1_PKS3_S6_S6_.numbered_sgpr, 22
	.set _ZN9rocsparseL33gtsv_solve_spike_propagate_kernelILj256ELj64E21rocsparse_complex_numIdEEEviiiPT1_PKS3_S6_S6_.num_named_barrier, 0
	.set _ZN9rocsparseL33gtsv_solve_spike_propagate_kernelILj256ELj64E21rocsparse_complex_numIdEEEviiiPT1_PKS3_S6_S6_.private_seg_size, 0
	.set _ZN9rocsparseL33gtsv_solve_spike_propagate_kernelILj256ELj64E21rocsparse_complex_numIdEEEviiiPT1_PKS3_S6_S6_.uses_vcc, 1
	.set _ZN9rocsparseL33gtsv_solve_spike_propagate_kernelILj256ELj64E21rocsparse_complex_numIdEEEviiiPT1_PKS3_S6_S6_.uses_flat_scratch, 0
	.set _ZN9rocsparseL33gtsv_solve_spike_propagate_kernelILj256ELj64E21rocsparse_complex_numIdEEEviiiPT1_PKS3_S6_S6_.has_dyn_sized_stack, 0
	.set _ZN9rocsparseL33gtsv_solve_spike_propagate_kernelILj256ELj64E21rocsparse_complex_numIdEEEviiiPT1_PKS3_S6_S6_.has_recursion, 0
	.set _ZN9rocsparseL33gtsv_solve_spike_propagate_kernelILj256ELj64E21rocsparse_complex_numIdEEEviiiPT1_PKS3_S6_S6_.has_indirect_call, 0
	.section	.AMDGPU.csdata,"",@progbits
; Kernel info:
; codeLenInByte = 3596
; TotalNumSgprs: 26
; NumVgprs: 43
; ScratchSize: 0
; MemoryBound: 0
; FloatMode: 240
; IeeeMode: 1
; LDSByteSize: 24608 bytes/workgroup (compile time only)
; SGPRBlocks: 12
; VGPRBlocks: 21
; NumSGPRsForWavesPerEU: 102
; NumVGPRsForWavesPerEU: 85
; Occupancy: 2
; WaveLimiterHint : 0
; COMPUTE_PGM_RSRC2:SCRATCH_EN: 0
; COMPUTE_PGM_RSRC2:USER_SGPR: 6
; COMPUTE_PGM_RSRC2:TRAP_HANDLER: 0
; COMPUTE_PGM_RSRC2:TGID_X_EN: 1
; COMPUTE_PGM_RSRC2:TGID_Y_EN: 1
; COMPUTE_PGM_RSRC2:TGID_Z_EN: 0
; COMPUTE_PGM_RSRC2:TIDIG_COMP_CNT: 0
	.section	.text._ZN9rocsparseL39gtsv_spike_backward_substitution_kernelILj256ELj64E21rocsparse_complex_numIdEEEviiiPT1_PKS3_S6_,"axG",@progbits,_ZN9rocsparseL39gtsv_spike_backward_substitution_kernelILj256ELj64E21rocsparse_complex_numIdEEEviiiPT1_PKS3_S6_,comdat
	.globl	_ZN9rocsparseL39gtsv_spike_backward_substitution_kernelILj256ELj64E21rocsparse_complex_numIdEEEviiiPT1_PKS3_S6_ ; -- Begin function _ZN9rocsparseL39gtsv_spike_backward_substitution_kernelILj256ELj64E21rocsparse_complex_numIdEEEviiiPT1_PKS3_S6_
	.p2align	8
	.type	_ZN9rocsparseL39gtsv_spike_backward_substitution_kernelILj256ELj64E21rocsparse_complex_numIdEEEviiiPT1_PKS3_S6_,@function
_ZN9rocsparseL39gtsv_spike_backward_substitution_kernelILj256ELj64E21rocsparse_complex_numIdEEEviiiPT1_PKS3_S6_: ; @_ZN9rocsparseL39gtsv_spike_backward_substitution_kernelILj256ELj64E21rocsparse_complex_numIdEEEviiiPT1_PKS3_S6_
; %bb.0:
	s_load_dword s12, s[4:5], 0x0
	s_lshl_b32 s6, s6, 8
	v_or_b32_e32 v9, s6, v0
	s_waitcnt lgkmcnt(0)
	s_lshr_b32 s10, s12, 6
	v_cmp_gt_i32_e32 vcc, s10, v9
	s_and_saveexec_b64 s[0:1], vcc
	s_cbranch_execz .LBB334_7
; %bb.1:
	s_load_dwordx2 s[8:9], s[4:5], 0x10
	v_mov_b32_e32 v1, 0
	v_mov_b32_e32 v3, 0
	v_cmp_lt_i32_e32 vcc, 0, v9
	v_mov_b32_e32 v2, 0
	v_mov_b32_e32 v4, 0
	s_mul_i32 s11, s12, s7
	s_and_saveexec_b64 s[0:1], vcc
	s_cbranch_execz .LBB334_3
; %bb.2:
	s_mul_i32 s2, s10, 63
	s_mul_i32 s3, s12, s7
	s_add_i32 s2, s2, s3
	v_add3_u32 v1, v9, s2, -1
	v_mov_b32_e32 v2, 0
	v_lshlrev_b64 v[1:2], 4, v[1:2]
	s_waitcnt lgkmcnt(0)
	v_mov_b32_e32 v3, s9
	v_add_co_u32_e32 v1, vcc, s8, v1
	v_addc_co_u32_e32 v2, vcc, v3, v2, vcc
	global_load_dwordx4 v[1:4], v[1:2], off
.LBB334_3:
	s_or_b64 exec, exec, s[0:1]
	s_load_dwordx4 s[0:3], s[4:5], 0x18
	v_add_u32_e32 v5, 64, v9
	v_cmp_le_u32_e32 vcc, s12, v5
	s_and_saveexec_b64 s[4:5], vcc
	s_xor_b64 s[4:5], exec, s[4:5]
	s_or_saveexec_b64 s[4:5], s[4:5]
	v_mov_b32_e32 v5, 0
	v_mov_b32_e32 v7, 0
	;; [unrolled: 1-line block ×5, first 2 shown]
	s_xor_b64 exec, exec, s[4:5]
	s_cbranch_execz .LBB334_5
; %bb.4:
	s_ashr_i32 s7, s11, 31
	v_ashrrev_i32_e32 v6, 31, v9
	v_mov_b32_e32 v7, s7
	v_add_co_u32_e32 v5, vcc, s11, v9
	v_addc_co_u32_e32 v6, vcc, v6, v7, vcc
	v_lshlrev_b64 v[5:6], 4, v[5:6]
	s_waitcnt lgkmcnt(0)
	v_mov_b32_e32 v7, s9
	v_add_co_u32_e32 v5, vcc, s8, v5
	v_addc_co_u32_e32 v6, vcc, v7, v6, vcc
	global_load_dwordx4 v[5:8], v[5:6], off offset:16
	v_mov_b32_e32 v13, s11
.LBB334_5:
	s_or_b64 exec, exec, s[4:5]
	s_lshl_b32 s4, s10, 1
	s_add_i32 s6, s6, s10
	v_add_u32_e32 v9, s4, v9
	v_add_u32_e32 v11, s6, v0
	s_mov_b32 s5, 62
	s_waitcnt lgkmcnt(0)
	v_mov_b32_e32 v0, s9
	v_mov_b32_e32 v14, s1
	;; [unrolled: 1-line block ×3, first 2 shown]
.LBB334_6:                              ; =>This Inner Loop Header: Depth=1
	v_add_u32_e32 v16, v13, v11
	v_ashrrev_i32_e32 v17, 31, v16
	v_lshlrev_b64 v[16:17], 4, v[16:17]
	v_ashrrev_i32_e32 v12, 31, v11
	v_add_co_u32_e32 v20, vcc, s8, v16
	v_lshlrev_b64 v[22:23], 4, v[11:12]
	v_addc_co_u32_e32 v21, vcc, v0, v17, vcc
	v_add_co_u32_e32 v16, vcc, s0, v22
	v_addc_co_u32_e32 v17, vcc, v14, v23, vcc
	global_load_dwordx4 v[16:19], v[16:17], off
	v_ashrrev_i32_e32 v10, 31, v9
	s_add_i32 s5, s5, -2
	v_add_u32_e32 v11, s4, v11
	s_cmp_lg_u32 s5, 0
	s_waitcnt vmcnt(0)
	v_mul_f64 v[24:25], v[3:4], -v[18:19]
	v_fma_f64 v[24:25], v[16:17], v[1:2], v[24:25]
	v_mul_f64 v[16:17], v[3:4], v[16:17]
	v_fma_f64 v[26:27], v[18:19], v[1:2], v[16:17]
	global_load_dwordx4 v[16:19], v[20:21], off
	s_waitcnt vmcnt(0)
	v_add_f64 v[24:25], v[16:17], -v[24:25]
	v_add_co_u32_e32 v16, vcc, s2, v22
	v_addc_co_u32_e32 v17, vcc, v15, v23, vcc
	v_add_f64 v[26:27], v[18:19], -v[26:27]
	global_load_dwordx4 v[16:19], v[16:17], off
	s_waitcnt vmcnt(0)
	v_mul_f64 v[22:23], v[7:8], -v[18:19]
	v_fma_f64 v[22:23], v[16:17], v[5:6], v[22:23]
	v_mul_f64 v[16:17], v[7:8], v[16:17]
	v_fma_f64 v[18:19], v[18:19], v[5:6], v[16:17]
	v_add_f64 v[16:17], v[24:25], -v[22:23]
	v_lshlrev_b64 v[22:23], 4, v[9:10]
	v_add_f64 v[18:19], v[26:27], -v[18:19]
	global_store_dwordx4 v[20:21], v[16:19], off
	s_nop 0
	v_add_u32_e32 v16, v13, v9
	v_ashrrev_i32_e32 v17, 31, v16
	v_lshlrev_b64 v[16:17], 4, v[16:17]
	v_add_u32_e32 v9, s4, v9
	v_add_co_u32_e32 v20, vcc, s8, v16
	v_addc_co_u32_e32 v21, vcc, v0, v17, vcc
	v_add_co_u32_e32 v16, vcc, s0, v22
	v_addc_co_u32_e32 v17, vcc, v14, v23, vcc
	global_load_dwordx4 v[16:19], v[16:17], off
	s_waitcnt vmcnt(0)
	v_mul_f64 v[24:25], v[3:4], -v[18:19]
	v_fma_f64 v[24:25], v[16:17], v[1:2], v[24:25]
	v_mul_f64 v[16:17], v[3:4], v[16:17]
	v_fma_f64 v[26:27], v[18:19], v[1:2], v[16:17]
	global_load_dwordx4 v[16:19], v[20:21], off
	s_waitcnt vmcnt(0)
	v_add_f64 v[24:25], v[16:17], -v[24:25]
	v_add_co_u32_e32 v16, vcc, s2, v22
	v_addc_co_u32_e32 v17, vcc, v15, v23, vcc
	v_add_f64 v[26:27], v[18:19], -v[26:27]
	global_load_dwordx4 v[16:19], v[16:17], off
	s_waitcnt vmcnt(0)
	v_mul_f64 v[22:23], v[7:8], -v[18:19]
	v_fma_f64 v[22:23], v[16:17], v[5:6], v[22:23]
	v_mul_f64 v[16:17], v[7:8], v[16:17]
	v_fma_f64 v[18:19], v[18:19], v[5:6], v[16:17]
	v_add_f64 v[16:17], v[24:25], -v[22:23]
	v_add_f64 v[18:19], v[26:27], -v[18:19]
	global_store_dwordx4 v[20:21], v[16:19], off
	s_cbranch_scc1 .LBB334_6
.LBB334_7:
	s_endpgm
	.section	.rodata,"a",@progbits
	.p2align	6, 0x0
	.amdhsa_kernel _ZN9rocsparseL39gtsv_spike_backward_substitution_kernelILj256ELj64E21rocsparse_complex_numIdEEEviiiPT1_PKS3_S6_
		.amdhsa_group_segment_fixed_size 0
		.amdhsa_private_segment_fixed_size 0
		.amdhsa_kernarg_size 40
		.amdhsa_user_sgpr_count 6
		.amdhsa_user_sgpr_private_segment_buffer 1
		.amdhsa_user_sgpr_dispatch_ptr 0
		.amdhsa_user_sgpr_queue_ptr 0
		.amdhsa_user_sgpr_kernarg_segment_ptr 1
		.amdhsa_user_sgpr_dispatch_id 0
		.amdhsa_user_sgpr_flat_scratch_init 0
		.amdhsa_user_sgpr_private_segment_size 0
		.amdhsa_uses_dynamic_stack 0
		.amdhsa_system_sgpr_private_segment_wavefront_offset 0
		.amdhsa_system_sgpr_workgroup_id_x 1
		.amdhsa_system_sgpr_workgroup_id_y 1
		.amdhsa_system_sgpr_workgroup_id_z 0
		.amdhsa_system_sgpr_workgroup_info 0
		.amdhsa_system_vgpr_workitem_id 0
		.amdhsa_next_free_vgpr 28
		.amdhsa_next_free_sgpr 13
		.amdhsa_reserve_vcc 1
		.amdhsa_reserve_flat_scratch 0
		.amdhsa_float_round_mode_32 0
		.amdhsa_float_round_mode_16_64 0
		.amdhsa_float_denorm_mode_32 3
		.amdhsa_float_denorm_mode_16_64 3
		.amdhsa_dx10_clamp 1
		.amdhsa_ieee_mode 1
		.amdhsa_fp16_overflow 0
		.amdhsa_exception_fp_ieee_invalid_op 0
		.amdhsa_exception_fp_denorm_src 0
		.amdhsa_exception_fp_ieee_div_zero 0
		.amdhsa_exception_fp_ieee_overflow 0
		.amdhsa_exception_fp_ieee_underflow 0
		.amdhsa_exception_fp_ieee_inexact 0
		.amdhsa_exception_int_div_zero 0
	.end_amdhsa_kernel
	.section	.text._ZN9rocsparseL39gtsv_spike_backward_substitution_kernelILj256ELj64E21rocsparse_complex_numIdEEEviiiPT1_PKS3_S6_,"axG",@progbits,_ZN9rocsparseL39gtsv_spike_backward_substitution_kernelILj256ELj64E21rocsparse_complex_numIdEEEviiiPT1_PKS3_S6_,comdat
.Lfunc_end334:
	.size	_ZN9rocsparseL39gtsv_spike_backward_substitution_kernelILj256ELj64E21rocsparse_complex_numIdEEEviiiPT1_PKS3_S6_, .Lfunc_end334-_ZN9rocsparseL39gtsv_spike_backward_substitution_kernelILj256ELj64E21rocsparse_complex_numIdEEEviiiPT1_PKS3_S6_
                                        ; -- End function
	.set _ZN9rocsparseL39gtsv_spike_backward_substitution_kernelILj256ELj64E21rocsparse_complex_numIdEEEviiiPT1_PKS3_S6_.num_vgpr, 28
	.set _ZN9rocsparseL39gtsv_spike_backward_substitution_kernelILj256ELj64E21rocsparse_complex_numIdEEEviiiPT1_PKS3_S6_.num_agpr, 0
	.set _ZN9rocsparseL39gtsv_spike_backward_substitution_kernelILj256ELj64E21rocsparse_complex_numIdEEEviiiPT1_PKS3_S6_.numbered_sgpr, 13
	.set _ZN9rocsparseL39gtsv_spike_backward_substitution_kernelILj256ELj64E21rocsparse_complex_numIdEEEviiiPT1_PKS3_S6_.num_named_barrier, 0
	.set _ZN9rocsparseL39gtsv_spike_backward_substitution_kernelILj256ELj64E21rocsparse_complex_numIdEEEviiiPT1_PKS3_S6_.private_seg_size, 0
	.set _ZN9rocsparseL39gtsv_spike_backward_substitution_kernelILj256ELj64E21rocsparse_complex_numIdEEEviiiPT1_PKS3_S6_.uses_vcc, 1
	.set _ZN9rocsparseL39gtsv_spike_backward_substitution_kernelILj256ELj64E21rocsparse_complex_numIdEEEviiiPT1_PKS3_S6_.uses_flat_scratch, 0
	.set _ZN9rocsparseL39gtsv_spike_backward_substitution_kernelILj256ELj64E21rocsparse_complex_numIdEEEviiiPT1_PKS3_S6_.has_dyn_sized_stack, 0
	.set _ZN9rocsparseL39gtsv_spike_backward_substitution_kernelILj256ELj64E21rocsparse_complex_numIdEEEviiiPT1_PKS3_S6_.has_recursion, 0
	.set _ZN9rocsparseL39gtsv_spike_backward_substitution_kernelILj256ELj64E21rocsparse_complex_numIdEEEviiiPT1_PKS3_S6_.has_indirect_call, 0
	.section	.AMDGPU.csdata,"",@progbits
; Kernel info:
; codeLenInByte = 700
; TotalNumSgprs: 17
; NumVgprs: 28
; ScratchSize: 0
; MemoryBound: 0
; FloatMode: 240
; IeeeMode: 1
; LDSByteSize: 0 bytes/workgroup (compile time only)
; SGPRBlocks: 2
; VGPRBlocks: 6
; NumSGPRsForWavesPerEU: 17
; NumVGPRsForWavesPerEU: 28
; Occupancy: 9
; WaveLimiterHint : 0
; COMPUTE_PGM_RSRC2:SCRATCH_EN: 0
; COMPUTE_PGM_RSRC2:USER_SGPR: 6
; COMPUTE_PGM_RSRC2:TRAP_HANDLER: 0
; COMPUTE_PGM_RSRC2:TGID_X_EN: 1
; COMPUTE_PGM_RSRC2:TGID_Y_EN: 1
; COMPUTE_PGM_RSRC2:TGID_Z_EN: 0
; COMPUTE_PGM_RSRC2:TIDIG_COMP_CNT: 0
	.section	.text._ZN9rocsparseL32gtsv_transpose_back_array_kernelILj256ELj64E21rocsparse_complex_numIdEEEviiiPKT1_PS3_,"axG",@progbits,_ZN9rocsparseL32gtsv_transpose_back_array_kernelILj256ELj64E21rocsparse_complex_numIdEEEviiiPKT1_PS3_,comdat
	.globl	_ZN9rocsparseL32gtsv_transpose_back_array_kernelILj256ELj64E21rocsparse_complex_numIdEEEviiiPKT1_PS3_ ; -- Begin function _ZN9rocsparseL32gtsv_transpose_back_array_kernelILj256ELj64E21rocsparse_complex_numIdEEEviiiPKT1_PS3_
	.p2align	8
	.type	_ZN9rocsparseL32gtsv_transpose_back_array_kernelILj256ELj64E21rocsparse_complex_numIdEEEviiiPKT1_PS3_,@function
_ZN9rocsparseL32gtsv_transpose_back_array_kernelILj256ELj64E21rocsparse_complex_numIdEEEviiiPKT1_PS3_: ; @_ZN9rocsparseL32gtsv_transpose_back_array_kernelILj256ELj64E21rocsparse_complex_numIdEEEviiiPKT1_PS3_
; %bb.0:
	s_load_dwordx4 s[0:3], s[4:5], 0x0
	s_waitcnt lgkmcnt(0)
	v_cvt_f32_u32_e32 v1, s1
	s_sub_i32 s3, 0, s1
	v_rcp_iflag_f32_e32 v1, v1
	v_mul_f32_e32 v1, 0x4f7ffffe, v1
	v_cvt_u32_f32_e32 v2, v1
	v_mul_lo_u32 v1, s3, v2
	v_mul_hi_u32 v3, v2, v1
	v_lshl_or_b32 v1, s6, 8, v0
	v_lshlrev_b32_e32 v0, 6, v1
	v_add_u32_e32 v2, v2, v3
	v_mul_hi_u32 v2, v0, v2
	v_mul_lo_u32 v3, v2, s1
	v_add_u32_e32 v4, 1, v2
	v_sub_u32_e32 v3, v0, v3
	v_cmp_le_u32_e32 vcc, s1, v3
	v_cndmask_b32_e32 v2, v2, v4, vcc
	v_subrev_u32_e32 v4, s1, v3
	v_cndmask_b32_e32 v3, v3, v4, vcc
	v_add_u32_e32 v4, 1, v2
	v_cmp_le_u32_e32 vcc, s1, v3
	v_cndmask_b32_e32 v2, v2, v4, vcc
	v_mul_lo_u32 v3, v2, s1
	v_sub_u32_e32 v0, v0, v3
	v_add_u32_e32 v0, v2, v0
	v_cmp_gt_i32_e32 vcc, s0, v0
	s_and_saveexec_b64 s[8:9], vcc
	s_cbranch_execz .LBB335_2
; %bb.1:
	s_load_dwordx4 s[8:11], s[4:5], 0x10
	s_mul_i32 s0, s1, s7
	v_add_u32_e32 v1, s0, v1
	v_ashrrev_i32_e32 v2, 31, v1
	v_lshlrev_b64 v[1:2], 4, v[1:2]
	s_waitcnt lgkmcnt(0)
	v_mov_b32_e32 v3, s9
	v_add_co_u32_e32 v1, vcc, s8, v1
	v_addc_co_u32_e32 v2, vcc, v3, v2, vcc
	global_load_dwordx4 v[1:4], v[1:2], off
	s_mul_i32 s0, s2, s7
	v_add_u32_e32 v5, s0, v0
	v_ashrrev_i32_e32 v6, 31, v5
	v_lshlrev_b64 v[5:6], 4, v[5:6]
	v_mov_b32_e32 v0, s11
	v_add_co_u32_e32 v5, vcc, s10, v5
	v_addc_co_u32_e32 v6, vcc, v0, v6, vcc
	s_waitcnt vmcnt(0)
	global_store_dwordx4 v[5:6], v[1:4], off
.LBB335_2:
	s_endpgm
	.section	.rodata,"a",@progbits
	.p2align	6, 0x0
	.amdhsa_kernel _ZN9rocsparseL32gtsv_transpose_back_array_kernelILj256ELj64E21rocsparse_complex_numIdEEEviiiPKT1_PS3_
		.amdhsa_group_segment_fixed_size 0
		.amdhsa_private_segment_fixed_size 0
		.amdhsa_kernarg_size 32
		.amdhsa_user_sgpr_count 6
		.amdhsa_user_sgpr_private_segment_buffer 1
		.amdhsa_user_sgpr_dispatch_ptr 0
		.amdhsa_user_sgpr_queue_ptr 0
		.amdhsa_user_sgpr_kernarg_segment_ptr 1
		.amdhsa_user_sgpr_dispatch_id 0
		.amdhsa_user_sgpr_flat_scratch_init 0
		.amdhsa_user_sgpr_private_segment_size 0
		.amdhsa_uses_dynamic_stack 0
		.amdhsa_system_sgpr_private_segment_wavefront_offset 0
		.amdhsa_system_sgpr_workgroup_id_x 1
		.amdhsa_system_sgpr_workgroup_id_y 1
		.amdhsa_system_sgpr_workgroup_id_z 0
		.amdhsa_system_sgpr_workgroup_info 0
		.amdhsa_system_vgpr_workitem_id 0
		.amdhsa_next_free_vgpr 7
		.amdhsa_next_free_sgpr 12
		.amdhsa_reserve_vcc 1
		.amdhsa_reserve_flat_scratch 0
		.amdhsa_float_round_mode_32 0
		.amdhsa_float_round_mode_16_64 0
		.amdhsa_float_denorm_mode_32 3
		.amdhsa_float_denorm_mode_16_64 3
		.amdhsa_dx10_clamp 1
		.amdhsa_ieee_mode 1
		.amdhsa_fp16_overflow 0
		.amdhsa_exception_fp_ieee_invalid_op 0
		.amdhsa_exception_fp_denorm_src 0
		.amdhsa_exception_fp_ieee_div_zero 0
		.amdhsa_exception_fp_ieee_overflow 0
		.amdhsa_exception_fp_ieee_underflow 0
		.amdhsa_exception_fp_ieee_inexact 0
		.amdhsa_exception_int_div_zero 0
	.end_amdhsa_kernel
	.section	.text._ZN9rocsparseL32gtsv_transpose_back_array_kernelILj256ELj64E21rocsparse_complex_numIdEEEviiiPKT1_PS3_,"axG",@progbits,_ZN9rocsparseL32gtsv_transpose_back_array_kernelILj256ELj64E21rocsparse_complex_numIdEEEviiiPKT1_PS3_,comdat
.Lfunc_end335:
	.size	_ZN9rocsparseL32gtsv_transpose_back_array_kernelILj256ELj64E21rocsparse_complex_numIdEEEviiiPKT1_PS3_, .Lfunc_end335-_ZN9rocsparseL32gtsv_transpose_back_array_kernelILj256ELj64E21rocsparse_complex_numIdEEEviiiPKT1_PS3_
                                        ; -- End function
	.set _ZN9rocsparseL32gtsv_transpose_back_array_kernelILj256ELj64E21rocsparse_complex_numIdEEEviiiPKT1_PS3_.num_vgpr, 7
	.set _ZN9rocsparseL32gtsv_transpose_back_array_kernelILj256ELj64E21rocsparse_complex_numIdEEEviiiPKT1_PS3_.num_agpr, 0
	.set _ZN9rocsparseL32gtsv_transpose_back_array_kernelILj256ELj64E21rocsparse_complex_numIdEEEviiiPKT1_PS3_.numbered_sgpr, 12
	.set _ZN9rocsparseL32gtsv_transpose_back_array_kernelILj256ELj64E21rocsparse_complex_numIdEEEviiiPKT1_PS3_.num_named_barrier, 0
	.set _ZN9rocsparseL32gtsv_transpose_back_array_kernelILj256ELj64E21rocsparse_complex_numIdEEEviiiPKT1_PS3_.private_seg_size, 0
	.set _ZN9rocsparseL32gtsv_transpose_back_array_kernelILj256ELj64E21rocsparse_complex_numIdEEEviiiPKT1_PS3_.uses_vcc, 1
	.set _ZN9rocsparseL32gtsv_transpose_back_array_kernelILj256ELj64E21rocsparse_complex_numIdEEEviiiPKT1_PS3_.uses_flat_scratch, 0
	.set _ZN9rocsparseL32gtsv_transpose_back_array_kernelILj256ELj64E21rocsparse_complex_numIdEEEviiiPKT1_PS3_.has_dyn_sized_stack, 0
	.set _ZN9rocsparseL32gtsv_transpose_back_array_kernelILj256ELj64E21rocsparse_complex_numIdEEEviiiPKT1_PS3_.has_recursion, 0
	.set _ZN9rocsparseL32gtsv_transpose_back_array_kernelILj256ELj64E21rocsparse_complex_numIdEEEviiiPKT1_PS3_.has_indirect_call, 0
	.section	.AMDGPU.csdata,"",@progbits
; Kernel info:
; codeLenInByte = 248
; TotalNumSgprs: 16
; NumVgprs: 7
; ScratchSize: 0
; MemoryBound: 0
; FloatMode: 240
; IeeeMode: 1
; LDSByteSize: 0 bytes/workgroup (compile time only)
; SGPRBlocks: 1
; VGPRBlocks: 1
; NumSGPRsForWavesPerEU: 16
; NumVGPRsForWavesPerEU: 7
; Occupancy: 10
; WaveLimiterHint : 0
; COMPUTE_PGM_RSRC2:SCRATCH_EN: 0
; COMPUTE_PGM_RSRC2:USER_SGPR: 6
; COMPUTE_PGM_RSRC2:TRAP_HANDLER: 0
; COMPUTE_PGM_RSRC2:TGID_X_EN: 1
; COMPUTE_PGM_RSRC2:TGID_Y_EN: 1
; COMPUTE_PGM_RSRC2:TGID_Z_EN: 0
; COMPUTE_PGM_RSRC2:TIDIG_COMP_CNT: 0
	.section	.text._ZN9rocsparseL42gtsv_transpose_and_pad_array_shared_kernelILj256ELj128E21rocsparse_complex_numIdEEEviiiPKT1_PS3_S3_,"axG",@progbits,_ZN9rocsparseL42gtsv_transpose_and_pad_array_shared_kernelILj256ELj128E21rocsparse_complex_numIdEEEviiiPKT1_PS3_S3_,comdat
	.globl	_ZN9rocsparseL42gtsv_transpose_and_pad_array_shared_kernelILj256ELj128E21rocsparse_complex_numIdEEEviiiPKT1_PS3_S3_ ; -- Begin function _ZN9rocsparseL42gtsv_transpose_and_pad_array_shared_kernelILj256ELj128E21rocsparse_complex_numIdEEEviiiPKT1_PS3_S3_
	.p2align	8
	.type	_ZN9rocsparseL42gtsv_transpose_and_pad_array_shared_kernelILj256ELj128E21rocsparse_complex_numIdEEEviiiPKT1_PS3_S3_,@function
_ZN9rocsparseL42gtsv_transpose_and_pad_array_shared_kernelILj256ELj128E21rocsparse_complex_numIdEEEviiiPKT1_PS3_S3_: ; @_ZN9rocsparseL42gtsv_transpose_and_pad_array_shared_kernelILj256ELj128E21rocsparse_complex_numIdEEEviiiPKT1_PS3_S3_
; %bb.0:
	s_load_dwordx4 s[0:3], s[4:5], 0x0
	v_lshl_or_b32 v2, s6, 8, v0
	v_lshlrev_b32_e32 v1, 4, v0
	s_waitcnt lgkmcnt(0)
	v_cmp_le_i32_e32 vcc, s0, v2
	s_and_saveexec_b64 s[8:9], vcc
	s_xor_b64 s[8:9], exec, s[8:9]
	s_cbranch_execz .LBB336_2
; %bb.1:
	s_load_dwordx4 s[12:15], s[4:5], 0x20
	s_waitcnt lgkmcnt(0)
	v_mov_b32_e32 v2, s12
	v_mov_b32_e32 v3, s13
	v_mov_b32_e32 v4, s14
	v_mov_b32_e32 v5, s15
	ds_write_b128 v1, v[2:5]
                                        ; implicit-def: $vgpr2
                                        ; implicit-def: $vgpr1
.LBB336_2:
	s_andn2_saveexec_b64 s[8:9], s[8:9]
	s_cbranch_execz .LBB336_4
; %bb.3:
	s_load_dwordx2 s[10:11], s[4:5], 0x10
	s_mul_i32 s0, s2, s7
	v_add_u32_e32 v2, s0, v2
	v_ashrrev_i32_e32 v3, 31, v2
	v_lshlrev_b64 v[2:3], 4, v[2:3]
	s_waitcnt lgkmcnt(0)
	v_mov_b32_e32 v4, s11
	v_add_co_u32_e32 v2, vcc, s10, v2
	v_addc_co_u32_e32 v3, vcc, v4, v3, vcc
	global_load_dwordx4 v[2:5], v[2:3], off
	s_waitcnt vmcnt(0)
	ds_write2_b64 v1, v[2:3], v[4:5] offset1:1
.LBB336_4:
	s_or_b64 exec, exec, s[8:9]
	v_and_b32_e32 v3, 1, v0
	v_lshrrev_b32_e32 v2, 1, v0
	s_lshr_b32 s0, s1, 7
	v_lshl_or_b32 v0, s6, 1, v3
	v_mad_u64_u32 v[0:1], s[2:3], s0, v2, v[0:1]
	s_waitcnt lgkmcnt(0)
	s_barrier
	v_cmp_gt_i32_e32 vcc, s1, v0
	s_and_saveexec_b64 s[2:3], vcc
	s_cbranch_execz .LBB336_6
; %bb.5:
	s_mul_i32 s0, s1, s7
	s_load_dwordx2 s[2:3], s[4:5], 0x18
	v_lshlrev_b32_e32 v1, 4, v2
	v_add_u32_e32 v0, s0, v0
	v_lshl_or_b32 v2, v3, 11, v1
	v_ashrrev_i32_e32 v1, 31, v0
	v_lshlrev_b64 v[4:5], 4, v[0:1]
	ds_read2_b64 v[0:3], v2 offset1:1
	s_waitcnt lgkmcnt(0)
	v_mov_b32_e32 v6, s3
	v_add_co_u32_e32 v4, vcc, s2, v4
	v_addc_co_u32_e32 v5, vcc, v6, v5, vcc
	global_store_dwordx4 v[4:5], v[0:3], off
.LBB336_6:
	s_endpgm
	.section	.rodata,"a",@progbits
	.p2align	6, 0x0
	.amdhsa_kernel _ZN9rocsparseL42gtsv_transpose_and_pad_array_shared_kernelILj256ELj128E21rocsparse_complex_numIdEEEviiiPKT1_PS3_S3_
		.amdhsa_group_segment_fixed_size 4096
		.amdhsa_private_segment_fixed_size 0
		.amdhsa_kernarg_size 48
		.amdhsa_user_sgpr_count 6
		.amdhsa_user_sgpr_private_segment_buffer 1
		.amdhsa_user_sgpr_dispatch_ptr 0
		.amdhsa_user_sgpr_queue_ptr 0
		.amdhsa_user_sgpr_kernarg_segment_ptr 1
		.amdhsa_user_sgpr_dispatch_id 0
		.amdhsa_user_sgpr_flat_scratch_init 0
		.amdhsa_user_sgpr_private_segment_size 0
		.amdhsa_uses_dynamic_stack 0
		.amdhsa_system_sgpr_private_segment_wavefront_offset 0
		.amdhsa_system_sgpr_workgroup_id_x 1
		.amdhsa_system_sgpr_workgroup_id_y 1
		.amdhsa_system_sgpr_workgroup_id_z 0
		.amdhsa_system_sgpr_workgroup_info 0
		.amdhsa_system_vgpr_workitem_id 0
		.amdhsa_next_free_vgpr 7
		.amdhsa_next_free_sgpr 16
		.amdhsa_reserve_vcc 1
		.amdhsa_reserve_flat_scratch 0
		.amdhsa_float_round_mode_32 0
		.amdhsa_float_round_mode_16_64 0
		.amdhsa_float_denorm_mode_32 3
		.amdhsa_float_denorm_mode_16_64 3
		.amdhsa_dx10_clamp 1
		.amdhsa_ieee_mode 1
		.amdhsa_fp16_overflow 0
		.amdhsa_exception_fp_ieee_invalid_op 0
		.amdhsa_exception_fp_denorm_src 0
		.amdhsa_exception_fp_ieee_div_zero 0
		.amdhsa_exception_fp_ieee_overflow 0
		.amdhsa_exception_fp_ieee_underflow 0
		.amdhsa_exception_fp_ieee_inexact 0
		.amdhsa_exception_int_div_zero 0
	.end_amdhsa_kernel
	.section	.text._ZN9rocsparseL42gtsv_transpose_and_pad_array_shared_kernelILj256ELj128E21rocsparse_complex_numIdEEEviiiPKT1_PS3_S3_,"axG",@progbits,_ZN9rocsparseL42gtsv_transpose_and_pad_array_shared_kernelILj256ELj128E21rocsparse_complex_numIdEEEviiiPKT1_PS3_S3_,comdat
.Lfunc_end336:
	.size	_ZN9rocsparseL42gtsv_transpose_and_pad_array_shared_kernelILj256ELj128E21rocsparse_complex_numIdEEEviiiPKT1_PS3_S3_, .Lfunc_end336-_ZN9rocsparseL42gtsv_transpose_and_pad_array_shared_kernelILj256ELj128E21rocsparse_complex_numIdEEEviiiPKT1_PS3_S3_
                                        ; -- End function
	.set _ZN9rocsparseL42gtsv_transpose_and_pad_array_shared_kernelILj256ELj128E21rocsparse_complex_numIdEEEviiiPKT1_PS3_S3_.num_vgpr, 7
	.set _ZN9rocsparseL42gtsv_transpose_and_pad_array_shared_kernelILj256ELj128E21rocsparse_complex_numIdEEEviiiPKT1_PS3_S3_.num_agpr, 0
	.set _ZN9rocsparseL42gtsv_transpose_and_pad_array_shared_kernelILj256ELj128E21rocsparse_complex_numIdEEEviiiPKT1_PS3_S3_.numbered_sgpr, 16
	.set _ZN9rocsparseL42gtsv_transpose_and_pad_array_shared_kernelILj256ELj128E21rocsparse_complex_numIdEEEviiiPKT1_PS3_S3_.num_named_barrier, 0
	.set _ZN9rocsparseL42gtsv_transpose_and_pad_array_shared_kernelILj256ELj128E21rocsparse_complex_numIdEEEviiiPKT1_PS3_S3_.private_seg_size, 0
	.set _ZN9rocsparseL42gtsv_transpose_and_pad_array_shared_kernelILj256ELj128E21rocsparse_complex_numIdEEEviiiPKT1_PS3_S3_.uses_vcc, 1
	.set _ZN9rocsparseL42gtsv_transpose_and_pad_array_shared_kernelILj256ELj128E21rocsparse_complex_numIdEEEviiiPKT1_PS3_S3_.uses_flat_scratch, 0
	.set _ZN9rocsparseL42gtsv_transpose_and_pad_array_shared_kernelILj256ELj128E21rocsparse_complex_numIdEEEviiiPKT1_PS3_S3_.has_dyn_sized_stack, 0
	.set _ZN9rocsparseL42gtsv_transpose_and_pad_array_shared_kernelILj256ELj128E21rocsparse_complex_numIdEEEviiiPKT1_PS3_S3_.has_recursion, 0
	.set _ZN9rocsparseL42gtsv_transpose_and_pad_array_shared_kernelILj256ELj128E21rocsparse_complex_numIdEEEviiiPKT1_PS3_S3_.has_indirect_call, 0
	.section	.AMDGPU.csdata,"",@progbits
; Kernel info:
; codeLenInByte = 276
; TotalNumSgprs: 20
; NumVgprs: 7
; ScratchSize: 0
; MemoryBound: 0
; FloatMode: 240
; IeeeMode: 1
; LDSByteSize: 4096 bytes/workgroup (compile time only)
; SGPRBlocks: 2
; VGPRBlocks: 1
; NumSGPRsForWavesPerEU: 20
; NumVGPRsForWavesPerEU: 7
; Occupancy: 10
; WaveLimiterHint : 0
; COMPUTE_PGM_RSRC2:SCRATCH_EN: 0
; COMPUTE_PGM_RSRC2:USER_SGPR: 6
; COMPUTE_PGM_RSRC2:TRAP_HANDLER: 0
; COMPUTE_PGM_RSRC2:TGID_X_EN: 1
; COMPUTE_PGM_RSRC2:TGID_Y_EN: 1
; COMPUTE_PGM_RSRC2:TGID_Z_EN: 0
; COMPUTE_PGM_RSRC2:TIDIG_COMP_CNT: 0
	.section	.text._ZN9rocsparseL18gtsv_LBM_wv_kernelILj256ELj128E21rocsparse_complex_numIdEEEviiiPKT1_S5_S5_PS3_S6_S6_Pi,"axG",@progbits,_ZN9rocsparseL18gtsv_LBM_wv_kernelILj256ELj128E21rocsparse_complex_numIdEEEviiiPKT1_S5_S5_PS3_S6_S6_Pi,comdat
	.globl	_ZN9rocsparseL18gtsv_LBM_wv_kernelILj256ELj128E21rocsparse_complex_numIdEEEviiiPKT1_S5_S5_PS3_S6_S6_Pi ; -- Begin function _ZN9rocsparseL18gtsv_LBM_wv_kernelILj256ELj128E21rocsparse_complex_numIdEEEviiiPKT1_S5_S5_PS3_S6_S6_Pi
	.p2align	8
	.type	_ZN9rocsparseL18gtsv_LBM_wv_kernelILj256ELj128E21rocsparse_complex_numIdEEEviiiPKT1_S5_S5_PS3_S6_S6_Pi,@function
_ZN9rocsparseL18gtsv_LBM_wv_kernelILj256ELj128E21rocsparse_complex_numIdEEEviiiPKT1_S5_S5_PS3_S6_S6_Pi: ; @_ZN9rocsparseL18gtsv_LBM_wv_kernelILj256ELj128E21rocsparse_complex_numIdEEEviiiPKT1_S5_S5_PS3_S6_S6_Pi
; %bb.0:
	s_load_dword s29, s[4:5], 0x0
	v_lshl_or_b32 v40, s6, 8, v0
	s_waitcnt lgkmcnt(0)
	s_lshr_b32 s28, s29, 7
	v_cmp_gt_i32_e32 vcc, s28, v40
	s_and_saveexec_b64 s[0:1], vcc
	s_cbranch_execz .LBB337_72
; %bb.1:
	s_load_dwordx2 s[16:17], s[4:5], 0x10
	s_load_dwordx8 s[8:15], s[4:5], 0x20
	v_ashrrev_i32_e32 v41, 31, v40
	v_lshlrev_b64 v[0:1], 4, v[40:41]
	s_mul_i32 s30, s28, 0x7f
	v_add_u32_e32 v9, s30, v40
	v_mov_b32_e32 v10, 0
	s_waitcnt lgkmcnt(0)
	v_mov_b32_e32 v3, s17
	v_add_co_u32_e32 v2, vcc, s16, v0
	v_lshlrev_b64 v[11:12], 4, v[9:10]
	v_addc_co_u32_e32 v3, vcc, v3, v1, vcc
	v_mov_b32_e32 v7, s9
	v_add_co_u32_e32 v6, vcc, s8, v11
	global_load_dwordx4 v[2:5], v[2:3], off
	v_addc_co_u32_e32 v7, vcc, v7, v12, vcc
	global_load_dwordx4 v[6:9], v[6:7], off
	s_load_dwordx2 s[6:7], s[4:5], 0x40
	v_mov_b32_e32 v13, s13
	v_add_co_u32_e32 v11, vcc, s12, v11
	v_addc_co_u32_e32 v12, vcc, v13, v12, vcc
	v_mov_b32_e32 v14, s11
	v_add_co_u32_e32 v41, vcc, s10, v0
	s_cmp_lt_i32 s29, 1
	v_add_u32_e32 v61, s28, v40
	v_addc_co_u32_e32 v42, vcc, v14, v1, vcc
	v_mov_b32_e32 v43, v10
	s_waitcnt vmcnt(1)
	global_store_dwordx4 v[41:42], v[2:5], off
	s_waitcnt vmcnt(1)
	global_store_dwordx4 v[11:12], v[6:9], off
	s_cbranch_scc1 .LBB337_65
; %bb.2:
	s_load_dwordx2 s[18:19], s[4:5], 0x18
	s_mov_b32 s22, 0
	s_mov_b32 s24, 0x372fe950
	s_mul_i32 s31, s28, 0x7e
	s_lshl_b32 s33, s28, 1
	s_waitcnt lgkmcnt(0)
	v_mov_b32_e32 v2, s19
	v_add_co_u32_e32 v0, vcc, s18, v0
	v_addc_co_u32_e32 v1, vcc, v2, v1, vcc
	global_load_dwordx4 v[0:3], v[0:1], off
	v_add_u32_e32 v62, s28, v61
	v_mov_b32_e32 v43, 0
	s_mov_b64 s[20:21], 0
	s_brev_b32 s23, 8
	v_mov_b32_e32 v63, 0x260
	s_mov_b32 s25, 0x3fe3c6ef
	v_mov_b32_e32 v64, 2
	v_mov_b32_e32 v65, 1
	;; [unrolled: 1-line block ×4, first 2 shown]
	s_branch .LBB337_5
.LBB337_3:                              ;   in Loop: Header=BB337_5 Depth=1
	s_or_b64 exec, exec, s[4:5]
	v_mul_f64 v[4:5], v[0:1], -v[32:33]
	v_mul_f64 v[0:1], v[0:1], v[34:35]
	v_mov_b32_e32 v8, s28
	v_fma_f64 v[4:5], v[34:35], v[2:3], v[4:5]
	v_fma_f64 v[2:3], v[32:33], v[2:3], v[0:1]
	v_add_f64 v[0:1], v[20:21], -v[4:5]
	v_add_f64 v[2:3], v[22:23], -v[2:3]
.LBB337_4:                              ;   in Loop: Header=BB337_5 Depth=1
	s_or_b64 exec, exec, s[2:3]
	v_add_u32_e32 v43, v8, v43
	v_cmp_le_i32_e32 vcc, s29, v43
	s_or_b64 s[20:21], vcc, s[20:21]
	s_andn2_b64 exec, exec, s[20:21]
	s_cbranch_execz .LBB337_64
.LBB337_5:                              ; =>This Inner Loop Header: Depth=1
	v_add_u32_e32 v45, v43, v40
	v_ashrrev_i32_e32 v46, 31, v45
	v_lshlrev_b64 v[47:48], 4, v[45:46]
	v_mov_b32_e32 v5, s9
	v_add_co_u32_e32 v4, vcc, s8, v47
	v_addc_co_u32_e32 v5, vcc, v5, v48, vcc
	global_load_dwordx4 v[16:19], v[4:5], off
	v_mov_b32_e32 v20, 0
	v_mov_b32_e32 v4, 0
	v_mov_b32_e32 v6, 0
	v_mov_b32_e32 v21, 0
	v_mov_b32_e32 v5, 0
	v_mov_b32_e32 v7, 0
	v_cmp_gt_u32_e64 s[0:1], s30, v43
	s_and_saveexec_b64 s[2:3], s[0:1]
	s_cbranch_execz .LBB337_7
; %bb.6:                                ;   in Loop: Header=BB337_5 Depth=1
	v_add_u32_e32 v4, v61, v43
	v_ashrrev_i32_e32 v5, 31, v4
	v_lshlrev_b64 v[4:5], 4, v[4:5]
	v_mov_b32_e32 v6, s17
	v_add_co_u32_e32 v4, vcc, s16, v4
	v_addc_co_u32_e32 v5, vcc, v6, v5, vcc
	global_load_dwordx4 v[4:7], v[4:5], off
.LBB337_7:                              ;   in Loop: Header=BB337_5 Depth=1
	s_or_b64 exec, exec, s[2:3]
	v_mov_b32_e32 v22, 0
	v_mov_b32_e32 v23, 0
	s_and_saveexec_b64 s[2:3], s[0:1]
	s_cbranch_execz .LBB337_9
; %bb.8:                                ;   in Loop: Header=BB337_5 Depth=1
	v_add_u32_e32 v8, v61, v43
	v_ashrrev_i32_e32 v9, 31, v8
	v_lshlrev_b64 v[8:9], 4, v[8:9]
	v_mov_b32_e32 v10, s19
	v_add_co_u32_e32 v8, vcc, s18, v8
	v_addc_co_u32_e32 v9, vcc, v10, v9, vcc
	global_load_dwordx4 v[20:23], v[8:9], off
.LBB337_9:                              ;   in Loop: Header=BB337_5 Depth=1
	s_or_b64 exec, exec, s[2:3]
	v_mov_b32_e32 v12, 0
	v_mov_b32_e32 v8, 0
	;; [unrolled: 1-line block ×6, first 2 shown]
	s_and_saveexec_b64 s[2:3], s[0:1]
	s_cbranch_execz .LBB337_11
; %bb.10:                               ;   in Loop: Header=BB337_5 Depth=1
	v_add_u32_e32 v8, v61, v43
	v_ashrrev_i32_e32 v9, 31, v8
	v_lshlrev_b64 v[8:9], 4, v[8:9]
	v_mov_b32_e32 v10, s9
	v_add_co_u32_e32 v8, vcc, s8, v8
	v_addc_co_u32_e32 v9, vcc, v10, v9, vcc
	global_load_dwordx4 v[8:11], v[8:9], off
.LBB337_11:                             ;   in Loop: Header=BB337_5 Depth=1
	s_or_b64 exec, exec, s[2:3]
	v_mov_b32_e32 v14, 0
	v_mov_b32_e32 v15, 0
	v_cmp_gt_u32_e64 s[2:3], s31, v43
	s_and_saveexec_b64 s[4:5], s[2:3]
	s_cbranch_execz .LBB337_13
; %bb.12:                               ;   in Loop: Header=BB337_5 Depth=1
	v_add_u32_e32 v12, v62, v43
	v_ashrrev_i32_e32 v13, 31, v12
	v_lshlrev_b64 v[12:13], 4, v[12:13]
	v_mov_b32_e32 v14, s17
	v_add_co_u32_e32 v12, vcc, s16, v12
	v_addc_co_u32_e32 v13, vcc, v14, v13, vcc
	global_load_dwordx4 v[12:15], v[12:13], off
.LBB337_13:                             ;   in Loop: Header=BB337_5 Depth=1
	s_or_b64 exec, exec, s[4:5]
	s_waitcnt vmcnt(0)
	v_cmp_gt_f64_e32 vcc, 0, v[4:5]
	v_xor_b32_e32 v24, 0x80000000, v5
	v_mov_b32_e32 v26, v4
	v_mov_b32_e32 v28, v6
	v_cndmask_b32_e32 v27, v5, v24, vcc
	v_cmp_gt_f64_e32 vcc, 0, v[6:7]
	v_xor_b32_e32 v24, 0x80000000, v7
	v_cndmask_b32_e32 v29, v7, v24, vcc
	v_cmp_ngt_f64_e32 vcc, v[26:27], v[28:29]
                                        ; implicit-def: $vgpr24_vgpr25
	s_and_saveexec_b64 s[4:5], vcc
	s_xor_b64 s[4:5], exec, s[4:5]
	s_cbranch_execz .LBB337_17
; %bb.14:                               ;   in Loop: Header=BB337_5 Depth=1
	v_cmp_neq_f64_e32 vcc, 0, v[6:7]
	v_mov_b32_e32 v24, 0
	v_mov_b32_e32 v25, 0
	s_and_saveexec_b64 s[26:27], vcc
	s_cbranch_execz .LBB337_16
; %bb.15:                               ;   in Loop: Header=BB337_5 Depth=1
	v_div_scale_f64 v[24:25], s[34:35], v[28:29], v[28:29], v[26:27]
	v_rcp_f64_e32 v[30:31], v[24:25]
	v_fma_f64 v[32:33], -v[24:25], v[30:31], 1.0
	v_fma_f64 v[30:31], v[30:31], v[32:33], v[30:31]
	v_div_scale_f64 v[32:33], vcc, v[26:27], v[28:29], v[26:27]
	v_fma_f64 v[34:35], -v[24:25], v[30:31], 1.0
	v_fma_f64 v[30:31], v[30:31], v[34:35], v[30:31]
	v_mul_f64 v[34:35], v[32:33], v[30:31]
	v_fma_f64 v[24:25], -v[24:25], v[34:35], v[32:33]
	v_div_fmas_f64 v[24:25], v[24:25], v[30:31], v[34:35]
	v_div_fixup_f64 v[24:25], v[24:25], v[28:29], v[26:27]
	v_fma_f64 v[24:25], v[24:25], v[24:25], 1.0
	v_cmp_gt_f64_e32 vcc, s[22:23], v[24:25]
	v_cndmask_b32_e32 v26, 0, v66, vcc
	v_ldexp_f64 v[24:25], v[24:25], v26
	v_rsq_f64_e32 v[26:27], v[24:25]
	v_mul_f64 v[30:31], v[24:25], v[26:27]
	v_mul_f64 v[26:27], v[26:27], 0.5
	v_fma_f64 v[32:33], -v[26:27], v[30:31], 0.5
	v_fma_f64 v[30:31], v[30:31], v[32:33], v[30:31]
	v_fma_f64 v[26:27], v[26:27], v[32:33], v[26:27]
	v_fma_f64 v[32:33], -v[30:31], v[30:31], v[24:25]
	v_fma_f64 v[30:31], v[32:33], v[26:27], v[30:31]
	v_fma_f64 v[32:33], -v[30:31], v[30:31], v[24:25]
	v_fma_f64 v[26:27], v[32:33], v[26:27], v[30:31]
	v_cndmask_b32_e32 v30, 0, v67, vcc
	v_cmp_class_f64_e32 vcc, v[24:25], v63
	v_ldexp_f64 v[26:27], v[26:27], v30
	v_cndmask_b32_e32 v25, v27, v25, vcc
	v_cndmask_b32_e32 v24, v26, v24, vcc
	v_mul_f64 v[24:25], v[28:29], v[24:25]
.LBB337_16:                             ;   in Loop: Header=BB337_5 Depth=1
	s_or_b64 exec, exec, s[26:27]
                                        ; implicit-def: $vgpr26_vgpr27
                                        ; implicit-def: $vgpr28_vgpr29
.LBB337_17:                             ;   in Loop: Header=BB337_5 Depth=1
	s_andn2_saveexec_b64 s[4:5], s[4:5]
	s_cbranch_execz .LBB337_19
; %bb.18:                               ;   in Loop: Header=BB337_5 Depth=1
	v_div_scale_f64 v[24:25], s[26:27], v[26:27], v[26:27], v[28:29]
	v_rcp_f64_e32 v[30:31], v[24:25]
	v_fma_f64 v[32:33], -v[24:25], v[30:31], 1.0
	v_fma_f64 v[30:31], v[30:31], v[32:33], v[30:31]
	v_div_scale_f64 v[32:33], vcc, v[28:29], v[26:27], v[28:29]
	v_fma_f64 v[34:35], -v[24:25], v[30:31], 1.0
	v_fma_f64 v[30:31], v[30:31], v[34:35], v[30:31]
	v_mul_f64 v[34:35], v[32:33], v[30:31]
	v_fma_f64 v[24:25], -v[24:25], v[34:35], v[32:33]
	v_div_fmas_f64 v[24:25], v[24:25], v[30:31], v[34:35]
	v_div_fixup_f64 v[24:25], v[24:25], v[26:27], v[28:29]
	v_fma_f64 v[24:25], v[24:25], v[24:25], 1.0
	v_cmp_gt_f64_e32 vcc, s[22:23], v[24:25]
	v_cndmask_b32_e32 v28, 0, v66, vcc
	v_ldexp_f64 v[24:25], v[24:25], v28
	v_rsq_f64_e32 v[28:29], v[24:25]
	v_mul_f64 v[30:31], v[24:25], v[28:29]
	v_mul_f64 v[28:29], v[28:29], 0.5
	v_fma_f64 v[32:33], -v[28:29], v[30:31], 0.5
	v_fma_f64 v[30:31], v[30:31], v[32:33], v[30:31]
	v_fma_f64 v[28:29], v[28:29], v[32:33], v[28:29]
	v_fma_f64 v[32:33], -v[30:31], v[30:31], v[24:25]
	v_fma_f64 v[30:31], v[32:33], v[28:29], v[30:31]
	v_fma_f64 v[32:33], -v[30:31], v[30:31], v[24:25]
	v_fma_f64 v[28:29], v[32:33], v[28:29], v[30:31]
	v_cndmask_b32_e32 v30, 0, v67, vcc
	v_cmp_class_f64_e32 vcc, v[24:25], v63
	v_ldexp_f64 v[28:29], v[28:29], v30
	v_cndmask_b32_e32 v25, v29, v25, vcc
	v_cndmask_b32_e32 v24, v28, v24, vcc
	v_mul_f64 v[24:25], v[26:27], v[24:25]
.LBB337_19:                             ;   in Loop: Header=BB337_5 Depth=1
	s_or_b64 exec, exec, s[4:5]
	v_cmp_gt_f64_e32 vcc, 0, v[12:13]
	v_xor_b32_e32 v26, 0x80000000, v13
	v_mov_b32_e32 v28, v12
	v_mov_b32_e32 v30, v14
	v_cndmask_b32_e32 v29, v13, v26, vcc
	v_cmp_gt_f64_e32 vcc, 0, v[14:15]
	v_xor_b32_e32 v26, 0x80000000, v15
	v_cndmask_b32_e32 v31, v15, v26, vcc
	v_cmp_ngt_f64_e32 vcc, v[28:29], v[30:31]
                                        ; implicit-def: $vgpr26_vgpr27
	s_and_saveexec_b64 s[4:5], vcc
	s_xor_b64 s[4:5], exec, s[4:5]
	s_cbranch_execz .LBB337_23
; %bb.20:                               ;   in Loop: Header=BB337_5 Depth=1
	v_cmp_neq_f64_e32 vcc, 0, v[14:15]
	v_mov_b32_e32 v26, 0
	v_mov_b32_e32 v27, 0
	s_and_saveexec_b64 s[26:27], vcc
	s_cbranch_execz .LBB337_22
; %bb.21:                               ;   in Loop: Header=BB337_5 Depth=1
	v_div_scale_f64 v[26:27], s[34:35], v[30:31], v[30:31], v[28:29]
	v_rcp_f64_e32 v[32:33], v[26:27]
	v_fma_f64 v[34:35], -v[26:27], v[32:33], 1.0
	v_fma_f64 v[32:33], v[32:33], v[34:35], v[32:33]
	v_div_scale_f64 v[34:35], vcc, v[28:29], v[30:31], v[28:29]
	v_fma_f64 v[36:37], -v[26:27], v[32:33], 1.0
	v_fma_f64 v[32:33], v[32:33], v[36:37], v[32:33]
	v_mul_f64 v[36:37], v[34:35], v[32:33]
	v_fma_f64 v[26:27], -v[26:27], v[36:37], v[34:35]
	v_div_fmas_f64 v[26:27], v[26:27], v[32:33], v[36:37]
	v_div_fixup_f64 v[26:27], v[26:27], v[30:31], v[28:29]
	v_fma_f64 v[26:27], v[26:27], v[26:27], 1.0
	v_cmp_gt_f64_e32 vcc, s[22:23], v[26:27]
	v_cndmask_b32_e32 v28, 0, v66, vcc
	v_ldexp_f64 v[26:27], v[26:27], v28
	v_rsq_f64_e32 v[28:29], v[26:27]
	v_mul_f64 v[32:33], v[26:27], v[28:29]
	v_mul_f64 v[28:29], v[28:29], 0.5
	v_fma_f64 v[34:35], -v[28:29], v[32:33], 0.5
	v_fma_f64 v[32:33], v[32:33], v[34:35], v[32:33]
	v_fma_f64 v[28:29], v[28:29], v[34:35], v[28:29]
	v_fma_f64 v[34:35], -v[32:33], v[32:33], v[26:27]
	v_fma_f64 v[32:33], v[34:35], v[28:29], v[32:33]
	v_fma_f64 v[34:35], -v[32:33], v[32:33], v[26:27]
	v_fma_f64 v[28:29], v[34:35], v[28:29], v[32:33]
	v_cndmask_b32_e32 v32, 0, v67, vcc
	v_cmp_class_f64_e32 vcc, v[26:27], v63
	v_ldexp_f64 v[28:29], v[28:29], v32
	v_cndmask_b32_e32 v27, v29, v27, vcc
	v_cndmask_b32_e32 v26, v28, v26, vcc
	v_mul_f64 v[26:27], v[30:31], v[26:27]
.LBB337_22:                             ;   in Loop: Header=BB337_5 Depth=1
	s_or_b64 exec, exec, s[26:27]
                                        ; implicit-def: $vgpr28_vgpr29
                                        ; implicit-def: $vgpr30_vgpr31
.LBB337_23:                             ;   in Loop: Header=BB337_5 Depth=1
	s_andn2_saveexec_b64 s[4:5], s[4:5]
	s_cbranch_execz .LBB337_25
; %bb.24:                               ;   in Loop: Header=BB337_5 Depth=1
	v_div_scale_f64 v[26:27], s[26:27], v[28:29], v[28:29], v[30:31]
	v_rcp_f64_e32 v[32:33], v[26:27]
	v_fma_f64 v[34:35], -v[26:27], v[32:33], 1.0
	v_fma_f64 v[32:33], v[32:33], v[34:35], v[32:33]
	v_div_scale_f64 v[34:35], vcc, v[30:31], v[28:29], v[30:31]
	v_fma_f64 v[36:37], -v[26:27], v[32:33], 1.0
	v_fma_f64 v[32:33], v[32:33], v[36:37], v[32:33]
	v_mul_f64 v[36:37], v[34:35], v[32:33]
	v_fma_f64 v[26:27], -v[26:27], v[36:37], v[34:35]
	v_div_fmas_f64 v[26:27], v[26:27], v[32:33], v[36:37]
	v_div_fixup_f64 v[26:27], v[26:27], v[28:29], v[30:31]
	v_fma_f64 v[26:27], v[26:27], v[26:27], 1.0
	v_cmp_gt_f64_e32 vcc, s[22:23], v[26:27]
	v_cndmask_b32_e32 v30, 0, v66, vcc
	v_ldexp_f64 v[26:27], v[26:27], v30
	v_rsq_f64_e32 v[30:31], v[26:27]
	v_mul_f64 v[32:33], v[26:27], v[30:31]
	v_mul_f64 v[30:31], v[30:31], 0.5
	v_fma_f64 v[34:35], -v[30:31], v[32:33], 0.5
	v_fma_f64 v[32:33], v[32:33], v[34:35], v[32:33]
	v_fma_f64 v[30:31], v[30:31], v[34:35], v[30:31]
	v_fma_f64 v[34:35], -v[32:33], v[32:33], v[26:27]
	v_fma_f64 v[32:33], v[34:35], v[30:31], v[32:33]
	v_fma_f64 v[34:35], -v[32:33], v[32:33], v[26:27]
	v_fma_f64 v[30:31], v[34:35], v[30:31], v[32:33]
	v_cndmask_b32_e32 v32, 0, v67, vcc
	v_cmp_class_f64_e32 vcc, v[26:27], v63
	v_ldexp_f64 v[30:31], v[30:31], v32
	v_cndmask_b32_e32 v27, v31, v27, vcc
	v_cndmask_b32_e32 v26, v30, v26, vcc
	v_mul_f64 v[26:27], v[28:29], v[26:27]
.LBB337_25:                             ;   in Loop: Header=BB337_5 Depth=1
	s_or_b64 exec, exec, s[4:5]
	v_cmp_gt_f64_e32 vcc, 0, v[20:21]
	v_xor_b32_e32 v28, 0x80000000, v21
	v_mov_b32_e32 v30, v20
	v_mov_b32_e32 v32, v22
	v_cndmask_b32_e32 v31, v21, v28, vcc
	v_cmp_gt_f64_e32 vcc, 0, v[22:23]
	v_xor_b32_e32 v28, 0x80000000, v23
	v_cndmask_b32_e32 v33, v23, v28, vcc
	v_cmp_ngt_f64_e32 vcc, v[30:31], v[32:33]
                                        ; implicit-def: $vgpr28_vgpr29
	s_and_saveexec_b64 s[4:5], vcc
	s_xor_b64 s[4:5], exec, s[4:5]
	s_cbranch_execz .LBB337_29
; %bb.26:                               ;   in Loop: Header=BB337_5 Depth=1
	v_cmp_neq_f64_e32 vcc, 0, v[22:23]
	v_mov_b32_e32 v28, 0
	v_mov_b32_e32 v29, 0
	s_and_saveexec_b64 s[26:27], vcc
	s_cbranch_execz .LBB337_28
; %bb.27:                               ;   in Loop: Header=BB337_5 Depth=1
	v_div_scale_f64 v[28:29], s[34:35], v[32:33], v[32:33], v[30:31]
	v_rcp_f64_e32 v[34:35], v[28:29]
	v_fma_f64 v[36:37], -v[28:29], v[34:35], 1.0
	v_fma_f64 v[34:35], v[34:35], v[36:37], v[34:35]
	v_div_scale_f64 v[36:37], vcc, v[30:31], v[32:33], v[30:31]
	v_fma_f64 v[38:39], -v[28:29], v[34:35], 1.0
	v_fma_f64 v[34:35], v[34:35], v[38:39], v[34:35]
	v_mul_f64 v[38:39], v[36:37], v[34:35]
	v_fma_f64 v[28:29], -v[28:29], v[38:39], v[36:37]
	v_div_fmas_f64 v[28:29], v[28:29], v[34:35], v[38:39]
	v_div_fixup_f64 v[28:29], v[28:29], v[32:33], v[30:31]
	v_fma_f64 v[28:29], v[28:29], v[28:29], 1.0
	v_cmp_gt_f64_e32 vcc, s[22:23], v[28:29]
	v_cndmask_b32_e32 v30, 0, v66, vcc
	v_ldexp_f64 v[28:29], v[28:29], v30
	v_rsq_f64_e32 v[30:31], v[28:29]
	v_mul_f64 v[34:35], v[28:29], v[30:31]
	v_mul_f64 v[30:31], v[30:31], 0.5
	v_fma_f64 v[36:37], -v[30:31], v[34:35], 0.5
	v_fma_f64 v[34:35], v[34:35], v[36:37], v[34:35]
	v_fma_f64 v[30:31], v[30:31], v[36:37], v[30:31]
	v_fma_f64 v[36:37], -v[34:35], v[34:35], v[28:29]
	v_fma_f64 v[34:35], v[36:37], v[30:31], v[34:35]
	v_fma_f64 v[36:37], -v[34:35], v[34:35], v[28:29]
	v_fma_f64 v[30:31], v[36:37], v[30:31], v[34:35]
	v_cndmask_b32_e32 v34, 0, v67, vcc
	v_cmp_class_f64_e32 vcc, v[28:29], v63
	v_ldexp_f64 v[30:31], v[30:31], v34
	v_cndmask_b32_e32 v29, v31, v29, vcc
	v_cndmask_b32_e32 v28, v30, v28, vcc
	v_mul_f64 v[28:29], v[32:33], v[28:29]
.LBB337_28:                             ;   in Loop: Header=BB337_5 Depth=1
	s_or_b64 exec, exec, s[26:27]
                                        ; implicit-def: $vgpr30_vgpr31
                                        ; implicit-def: $vgpr32_vgpr33
.LBB337_29:                             ;   in Loop: Header=BB337_5 Depth=1
	s_andn2_saveexec_b64 s[4:5], s[4:5]
	s_cbranch_execz .LBB337_31
; %bb.30:                               ;   in Loop: Header=BB337_5 Depth=1
	v_div_scale_f64 v[28:29], s[26:27], v[30:31], v[30:31], v[32:33]
	v_rcp_f64_e32 v[34:35], v[28:29]
	v_fma_f64 v[36:37], -v[28:29], v[34:35], 1.0
	v_fma_f64 v[34:35], v[34:35], v[36:37], v[34:35]
	v_div_scale_f64 v[36:37], vcc, v[32:33], v[30:31], v[32:33]
	v_fma_f64 v[38:39], -v[28:29], v[34:35], 1.0
	v_fma_f64 v[34:35], v[34:35], v[38:39], v[34:35]
	v_mul_f64 v[38:39], v[36:37], v[34:35]
	v_fma_f64 v[28:29], -v[28:29], v[38:39], v[36:37]
	v_div_fmas_f64 v[28:29], v[28:29], v[34:35], v[38:39]
	v_div_fixup_f64 v[28:29], v[28:29], v[30:31], v[32:33]
	v_fma_f64 v[28:29], v[28:29], v[28:29], 1.0
	v_cmp_gt_f64_e32 vcc, s[22:23], v[28:29]
	v_cndmask_b32_e32 v32, 0, v66, vcc
	v_ldexp_f64 v[28:29], v[28:29], v32
	v_rsq_f64_e32 v[32:33], v[28:29]
	v_mul_f64 v[34:35], v[28:29], v[32:33]
	v_mul_f64 v[32:33], v[32:33], 0.5
	v_fma_f64 v[36:37], -v[32:33], v[34:35], 0.5
	v_fma_f64 v[34:35], v[34:35], v[36:37], v[34:35]
	v_fma_f64 v[32:33], v[32:33], v[36:37], v[32:33]
	v_fma_f64 v[36:37], -v[34:35], v[34:35], v[28:29]
	v_fma_f64 v[34:35], v[36:37], v[32:33], v[34:35]
	v_fma_f64 v[36:37], -v[34:35], v[34:35], v[28:29]
	v_fma_f64 v[32:33], v[36:37], v[32:33], v[34:35]
	v_cndmask_b32_e32 v34, 0, v67, vcc
	v_cmp_class_f64_e32 vcc, v[28:29], v63
	v_ldexp_f64 v[32:33], v[32:33], v34
	v_cndmask_b32_e32 v29, v33, v29, vcc
	v_cndmask_b32_e32 v28, v32, v28, vcc
	v_mul_f64 v[28:29], v[30:31], v[28:29]
.LBB337_31:                             ;   in Loop: Header=BB337_5 Depth=1
	s_or_b64 exec, exec, s[4:5]
	v_cmp_gt_f64_e32 vcc, 0, v[16:17]
	v_xor_b32_e32 v30, 0x80000000, v17
	v_mov_b32_e32 v32, v16
	v_mov_b32_e32 v34, v18
	v_cndmask_b32_e32 v33, v17, v30, vcc
	v_cmp_gt_f64_e32 vcc, 0, v[18:19]
	v_xor_b32_e32 v30, 0x80000000, v19
	v_cndmask_b32_e32 v35, v19, v30, vcc
	v_cmp_ngt_f64_e32 vcc, v[32:33], v[34:35]
                                        ; implicit-def: $vgpr30_vgpr31
	s_and_saveexec_b64 s[4:5], vcc
	s_xor_b64 s[4:5], exec, s[4:5]
	s_cbranch_execz .LBB337_35
; %bb.32:                               ;   in Loop: Header=BB337_5 Depth=1
	v_cmp_neq_f64_e32 vcc, 0, v[18:19]
	v_mov_b32_e32 v30, 0
	v_mov_b32_e32 v31, 0
	s_and_saveexec_b64 s[26:27], vcc
	s_cbranch_execz .LBB337_34
; %bb.33:                               ;   in Loop: Header=BB337_5 Depth=1
	v_div_scale_f64 v[30:31], s[34:35], v[34:35], v[34:35], v[32:33]
	v_rcp_f64_e32 v[36:37], v[30:31]
	v_fma_f64 v[38:39], -v[30:31], v[36:37], 1.0
	v_fma_f64 v[36:37], v[36:37], v[38:39], v[36:37]
	v_div_scale_f64 v[38:39], vcc, v[32:33], v[34:35], v[32:33]
	v_fma_f64 v[49:50], -v[30:31], v[36:37], 1.0
	v_fma_f64 v[36:37], v[36:37], v[49:50], v[36:37]
	v_mul_f64 v[49:50], v[38:39], v[36:37]
	v_fma_f64 v[30:31], -v[30:31], v[49:50], v[38:39]
	v_div_fmas_f64 v[30:31], v[30:31], v[36:37], v[49:50]
	v_div_fixup_f64 v[30:31], v[30:31], v[34:35], v[32:33]
	v_fma_f64 v[30:31], v[30:31], v[30:31], 1.0
	v_cmp_gt_f64_e32 vcc, s[22:23], v[30:31]
	v_cndmask_b32_e32 v32, 0, v66, vcc
	v_ldexp_f64 v[30:31], v[30:31], v32
	v_rsq_f64_e32 v[32:33], v[30:31]
	v_mul_f64 v[36:37], v[30:31], v[32:33]
	v_mul_f64 v[32:33], v[32:33], 0.5
	v_fma_f64 v[38:39], -v[32:33], v[36:37], 0.5
	v_fma_f64 v[36:37], v[36:37], v[38:39], v[36:37]
	v_fma_f64 v[32:33], v[32:33], v[38:39], v[32:33]
	v_fma_f64 v[38:39], -v[36:37], v[36:37], v[30:31]
	v_fma_f64 v[36:37], v[38:39], v[32:33], v[36:37]
	v_fma_f64 v[38:39], -v[36:37], v[36:37], v[30:31]
	v_fma_f64 v[32:33], v[38:39], v[32:33], v[36:37]
	v_cndmask_b32_e32 v36, 0, v67, vcc
	v_cmp_class_f64_e32 vcc, v[30:31], v63
	v_ldexp_f64 v[32:33], v[32:33], v36
	v_cndmask_b32_e32 v31, v33, v31, vcc
	v_cndmask_b32_e32 v30, v32, v30, vcc
	v_mul_f64 v[30:31], v[34:35], v[30:31]
.LBB337_34:                             ;   in Loop: Header=BB337_5 Depth=1
	s_or_b64 exec, exec, s[26:27]
                                        ; implicit-def: $vgpr32_vgpr33
                                        ; implicit-def: $vgpr34_vgpr35
.LBB337_35:                             ;   in Loop: Header=BB337_5 Depth=1
	s_andn2_saveexec_b64 s[4:5], s[4:5]
	s_cbranch_execz .LBB337_37
; %bb.36:                               ;   in Loop: Header=BB337_5 Depth=1
	v_div_scale_f64 v[30:31], s[26:27], v[32:33], v[32:33], v[34:35]
	v_rcp_f64_e32 v[36:37], v[30:31]
	v_fma_f64 v[38:39], -v[30:31], v[36:37], 1.0
	v_fma_f64 v[36:37], v[36:37], v[38:39], v[36:37]
	v_div_scale_f64 v[38:39], vcc, v[34:35], v[32:33], v[34:35]
	v_fma_f64 v[49:50], -v[30:31], v[36:37], 1.0
	v_fma_f64 v[36:37], v[36:37], v[49:50], v[36:37]
	v_mul_f64 v[49:50], v[38:39], v[36:37]
	v_fma_f64 v[30:31], -v[30:31], v[49:50], v[38:39]
	v_div_fmas_f64 v[30:31], v[30:31], v[36:37], v[49:50]
	v_div_fixup_f64 v[30:31], v[30:31], v[32:33], v[34:35]
	v_fma_f64 v[30:31], v[30:31], v[30:31], 1.0
	v_cmp_gt_f64_e32 vcc, s[22:23], v[30:31]
	v_cndmask_b32_e32 v34, 0, v66, vcc
	v_ldexp_f64 v[30:31], v[30:31], v34
	v_rsq_f64_e32 v[34:35], v[30:31]
	v_mul_f64 v[36:37], v[30:31], v[34:35]
	v_mul_f64 v[34:35], v[34:35], 0.5
	v_fma_f64 v[38:39], -v[34:35], v[36:37], 0.5
	v_fma_f64 v[36:37], v[36:37], v[38:39], v[36:37]
	v_fma_f64 v[34:35], v[34:35], v[38:39], v[34:35]
	v_fma_f64 v[38:39], -v[36:37], v[36:37], v[30:31]
	v_fma_f64 v[36:37], v[38:39], v[34:35], v[36:37]
	v_fma_f64 v[38:39], -v[36:37], v[36:37], v[30:31]
	v_fma_f64 v[34:35], v[38:39], v[34:35], v[36:37]
	v_cndmask_b32_e32 v36, 0, v67, vcc
	v_cmp_class_f64_e32 vcc, v[30:31], v63
	v_ldexp_f64 v[34:35], v[34:35], v36
	v_cndmask_b32_e32 v31, v35, v31, vcc
	v_cndmask_b32_e32 v30, v34, v30, vcc
	v_mul_f64 v[30:31], v[32:33], v[30:31]
.LBB337_37:                             ;   in Loop: Header=BB337_5 Depth=1
	s_or_b64 exec, exec, s[4:5]
	v_cmp_gt_f64_e32 vcc, 0, v[8:9]
	v_xor_b32_e32 v32, 0x80000000, v9
	v_xor_b32_e32 v34, 0x80000000, v11
                                        ; implicit-def: $vgpr36_vgpr37
	v_cndmask_b32_e32 v33, v9, v32, vcc
	v_cmp_gt_f64_e32 vcc, 0, v[10:11]
	v_mov_b32_e32 v32, v8
	v_cndmask_b32_e32 v35, v11, v34, vcc
	v_mov_b32_e32 v34, v10
	v_cmp_ngt_f64_e32 vcc, v[32:33], v[34:35]
	s_and_saveexec_b64 s[4:5], vcc
	s_xor_b64 s[4:5], exec, s[4:5]
	s_cbranch_execz .LBB337_41
; %bb.38:                               ;   in Loop: Header=BB337_5 Depth=1
	v_cmp_neq_f64_e32 vcc, 0, v[10:11]
	v_mov_b32_e32 v36, 0
	v_mov_b32_e32 v37, 0
	s_and_saveexec_b64 s[26:27], vcc
	s_cbranch_execz .LBB337_40
; %bb.39:                               ;   in Loop: Header=BB337_5 Depth=1
	v_div_scale_f64 v[36:37], s[34:35], v[34:35], v[34:35], v[32:33]
	v_rcp_f64_e32 v[38:39], v[36:37]
	v_fma_f64 v[49:50], -v[36:37], v[38:39], 1.0
	v_fma_f64 v[38:39], v[38:39], v[49:50], v[38:39]
	v_div_scale_f64 v[49:50], vcc, v[32:33], v[34:35], v[32:33]
	v_fma_f64 v[51:52], -v[36:37], v[38:39], 1.0
	v_fma_f64 v[38:39], v[38:39], v[51:52], v[38:39]
	v_mul_f64 v[51:52], v[49:50], v[38:39]
	v_fma_f64 v[36:37], -v[36:37], v[51:52], v[49:50]
	v_div_fmas_f64 v[36:37], v[36:37], v[38:39], v[51:52]
	v_div_fixup_f64 v[32:33], v[36:37], v[34:35], v[32:33]
	v_fma_f64 v[32:33], v[32:33], v[32:33], 1.0
	v_cmp_gt_f64_e32 vcc, s[22:23], v[32:33]
	v_cndmask_b32_e32 v36, 0, v66, vcc
	v_ldexp_f64 v[32:33], v[32:33], v36
	v_rsq_f64_e32 v[36:37], v[32:33]
	v_mul_f64 v[38:39], v[32:33], v[36:37]
	v_mul_f64 v[36:37], v[36:37], 0.5
	v_fma_f64 v[49:50], -v[36:37], v[38:39], 0.5
	v_fma_f64 v[38:39], v[38:39], v[49:50], v[38:39]
	v_fma_f64 v[36:37], v[36:37], v[49:50], v[36:37]
	v_fma_f64 v[49:50], -v[38:39], v[38:39], v[32:33]
	v_fma_f64 v[38:39], v[49:50], v[36:37], v[38:39]
	v_fma_f64 v[49:50], -v[38:39], v[38:39], v[32:33]
	v_fma_f64 v[36:37], v[49:50], v[36:37], v[38:39]
	v_cndmask_b32_e32 v38, 0, v67, vcc
	v_cmp_class_f64_e32 vcc, v[32:33], v63
	v_ldexp_f64 v[36:37], v[36:37], v38
	v_cndmask_b32_e32 v33, v37, v33, vcc
	v_cndmask_b32_e32 v32, v36, v32, vcc
	v_mul_f64 v[36:37], v[34:35], v[32:33]
.LBB337_40:                             ;   in Loop: Header=BB337_5 Depth=1
	s_or_b64 exec, exec, s[26:27]
                                        ; implicit-def: $vgpr32_vgpr33
                                        ; implicit-def: $vgpr34_vgpr35
.LBB337_41:                             ;   in Loop: Header=BB337_5 Depth=1
	s_andn2_saveexec_b64 s[4:5], s[4:5]
	s_cbranch_execz .LBB337_43
; %bb.42:                               ;   in Loop: Header=BB337_5 Depth=1
	v_div_scale_f64 v[36:37], s[26:27], v[32:33], v[32:33], v[34:35]
	v_rcp_f64_e32 v[38:39], v[36:37]
	v_fma_f64 v[49:50], -v[36:37], v[38:39], 1.0
	v_fma_f64 v[38:39], v[38:39], v[49:50], v[38:39]
	v_div_scale_f64 v[49:50], vcc, v[34:35], v[32:33], v[34:35]
	v_fma_f64 v[51:52], -v[36:37], v[38:39], 1.0
	v_fma_f64 v[38:39], v[38:39], v[51:52], v[38:39]
	v_mul_f64 v[51:52], v[49:50], v[38:39]
	v_fma_f64 v[36:37], -v[36:37], v[51:52], v[49:50]
	v_div_fmas_f64 v[36:37], v[36:37], v[38:39], v[51:52]
	v_div_fixup_f64 v[34:35], v[36:37], v[32:33], v[34:35]
	v_fma_f64 v[34:35], v[34:35], v[34:35], 1.0
	v_cmp_gt_f64_e32 vcc, s[22:23], v[34:35]
	v_cndmask_b32_e32 v36, 0, v66, vcc
	v_ldexp_f64 v[34:35], v[34:35], v36
	v_rsq_f64_e32 v[36:37], v[34:35]
	v_mul_f64 v[38:39], v[34:35], v[36:37]
	v_mul_f64 v[36:37], v[36:37], 0.5
	v_fma_f64 v[49:50], -v[36:37], v[38:39], 0.5
	v_fma_f64 v[38:39], v[38:39], v[49:50], v[38:39]
	v_fma_f64 v[36:37], v[36:37], v[49:50], v[36:37]
	v_fma_f64 v[49:50], -v[38:39], v[38:39], v[34:35]
	v_fma_f64 v[38:39], v[49:50], v[36:37], v[38:39]
	v_fma_f64 v[49:50], -v[38:39], v[38:39], v[34:35]
	v_fma_f64 v[36:37], v[49:50], v[36:37], v[38:39]
	v_cndmask_b32_e32 v38, 0, v67, vcc
	v_cmp_class_f64_e32 vcc, v[34:35], v63
	v_ldexp_f64 v[36:37], v[36:37], v38
	v_cndmask_b32_e32 v35, v37, v35, vcc
	v_cndmask_b32_e32 v34, v36, v34, vcc
	v_mul_f64 v[36:37], v[32:33], v[34:35]
.LBB337_43:                             ;   in Loop: Header=BB337_5 Depth=1
	s_or_b64 exec, exec, s[4:5]
	v_cmp_gt_f64_e32 vcc, 0, v[0:1]
	v_xor_b32_e32 v32, 0x80000000, v1
	v_xor_b32_e32 v34, 0x80000000, v3
                                        ; implicit-def: $vgpr38_vgpr39
	v_cndmask_b32_e32 v33, v1, v32, vcc
	v_cmp_gt_f64_e32 vcc, 0, v[2:3]
	v_mov_b32_e32 v32, v0
	v_cndmask_b32_e32 v35, v3, v34, vcc
	v_mov_b32_e32 v34, v2
	v_cmp_ngt_f64_e32 vcc, v[32:33], v[34:35]
	s_and_saveexec_b64 s[4:5], vcc
	s_xor_b64 s[4:5], exec, s[4:5]
	s_cbranch_execz .LBB337_47
; %bb.44:                               ;   in Loop: Header=BB337_5 Depth=1
	v_cmp_neq_f64_e32 vcc, 0, v[2:3]
	v_mov_b32_e32 v38, 0
	v_mov_b32_e32 v39, 0
	s_and_saveexec_b64 s[26:27], vcc
	s_cbranch_execz .LBB337_46
; %bb.45:                               ;   in Loop: Header=BB337_5 Depth=1
	v_div_scale_f64 v[38:39], s[34:35], v[34:35], v[34:35], v[32:33]
	v_rcp_f64_e32 v[49:50], v[38:39]
	v_fma_f64 v[51:52], -v[38:39], v[49:50], 1.0
	v_fma_f64 v[49:50], v[49:50], v[51:52], v[49:50]
	v_div_scale_f64 v[51:52], vcc, v[32:33], v[34:35], v[32:33]
	v_fma_f64 v[53:54], -v[38:39], v[49:50], 1.0
	v_fma_f64 v[49:50], v[49:50], v[53:54], v[49:50]
	v_mul_f64 v[53:54], v[51:52], v[49:50]
	v_fma_f64 v[38:39], -v[38:39], v[53:54], v[51:52]
	v_div_fmas_f64 v[38:39], v[38:39], v[49:50], v[53:54]
	v_div_fixup_f64 v[32:33], v[38:39], v[34:35], v[32:33]
	v_fma_f64 v[32:33], v[32:33], v[32:33], 1.0
	v_cmp_gt_f64_e32 vcc, s[22:23], v[32:33]
	v_cndmask_b32_e32 v38, 0, v66, vcc
	v_ldexp_f64 v[32:33], v[32:33], v38
	v_cndmask_b32_e32 v44, 0, v67, vcc
	v_rsq_f64_e32 v[38:39], v[32:33]
	v_cmp_class_f64_e32 vcc, v[32:33], v63
	v_mul_f64 v[49:50], v[32:33], v[38:39]
	v_mul_f64 v[38:39], v[38:39], 0.5
	v_fma_f64 v[51:52], -v[38:39], v[49:50], 0.5
	v_fma_f64 v[49:50], v[49:50], v[51:52], v[49:50]
	v_fma_f64 v[38:39], v[38:39], v[51:52], v[38:39]
	v_fma_f64 v[51:52], -v[49:50], v[49:50], v[32:33]
	v_fma_f64 v[49:50], v[51:52], v[38:39], v[49:50]
	v_fma_f64 v[51:52], -v[49:50], v[49:50], v[32:33]
	v_fma_f64 v[38:39], v[51:52], v[38:39], v[49:50]
	v_ldexp_f64 v[38:39], v[38:39], v44
	v_cndmask_b32_e32 v33, v39, v33, vcc
	v_cndmask_b32_e32 v32, v38, v32, vcc
	v_mul_f64 v[38:39], v[34:35], v[32:33]
.LBB337_46:                             ;   in Loop: Header=BB337_5 Depth=1
	s_or_b64 exec, exec, s[26:27]
                                        ; implicit-def: $vgpr32_vgpr33
                                        ; implicit-def: $vgpr34_vgpr35
.LBB337_47:                             ;   in Loop: Header=BB337_5 Depth=1
	s_andn2_saveexec_b64 s[4:5], s[4:5]
	s_cbranch_execz .LBB337_49
; %bb.48:                               ;   in Loop: Header=BB337_5 Depth=1
	v_div_scale_f64 v[38:39], s[26:27], v[32:33], v[32:33], v[34:35]
	v_rcp_f64_e32 v[49:50], v[38:39]
	v_fma_f64 v[51:52], -v[38:39], v[49:50], 1.0
	v_fma_f64 v[49:50], v[49:50], v[51:52], v[49:50]
	v_div_scale_f64 v[51:52], vcc, v[34:35], v[32:33], v[34:35]
	v_fma_f64 v[53:54], -v[38:39], v[49:50], 1.0
	v_fma_f64 v[49:50], v[49:50], v[53:54], v[49:50]
	v_mul_f64 v[53:54], v[51:52], v[49:50]
	v_fma_f64 v[38:39], -v[38:39], v[53:54], v[51:52]
	v_div_fmas_f64 v[38:39], v[38:39], v[49:50], v[53:54]
	v_div_fixup_f64 v[34:35], v[38:39], v[32:33], v[34:35]
	v_fma_f64 v[34:35], v[34:35], v[34:35], 1.0
	v_cmp_gt_f64_e32 vcc, s[22:23], v[34:35]
	v_cndmask_b32_e32 v38, 0, v66, vcc
	v_ldexp_f64 v[34:35], v[34:35], v38
	v_cndmask_b32_e32 v44, 0, v67, vcc
	v_rsq_f64_e32 v[38:39], v[34:35]
	v_cmp_class_f64_e32 vcc, v[34:35], v63
	v_mul_f64 v[49:50], v[34:35], v[38:39]
	v_mul_f64 v[38:39], v[38:39], 0.5
	v_fma_f64 v[51:52], -v[38:39], v[49:50], 0.5
	v_fma_f64 v[49:50], v[49:50], v[51:52], v[49:50]
	v_fma_f64 v[38:39], v[38:39], v[51:52], v[38:39]
	v_fma_f64 v[51:52], -v[49:50], v[49:50], v[34:35]
	v_fma_f64 v[49:50], v[51:52], v[38:39], v[49:50]
	v_fma_f64 v[51:52], -v[49:50], v[49:50], v[34:35]
	v_fma_f64 v[38:39], v[51:52], v[38:39], v[49:50]
	v_ldexp_f64 v[38:39], v[38:39], v44
	v_cndmask_b32_e32 v35, v39, v35, vcc
	v_cndmask_b32_e32 v34, v38, v34, vcc
	v_mul_f64 v[38:39], v[32:33], v[34:35]
.LBB337_49:                             ;   in Loop: Header=BB337_5 Depth=1
	s_or_b64 exec, exec, s[4:5]
	v_mul_f64 v[32:33], v[18:19], -v[6:7]
	v_mul_f64 v[49:50], v[18:19], v[4:5]
                                        ; implicit-def: $vgpr53_vgpr54
	v_fma_f64 v[34:35], v[4:5], v[16:17], v[32:33]
	v_fma_f64 v[32:33], v[6:7], v[16:17], v[49:50]
	v_cmp_gt_f64_e32 vcc, 0, v[34:35]
	v_xor_b32_e32 v44, 0x80000000, v35
	v_xor_b32_e32 v51, 0x80000000, v33
	v_mov_b32_e32 v49, v34
	v_cndmask_b32_e32 v50, v35, v44, vcc
	v_cmp_gt_f64_e32 vcc, 0, v[32:33]
	v_cndmask_b32_e32 v52, v33, v51, vcc
	v_mov_b32_e32 v51, v32
	v_cmp_ngt_f64_e32 vcc, v[49:50], v[51:52]
	s_and_saveexec_b64 s[4:5], vcc
	s_xor_b64 s[4:5], exec, s[4:5]
	s_cbranch_execz .LBB337_53
; %bb.50:                               ;   in Loop: Header=BB337_5 Depth=1
	v_cmp_neq_f64_e32 vcc, 0, v[32:33]
	v_mov_b32_e32 v53, 0
	v_mov_b32_e32 v54, 0
	s_and_saveexec_b64 s[26:27], vcc
	s_cbranch_execz .LBB337_52
; %bb.51:                               ;   in Loop: Header=BB337_5 Depth=1
	v_div_scale_f64 v[53:54], s[34:35], v[51:52], v[51:52], v[49:50]
	v_rcp_f64_e32 v[55:56], v[53:54]
	v_fma_f64 v[57:58], -v[53:54], v[55:56], 1.0
	v_fma_f64 v[55:56], v[55:56], v[57:58], v[55:56]
	v_div_scale_f64 v[57:58], vcc, v[49:50], v[51:52], v[49:50]
	v_fma_f64 v[59:60], -v[53:54], v[55:56], 1.0
	v_fma_f64 v[55:56], v[55:56], v[59:60], v[55:56]
	v_mul_f64 v[59:60], v[57:58], v[55:56]
	v_fma_f64 v[53:54], -v[53:54], v[59:60], v[57:58]
	v_div_fmas_f64 v[53:54], v[53:54], v[55:56], v[59:60]
	v_div_fixup_f64 v[49:50], v[53:54], v[51:52], v[49:50]
	v_fma_f64 v[49:50], v[49:50], v[49:50], 1.0
	v_cmp_gt_f64_e32 vcc, s[22:23], v[49:50]
	v_cndmask_b32_e32 v44, 0, v66, vcc
	v_ldexp_f64 v[49:50], v[49:50], v44
	v_cndmask_b32_e32 v44, 0, v67, vcc
	v_rsq_f64_e32 v[53:54], v[49:50]
	v_cmp_class_f64_e32 vcc, v[49:50], v63
	v_mul_f64 v[55:56], v[49:50], v[53:54]
	v_mul_f64 v[53:54], v[53:54], 0.5
	v_fma_f64 v[57:58], -v[53:54], v[55:56], 0.5
	v_fma_f64 v[55:56], v[55:56], v[57:58], v[55:56]
	v_fma_f64 v[53:54], v[53:54], v[57:58], v[53:54]
	v_fma_f64 v[57:58], -v[55:56], v[55:56], v[49:50]
	v_fma_f64 v[55:56], v[57:58], v[53:54], v[55:56]
	v_fma_f64 v[57:58], -v[55:56], v[55:56], v[49:50]
	v_fma_f64 v[53:54], v[57:58], v[53:54], v[55:56]
	v_ldexp_f64 v[53:54], v[53:54], v44
	v_cndmask_b32_e32 v50, v54, v50, vcc
	v_cndmask_b32_e32 v49, v53, v49, vcc
	v_mul_f64 v[53:54], v[51:52], v[49:50]
.LBB337_52:                             ;   in Loop: Header=BB337_5 Depth=1
	s_or_b64 exec, exec, s[26:27]
                                        ; implicit-def: $vgpr49_vgpr50
                                        ; implicit-def: $vgpr51_vgpr52
.LBB337_53:                             ;   in Loop: Header=BB337_5 Depth=1
	s_andn2_saveexec_b64 s[4:5], s[4:5]
	s_cbranch_execz .LBB337_55
; %bb.54:                               ;   in Loop: Header=BB337_5 Depth=1
	v_div_scale_f64 v[53:54], s[26:27], v[49:50], v[49:50], v[51:52]
	v_rcp_f64_e32 v[55:56], v[53:54]
	v_fma_f64 v[57:58], -v[53:54], v[55:56], 1.0
	v_fma_f64 v[55:56], v[55:56], v[57:58], v[55:56]
	v_div_scale_f64 v[57:58], vcc, v[51:52], v[49:50], v[51:52]
	v_fma_f64 v[59:60], -v[53:54], v[55:56], 1.0
	v_fma_f64 v[55:56], v[55:56], v[59:60], v[55:56]
	v_mul_f64 v[59:60], v[57:58], v[55:56]
	v_fma_f64 v[53:54], -v[53:54], v[59:60], v[57:58]
	v_div_fmas_f64 v[53:54], v[53:54], v[55:56], v[59:60]
	v_div_fixup_f64 v[51:52], v[53:54], v[49:50], v[51:52]
	v_fma_f64 v[51:52], v[51:52], v[51:52], 1.0
	v_cmp_gt_f64_e32 vcc, s[22:23], v[51:52]
	v_cndmask_b32_e32 v44, 0, v66, vcc
	v_ldexp_f64 v[51:52], v[51:52], v44
	v_cndmask_b32_e32 v44, 0, v67, vcc
	v_rsq_f64_e32 v[53:54], v[51:52]
	v_cmp_class_f64_e32 vcc, v[51:52], v63
	v_mul_f64 v[55:56], v[51:52], v[53:54]
	v_mul_f64 v[53:54], v[53:54], 0.5
	v_fma_f64 v[57:58], -v[53:54], v[55:56], 0.5
	v_fma_f64 v[55:56], v[55:56], v[57:58], v[55:56]
	v_fma_f64 v[53:54], v[53:54], v[57:58], v[53:54]
	v_fma_f64 v[57:58], -v[55:56], v[55:56], v[51:52]
	v_fma_f64 v[55:56], v[57:58], v[53:54], v[55:56]
	v_fma_f64 v[57:58], -v[55:56], v[55:56], v[51:52]
	v_fma_f64 v[53:54], v[57:58], v[53:54], v[55:56]
	v_ldexp_f64 v[53:54], v[53:54], v44
	v_cndmask_b32_e32 v52, v54, v52, vcc
	v_cndmask_b32_e32 v51, v53, v51, vcc
	v_mul_f64 v[53:54], v[49:50], v[51:52]
.LBB337_55:                             ;   in Loop: Header=BB337_5 Depth=1
	s_or_b64 exec, exec, s[4:5]
	v_cmp_lt_f64_e32 vcc, v[24:25], v[26:27]
	v_cmp_ne_u32_e64 s[4:5], s30, v43
	v_cndmask_b32_e32 v25, v25, v27, vcc
	v_cndmask_b32_e32 v24, v24, v26, vcc
	v_cmp_lt_f64_e32 vcc, v[28:29], v[24:25]
	v_mul_f64 v[26:27], v[53:54], s[24:25]
	v_cndmask_b32_e32 v25, v29, v25, vcc
	v_cndmask_b32_e32 v24, v28, v24, vcc
	v_cmp_lt_f64_e32 vcc, v[30:31], v[24:25]
	v_cndmask_b32_e32 v25, v31, v25, vcc
	v_cndmask_b32_e32 v24, v30, v24, vcc
	v_cmp_lt_f64_e32 vcc, v[36:37], v[24:25]
	v_cndmask_b32_e32 v25, v37, v25, vcc
	v_cndmask_b32_e32 v24, v36, v24, vcc
	v_mul_f64 v[24:25], v[24:25], v[38:39]
	v_cmp_nge_f64_e32 vcc, v[24:25], v[26:27]
	s_and_b64 s[4:5], s[4:5], vcc
	s_and_saveexec_b64 s[26:27], s[4:5]
	s_xor_b64 s[4:5], exec, s[26:27]
	s_cbranch_execz .LBB337_61
; %bb.56:                               ;   in Loop: Header=BB337_5 Depth=1
	v_mul_f64 v[26:27], v[0:1], v[22:23]
	v_mul_f64 v[24:25], v[22:23], -v[2:3]
	v_ashrrev_i32_e32 v44, 31, v43
	v_add_u32_e32 v53, v61, v43
	v_ashrrev_i32_e32 v54, 31, v53
	v_lshlrev_b64 v[55:56], 4, v[53:54]
	v_fma_f64 v[26:27], v[2:3], v[20:21], v[26:27]
	v_fma_f64 v[24:25], v[0:1], v[20:21], v[24:25]
	v_add_f64 v[26:27], v[26:27], -v[32:33]
	v_add_f64 v[24:25], v[24:25], -v[34:35]
	v_mul_f64 v[28:29], v[26:27], v[26:27]
	v_fma_f64 v[28:29], v[24:25], v[24:25], v[28:29]
	v_div_scale_f64 v[30:31], s[26:27], v[28:29], v[28:29], 1.0
	v_rcp_f64_e32 v[32:33], v[30:31]
	v_fma_f64 v[34:35], -v[30:31], v[32:33], 1.0
	v_fma_f64 v[32:33], v[32:33], v[34:35], v[32:33]
	v_fma_f64 v[34:35], -v[30:31], v[32:33], 1.0
	v_fma_f64 v[32:33], v[32:33], v[34:35], v[32:33]
	v_div_scale_f64 v[34:35], vcc, 1.0, v[28:29], 1.0
	v_mul_f64 v[36:37], v[34:35], v[32:33]
	v_fma_f64 v[30:31], -v[30:31], v[36:37], v[34:35]
	s_nop 1
	v_div_fmas_f64 v[30:31], v[30:31], v[32:33], v[36:37]
	v_mov_b32_e32 v32, s13
	v_mov_b32_e32 v36, s13
	v_div_fixup_f64 v[28:29], v[30:31], v[28:29], 1.0
	v_fma_f64 v[30:31], v[26:27], 0, v[24:25]
	v_fma_f64 v[24:25], v[24:25], 0, -v[26:27]
	v_mul_f64 v[49:50], v[30:31], v[28:29]
	v_mul_f64 v[51:52], v[24:25], v[28:29]
	v_lshlrev_b64 v[24:25], 4, v[43:44]
	v_mov_b32_e32 v28, s11
	v_add_co_u32_e32 v72, vcc, v41, v24
	v_addc_co_u32_e32 v73, vcc, v42, v25, vcc
	v_add_co_u32_e32 v57, vcc, s10, v55
	v_addc_co_u32_e32 v58, vcc, v28, v56, vcc
	global_load_dwordx4 v[24:27], v[72:73], off
	global_load_dwordx4 v[28:31], v[57:58], off
	v_add_co_u32_e32 v74, vcc, s12, v47
	v_addc_co_u32_e32 v75, vcc, v32, v48, vcc
	global_load_dwordx4 v[32:35], v[74:75], off
	v_add_co_u32_e32 v59, vcc, s12, v55
	v_addc_co_u32_e32 v60, vcc, v36, v56, vcc
	global_load_dwordx4 v[36:39], v[59:60], off
	s_waitcnt vmcnt(3)
	v_mul_f64 v[70:71], v[20:21], v[26:27]
	s_waitcnt vmcnt(2)
	v_mul_f64 v[78:79], v[16:17], v[30:31]
	v_mul_f64 v[68:69], v[26:27], -v[22:23]
	v_mul_f64 v[76:77], v[30:31], -v[18:19]
	v_fma_f64 v[70:71], v[22:23], v[24:25], v[70:71]
	v_fma_f64 v[78:79], v[18:19], v[28:29], v[78:79]
	;; [unrolled: 1-line block ×4, first 2 shown]
	v_add_f64 v[70:71], v[70:71], -v[78:79]
	v_add_f64 v[76:77], v[68:69], -v[76:77]
	v_mul_f64 v[68:69], v[51:52], -v[70:71]
	v_fma_f64 v[68:69], v[76:77], v[49:50], v[68:69]
	v_mul_f64 v[76:77], v[51:52], v[76:77]
	v_fma_f64 v[70:71], v[70:71], v[49:50], v[76:77]
	global_store_dwordx4 v[72:73], v[68:71], off
	s_waitcnt vmcnt(2)
	v_mul_f64 v[68:69], v[34:35], -v[22:23]
	s_waitcnt vmcnt(1)
	v_mul_f64 v[70:71], v[16:17], v[38:39]
	v_fma_f64 v[68:69], v[20:21], v[32:33], v[68:69]
	v_mul_f64 v[20:21], v[20:21], v[34:35]
	v_fma_f64 v[70:71], v[18:19], v[36:37], v[70:71]
	v_fma_f64 v[20:21], v[22:23], v[32:33], v[20:21]
	v_mul_f64 v[22:23], v[38:39], -v[18:19]
	v_fma_f64 v[22:23], v[16:17], v[36:37], v[22:23]
	v_add_f64 v[22:23], v[68:69], -v[22:23]
	v_add_f64 v[68:69], v[20:21], -v[70:71]
	v_mul_f64 v[20:21], v[51:52], -v[68:69]
	v_fma_f64 v[20:21], v[22:23], v[49:50], v[20:21]
	v_mul_f64 v[22:23], v[51:52], v[22:23]
	v_fma_f64 v[22:23], v[68:69], v[49:50], v[22:23]
	global_store_dwordx4 v[74:75], v[20:23], off
	s_nop 0
	v_mul_f64 v[20:21], v[18:19], v[10:11]
	v_fma_f64 v[20:21], -v[16:17], v[8:9], v[20:21]
	v_mul_f64 v[16:17], v[10:11], -v[16:17]
	v_fma_f64 v[18:19], -v[18:19], v[8:9], v[16:17]
	v_mul_f64 v[16:17], v[51:52], -v[18:19]
	v_fma_f64 v[16:17], v[20:21], v[49:50], v[16:17]
	v_mul_f64 v[20:21], v[51:52], v[20:21]
	v_fma_f64 v[18:19], v[18:19], v[49:50], v[20:21]
	v_add_co_u32_e32 v20, vcc, s14, v47
	v_mov_b32_e32 v21, s15
	v_addc_co_u32_e32 v21, vcc, v21, v48, vcc
	global_store_dwordx4 v[20:21], v[16:19], off
	s_nop 0
	v_lshlrev_b64 v[16:17], 2, v[45:46]
	v_mov_b32_e32 v18, s7
	v_add_co_u32_e32 v16, vcc, s6, v16
	v_addc_co_u32_e32 v17, vcc, v18, v17, vcc
	global_store_dword v[16:17], v64, off
	s_and_saveexec_b64 s[26:27], s[0:1]
	s_cbranch_execz .LBB337_58
; %bb.57:                               ;   in Loop: Header=BB337_5 Depth=1
	v_mul_f64 v[16:17], v[6:7], v[26:27]
	v_mul_f64 v[18:19], v[26:27], -v[4:5]
	v_mul_f64 v[20:21], v[30:31], -v[2:3]
	v_mul_f64 v[22:23], v[0:1], v[30:31]
	v_mul_f64 v[44:45], v[6:7], v[34:35]
	v_mul_f64 v[34:35], v[34:35], -v[4:5]
	v_mul_f64 v[46:47], v[0:1], v[38:39]
	v_mul_f64 v[38:39], v[38:39], -v[2:3]
	v_fma_f64 v[16:17], -v[4:5], v[24:25], v[16:17]
	v_fma_f64 v[18:19], -v[6:7], v[24:25], v[18:19]
	v_fma_f64 v[20:21], v[0:1], v[28:29], v[20:21]
	v_fma_f64 v[22:23], v[2:3], v[28:29], v[22:23]
	v_fma_f64 v[44:45], -v[4:5], v[32:33], v[44:45]
	v_fma_f64 v[32:33], -v[6:7], v[32:33], v[34:35]
	v_fma_f64 v[34:35], v[2:3], v[36:37], v[46:47]
	v_fma_f64 v[36:37], v[0:1], v[36:37], v[38:39]
	v_mul_f64 v[38:39], v[0:1], v[10:11]
	v_mul_f64 v[46:47], v[10:11], -v[2:3]
	v_add_f64 v[16:17], v[16:17], v[20:21]
	v_add_f64 v[18:19], v[18:19], v[22:23]
	;; [unrolled: 1-line block ×4, first 2 shown]
	v_fma_f64 v[34:35], v[2:3], v[8:9], v[38:39]
	v_fma_f64 v[32:33], v[0:1], v[8:9], v[46:47]
	v_mul_f64 v[38:39], v[51:52], v[16:17]
	v_mul_f64 v[36:37], v[51:52], -v[18:19]
	v_mul_f64 v[44:45], v[51:52], -v[22:23]
	v_mul_f64 v[46:47], v[51:52], v[20:21]
	v_mul_f64 v[68:69], v[51:52], -v[34:35]
	v_mul_f64 v[70:71], v[51:52], v[32:33]
	v_fma_f64 v[18:19], v[18:19], v[49:50], v[38:39]
	v_fma_f64 v[16:17], v[16:17], v[49:50], v[36:37]
	v_mov_b32_e32 v36, s15
	v_fma_f64 v[20:21], v[20:21], v[49:50], v[44:45]
	v_fma_f64 v[22:23], v[22:23], v[49:50], v[46:47]
	;; [unrolled: 1-line block ×4, first 2 shown]
	global_store_dwordx4 v[57:58], v[16:19], off
	global_store_dwordx4 v[59:60], v[20:23], off
	v_add_co_u32_e32 v16, vcc, s14, v55
	v_addc_co_u32_e32 v17, vcc, v36, v56, vcc
	global_store_dwordx4 v[16:17], v[32:35], off
	v_lshlrev_b64 v[16:17], 2, v[53:54]
	v_mov_b32_e32 v18, s7
	v_add_co_u32_e32 v16, vcc, s6, v16
	v_addc_co_u32_e32 v17, vcc, v18, v17, vcc
	global_store_dword v[16:17], v64, off
.LBB337_58:                             ;   in Loop: Header=BB337_5 Depth=1
	s_or_b64 exec, exec, s[26:27]
	v_mov_b32_e32 v16, 0
	v_mov_b32_e32 v18, 0
	v_mov_b32_e32 v17, 0
	v_mov_b32_e32 v19, 0
	s_and_saveexec_b64 s[26:27], s[2:3]
	s_cbranch_execz .LBB337_60
; %bb.59:                               ;   in Loop: Header=BB337_5 Depth=1
	v_add_u32_e32 v16, v62, v43
	v_ashrrev_i32_e32 v17, 31, v16
	v_lshlrev_b64 v[20:21], 4, v[16:17]
	v_mov_b32_e32 v16, s11
	v_add_co_u32_e32 v32, vcc, s10, v20
	v_addc_co_u32_e32 v33, vcc, v16, v21, vcc
	v_mov_b32_e32 v22, s19
	v_add_co_u32_e32 v20, vcc, s18, v20
	v_addc_co_u32_e32 v21, vcc, v22, v21, vcc
	global_load_dwordx4 v[16:19], v[32:33], off
	v_mul_f64 v[34:35], v[6:7], v[14:15]
	global_load_dwordx4 v[20:23], v[20:21], off
	v_mul_f64 v[36:37], v[14:15], -v[4:5]
	v_mul_f64 v[38:39], v[14:15], -v[2:3]
	v_mul_f64 v[44:45], v[0:1], v[14:15]
	v_fma_f64 v[4:5], -v[4:5], v[12:13], v[34:35]
	v_fma_f64 v[6:7], -v[6:7], v[12:13], v[36:37]
	v_fma_f64 v[34:35], v[0:1], v[12:13], v[38:39]
	v_fma_f64 v[36:37], v[2:3], v[12:13], v[44:45]
	v_mul_f64 v[38:39], v[2:3], -v[14:15]
	v_mul_f64 v[2:3], v[2:3], v[12:13]
	v_mul_f64 v[44:45], v[51:52], v[4:5]
	v_mul_f64 v[46:47], v[51:52], -v[6:7]
	v_mul_f64 v[53:54], v[51:52], v[34:35]
	v_mul_f64 v[55:56], v[51:52], -v[36:37]
	v_fma_f64 v[12:13], v[12:13], v[0:1], v[38:39]
	v_fma_f64 v[0:1], v[14:15], v[0:1], v[2:3]
	v_fma_f64 v[2:3], v[6:7], v[49:50], v[44:45]
	v_fma_f64 v[4:5], v[4:5], v[49:50], v[46:47]
	v_fma_f64 v[6:7], v[36:37], v[49:50], v[53:54]
	v_fma_f64 v[14:15], v[34:35], v[49:50], v[55:56]
	v_mul_f64 v[34:35], v[10:11], v[12:13]
	v_mul_f64 v[10:11], v[10:11], -v[0:1]
	v_mul_f64 v[36:37], v[2:3], v[26:27]
	v_mul_f64 v[26:27], v[26:27], -v[4:5]
	v_mul_f64 v[38:39], v[30:31], -v[6:7]
	v_mul_f64 v[30:31], v[14:15], v[30:31]
	v_fma_f64 v[0:1], v[0:1], v[8:9], v[34:35]
	v_fma_f64 v[8:9], v[12:13], v[8:9], v[10:11]
	v_fma_f64 v[4:5], -v[4:5], v[24:25], v[36:37]
	v_fma_f64 v[2:3], -v[2:3], v[24:25], v[26:27]
	v_fma_f64 v[10:11], v[14:15], v[28:29], v[38:39]
	v_fma_f64 v[6:7], v[6:7], v[28:29], v[30:31]
	v_mul_f64 v[12:13], v[51:52], -v[0:1]
	v_mul_f64 v[14:15], v[51:52], v[8:9]
	v_add_f64 v[4:5], v[4:5], -v[10:11]
	v_add_f64 v[2:3], v[2:3], -v[6:7]
	v_fma_f64 v[6:7], v[8:9], v[49:50], v[12:13]
	v_fma_f64 v[8:9], v[0:1], v[49:50], v[14:15]
	s_waitcnt vmcnt(1)
	v_add_f64 v[0:1], v[4:5], v[16:17]
	v_add_f64 v[2:3], v[2:3], v[18:19]
	s_waitcnt vmcnt(0)
	v_add_f64 v[18:19], v[20:21], -v[6:7]
	v_add_f64 v[16:17], v[22:23], -v[8:9]
	global_store_dwordx4 v[32:33], v[0:3], off
.LBB337_60:                             ;   in Loop: Header=BB337_5 Depth=1
	s_or_b64 exec, exec, s[26:27]
	v_mov_b32_e32 v2, v16
	v_mov_b32_e32 v0, v18
	;; [unrolled: 1-line block ×4, first 2 shown]
                                        ; implicit-def: $vgpr4_vgpr5
                                        ; implicit-def: $vgpr20_vgpr21
                                        ; implicit-def: $vgpr34_vgpr35
                                        ; implicit-def: $vgpr32_vgpr33
                                        ; implicit-def: $vgpr45_vgpr46
                                        ; implicit-def: $vgpr47_vgpr48
                                        ; implicit-def: $vgpr18_vgpr19
.LBB337_61:                             ;   in Loop: Header=BB337_5 Depth=1
	s_or_saveexec_b64 s[2:3], s[4:5]
	v_mov_b32_e32 v8, s33
	s_xor_b64 exec, exec, s[2:3]
	s_cbranch_execz .LBB337_4
; %bb.62:                               ;   in Loop: Header=BB337_5 Depth=1
	v_mul_f64 v[8:9], v[2:3], v[2:3]
	v_ashrrev_i32_e32 v44, 31, v43
	v_mov_b32_e32 v12, s13
	v_mov_b32_e32 v53, s15
	v_fma_f64 v[24:25], v[0:1], v[0:1], v[8:9]
	v_lshlrev_b64 v[8:9], 4, v[43:44]
	v_lshlrev_b64 v[44:45], 2, v[45:46]
	v_add_co_u32_e32 v30, vcc, v41, v8
	v_addc_co_u32_e32 v31, vcc, v42, v9, vcc
	v_add_co_u32_e32 v38, vcc, s12, v47
	v_div_scale_f64 v[26:27], s[4:5], v[24:25], v[24:25], 1.0
	global_load_dwordx4 v[8:11], v[30:31], off
	v_addc_co_u32_e32 v39, vcc, v12, v48, vcc
	global_load_dwordx4 v[12:15], v[38:39], off
	v_mov_b32_e32 v46, s7
	v_rcp_f64_e32 v[28:29], v[26:27]
	v_fma_f64 v[36:37], -v[26:27], v[28:29], 1.0
	v_fma_f64 v[28:29], v[28:29], v[36:37], v[28:29]
	v_div_scale_f64 v[36:37], vcc, 1.0, v[24:25], 1.0
	v_fma_f64 v[49:50], -v[26:27], v[28:29], 1.0
	v_fma_f64 v[28:29], v[28:29], v[49:50], v[28:29]
	v_mul_f64 v[49:50], v[36:37], v[28:29]
	v_fma_f64 v[26:27], -v[26:27], v[49:50], v[36:37]
	v_div_fmas_f64 v[26:27], v[26:27], v[28:29], v[49:50]
	v_fma_f64 v[28:29], v[0:1], 0, -v[2:3]
	v_fma_f64 v[2:3], v[2:3], 0, v[0:1]
	v_div_fixup_f64 v[24:25], v[26:27], v[24:25], 1.0
	v_mul_f64 v[0:1], v[28:29], v[24:25]
	v_mul_f64 v[2:3], v[2:3], v[24:25]
	v_mul_f64 v[24:25], v[0:1], -v[18:19]
	v_mul_f64 v[26:27], v[0:1], v[16:17]
	s_waitcnt vmcnt(1)
	v_mul_f64 v[28:29], v[0:1], -v[10:11]
	v_mul_f64 v[36:37], v[0:1], v[8:9]
	s_waitcnt vmcnt(0)
	v_mul_f64 v[49:50], v[0:1], -v[14:15]
	v_mul_f64 v[51:52], v[0:1], v[12:13]
	v_fma_f64 v[16:17], v[16:17], v[2:3], v[24:25]
	v_fma_f64 v[18:19], v[18:19], v[2:3], v[26:27]
	;; [unrolled: 1-line block ×6, first 2 shown]
	v_add_co_u32_e32 v28, vcc, s14, v47
	v_addc_co_u32_e32 v29, vcc, v53, v48, vcc
	v_add_co_u32_e32 v36, vcc, s6, v44
	v_addc_co_u32_e32 v37, vcc, v46, v45, vcc
	global_store_dwordx4 v[30:31], v[24:27], off
	global_store_dwordx4 v[38:39], v[12:15], off
	;; [unrolled: 1-line block ×3, first 2 shown]
	global_store_dword v[36:37], v65, off
	s_and_saveexec_b64 s[4:5], s[0:1]
	s_cbranch_execz .LBB337_3
; %bb.63:                               ;   in Loop: Header=BB337_5 Depth=1
	v_add_u32_e32 v12, v61, v43
	v_ashrrev_i32_e32 v13, 31, v12
	v_lshlrev_b64 v[12:13], 4, v[12:13]
	v_mov_b32_e32 v14, s11
	v_add_co_u32_e32 v16, vcc, s10, v12
	v_addc_co_u32_e32 v17, vcc, v14, v13, vcc
	global_load_dwordx4 v[12:15], v[16:17], off
	v_mul_f64 v[18:19], v[0:1], v[4:5]
	v_mul_f64 v[24:25], v[0:1], -v[6:7]
	v_fma_f64 v[6:7], v[6:7], v[2:3], v[18:19]
	v_fma_f64 v[4:5], v[4:5], v[2:3], v[24:25]
	v_mul_f64 v[18:19], v[6:7], v[10:11]
	v_mul_f64 v[10:11], v[10:11], -v[4:5]
	v_fma_f64 v[4:5], -v[4:5], v[8:9], v[18:19]
	v_fma_f64 v[6:7], -v[6:7], v[8:9], v[10:11]
	s_waitcnt vmcnt(0)
	v_add_f64 v[4:5], v[4:5], v[12:13]
	v_add_f64 v[6:7], v[6:7], v[14:15]
	global_store_dwordx4 v[16:17], v[4:7], off
	s_branch .LBB337_3
.LBB337_64:
	s_or_b64 exec, exec, s[20:21]
.LBB337_65:
	v_subrev_u32_e32 v2, s28, v43
	v_add_u32_e32 v0, v2, v40
	v_ashrrev_i32_e32 v1, 31, v0
	v_lshlrev_b64 v[0:1], 2, v[0:1]
	s_waitcnt lgkmcnt(0)
	v_mov_b32_e32 v3, s7
	v_add_co_u32_e32 v0, vcc, s6, v0
	v_addc_co_u32_e32 v1, vcc, v3, v1, vcc
	s_waitcnt vmcnt(0)
	buffer_wbinvl1_vol
	global_load_dword v0, v[0:1], off
	s_waitcnt vmcnt(0)
	v_mul_lo_u32 v0, v0, s28
	v_sub_u32_e32 v4, v2, v0
	v_cmp_lt_i32_e32 vcc, -1, v4
	s_and_b64 exec, exec, vcc
	s_cbranch_execz .LBB337_72
; %bb.66:
	v_subrev_u32_e32 v14, s28, v40
	s_lshl_b32 s4, s28, 1
	s_mov_b64 s[0:1], 0
	v_mov_b32_e32 v15, s7
	v_mov_b32_e32 v16, s15
	s_branch .LBB337_68
.LBB337_67:                             ;   in Loop: Header=BB337_68 Depth=1
	s_or_b64 exec, exec, s[2:3]
	s_waitcnt vmcnt(0)
	v_lshlrev_b64 v[0:1], 4, v[6:7]
	v_mov_b32_e32 v2, s13
	v_add_co_u32_e32 v6, vcc, s12, v0
	v_addc_co_u32_e32 v7, vcc, v2, v1, vcc
	global_load_dwordx4 v[0:3], v[6:7], off
	v_sub_u32_e32 v4, v4, v5
	v_cmp_gt_i32_e32 vcc, 0, v4
	s_or_b64 s[0:1], vcc, s[0:1]
	s_waitcnt vmcnt(0)
	v_add_f64 v[0:1], v[0:1], v[10:11]
	v_add_f64 v[2:3], v[12:13], v[2:3]
	global_store_dwordx4 v[6:7], v[0:3], off
	s_andn2_b64 exec, exec, s[0:1]
	s_cbranch_execz .LBB337_72
.LBB337_68:                             ; =>This Inner Loop Header: Depth=1
	v_add_u32_e32 v6, v4, v40
	v_ashrrev_i32_e32 v7, 31, v6
	v_lshlrev_b64 v[0:1], 2, v[6:7]
	v_lshlrev_b64 v[8:9], 4, v[6:7]
	v_add_co_u32_e32 v0, vcc, s6, v0
	v_addc_co_u32_e32 v1, vcc, v15, v1, vcc
	global_load_dword v5, v[0:1], off
	v_add_co_u32_e32 v0, vcc, s14, v8
	v_addc_co_u32_e32 v1, vcc, v16, v9, vcc
	global_load_dwordx4 v[0:3], v[0:1], off
                                        ; implicit-def: $vgpr12_vgpr13
                                        ; implicit-def: $vgpr10_vgpr11
	s_waitcnt vmcnt(1)
	v_cmp_ne_u32_e32 vcc, 1, v5
	s_and_saveexec_b64 s[2:3], vcc
	s_xor_b64 s[2:3], exec, s[2:3]
	s_cbranch_execz .LBB337_70
; %bb.69:                               ;   in Loop: Header=BB337_68 Depth=1
	v_add_u32_e32 v5, v61, v4
	v_ashrrev_i32_e32 v6, 31, v5
	v_lshlrev_b64 v[5:6], 4, v[5:6]
	v_mov_b32_e32 v7, s11
	v_add_co_u32_e32 v29, vcc, s10, v5
	v_addc_co_u32_e32 v30, vcc, v7, v6, vcc
	global_load_dwordx4 v[10:13], v[29:30], off
	v_mov_b32_e32 v7, s13
	v_add_co_u32_e32 v31, vcc, s12, v5
	v_ashrrev_i32_e32 v5, 31, v4
	v_addc_co_u32_e32 v32, vcc, v7, v6, vcc
	v_lshlrev_b64 v[5:6], 4, v[4:5]
	global_load_dwordx4 v[17:20], v[31:32], off
	v_add_co_u32_e32 v33, vcc, v41, v5
	v_addc_co_u32_e32 v34, vcc, v42, v6, vcc
	global_load_dwordx4 v[21:24], v[33:34], off
	v_mov_b32_e32 v5, s13
	v_add_co_u32_e32 v35, vcc, s12, v8
	v_addc_co_u32_e32 v36, vcc, v5, v9, vcc
	global_load_dwordx4 v[25:28], v[35:36], off
	s_waitcnt vmcnt(3)
	v_mul_f64 v[5:6], v[2:3], v[12:13]
	v_mul_f64 v[7:8], v[12:13], -v[0:1]
	s_waitcnt vmcnt(2)
	v_mul_f64 v[12:13], v[2:3], v[19:20]
	v_fma_f64 v[37:38], -v[0:1], v[10:11], v[5:6]
	v_fma_f64 v[10:11], -v[2:3], v[10:11], v[7:8]
	v_mul_f64 v[19:20], v[19:20], -v[0:1]
	v_add_u32_e32 v6, v14, v4
	v_ashrrev_i32_e32 v7, 31, v6
	v_lshlrev_b64 v[43:44], 4, v[6:7]
	v_mov_b32_e32 v5, s15
	v_fma_f64 v[12:13], -v[0:1], v[17:18], v[12:13]
	s_waitcnt vmcnt(1)
	v_add_f64 v[8:9], v[21:22], v[37:38]
	v_add_f64 v[10:11], v[10:11], v[23:24]
	v_add_co_u32_e32 v0, vcc, s14, v43
	v_fma_f64 v[19:20], -v[2:3], v[17:18], v[19:20]
	v_addc_co_u32_e32 v1, vcc, v5, v44, vcc
	global_load_dwordx4 v[0:3], v[0:1], off
	s_waitcnt vmcnt(1)
	v_add_f64 v[17:18], v[25:26], v[12:13]
	global_store_dwordx4 v[33:34], v[8:11], off
	global_load_dwordx4 v[8:11], v[29:30], off
	v_mov_b32_e32 v5, s11
	v_add_f64 v[19:20], v[19:20], v[27:28]
	v_add_co_u32_e32 v25, vcc, s10, v43
	v_addc_co_u32_e32 v26, vcc, v5, v44, vcc
	global_load_dwordx4 v[21:24], v[25:26], off
	s_waitcnt vmcnt(1)
	v_mul_f64 v[12:13], v[2:3], v[10:11]
	global_store_dwordx4 v[35:36], v[17:20], off
	global_load_dwordx4 v[17:20], v[31:32], off
	v_mul_f64 v[10:11], v[10:11], -v[0:1]
	v_fma_f64 v[12:13], -v[0:1], v[8:9], v[12:13]
	v_fma_f64 v[8:9], -v[2:3], v[8:9], v[10:11]
	s_waitcnt vmcnt(0)
	v_mul_f64 v[10:11], v[2:3], v[19:20]
	v_mul_f64 v[27:28], v[19:20], -v[0:1]
	v_add_f64 v[19:20], v[21:22], v[12:13]
	v_add_f64 v[21:22], v[8:9], v[23:24]
	v_fma_f64 v[10:11], -v[0:1], v[17:18], v[10:11]
	v_fma_f64 v[12:13], -v[2:3], v[17:18], v[27:28]
                                        ; implicit-def: $vgpr2_vgpr3
	global_store_dwordx4 v[25:26], v[19:22], off
.LBB337_70:                             ;   in Loop: Header=BB337_68 Depth=1
	s_or_saveexec_b64 s[2:3], s[2:3]
	v_mov_b32_e32 v5, s4
	s_xor_b64 exec, exec, s[2:3]
	s_cbranch_execz .LBB337_67
; %bb.71:                               ;   in Loop: Header=BB337_68 Depth=1
	v_add_u32_e32 v8, v61, v4
	v_ashrrev_i32_e32 v9, 31, v8
	v_lshlrev_b64 v[12:13], 4, v[8:9]
	v_mov_b32_e32 v5, s11
	v_add_co_u32_e32 v8, vcc, s10, v12
	v_addc_co_u32_e32 v9, vcc, v5, v13, vcc
	global_load_dwordx4 v[8:11], v[8:9], off
	v_mov_b32_e32 v17, s13
	v_add_co_u32_e32 v12, vcc, s12, v12
	v_addc_co_u32_e32 v13, vcc, v17, v13, vcc
	global_load_dwordx4 v[17:20], v[12:13], off
	v_ashrrev_i32_e32 v5, 31, v4
	v_lshlrev_b64 v[12:13], 4, v[4:5]
	v_mov_b32_e32 v5, s28
	v_add_co_u32_e32 v25, vcc, v41, v12
	v_addc_co_u32_e32 v26, vcc, v42, v13, vcc
	global_load_dwordx4 v[21:24], v[25:26], off
	s_waitcnt vmcnt(2)
	v_mul_f64 v[12:13], v[2:3], v[10:11]
	v_mul_f64 v[10:11], v[10:11], -v[0:1]
	s_waitcnt vmcnt(1)
	v_mul_f64 v[27:28], v[19:20], -v[0:1]
	v_fma_f64 v[12:13], -v[0:1], v[8:9], v[12:13]
	v_fma_f64 v[8:9], -v[2:3], v[8:9], v[10:11]
	v_mul_f64 v[10:11], v[2:3], v[19:20]
	s_waitcnt vmcnt(0)
	v_add_f64 v[19:20], v[21:22], v[12:13]
	v_add_f64 v[21:22], v[8:9], v[23:24]
	v_fma_f64 v[10:11], -v[0:1], v[17:18], v[10:11]
	v_fma_f64 v[12:13], -v[2:3], v[17:18], v[27:28]
	global_store_dwordx4 v[25:26], v[19:22], off
	s_branch .LBB337_67
.LBB337_72:
	s_endpgm
	.section	.rodata,"a",@progbits
	.p2align	6, 0x0
	.amdhsa_kernel _ZN9rocsparseL18gtsv_LBM_wv_kernelILj256ELj128E21rocsparse_complex_numIdEEEviiiPKT1_S5_S5_PS3_S6_S6_Pi
		.amdhsa_group_segment_fixed_size 0
		.amdhsa_private_segment_fixed_size 0
		.amdhsa_kernarg_size 72
		.amdhsa_user_sgpr_count 6
		.amdhsa_user_sgpr_private_segment_buffer 1
		.amdhsa_user_sgpr_dispatch_ptr 0
		.amdhsa_user_sgpr_queue_ptr 0
		.amdhsa_user_sgpr_kernarg_segment_ptr 1
		.amdhsa_user_sgpr_dispatch_id 0
		.amdhsa_user_sgpr_flat_scratch_init 0
		.amdhsa_user_sgpr_private_segment_size 0
		.amdhsa_uses_dynamic_stack 0
		.amdhsa_system_sgpr_private_segment_wavefront_offset 0
		.amdhsa_system_sgpr_workgroup_id_x 1
		.amdhsa_system_sgpr_workgroup_id_y 0
		.amdhsa_system_sgpr_workgroup_id_z 0
		.amdhsa_system_sgpr_workgroup_info 0
		.amdhsa_system_vgpr_workitem_id 0
		.amdhsa_next_free_vgpr 80
		.amdhsa_next_free_sgpr 36
		.amdhsa_reserve_vcc 1
		.amdhsa_reserve_flat_scratch 0
		.amdhsa_float_round_mode_32 0
		.amdhsa_float_round_mode_16_64 0
		.amdhsa_float_denorm_mode_32 3
		.amdhsa_float_denorm_mode_16_64 3
		.amdhsa_dx10_clamp 1
		.amdhsa_ieee_mode 1
		.amdhsa_fp16_overflow 0
		.amdhsa_exception_fp_ieee_invalid_op 0
		.amdhsa_exception_fp_denorm_src 0
		.amdhsa_exception_fp_ieee_div_zero 0
		.amdhsa_exception_fp_ieee_overflow 0
		.amdhsa_exception_fp_ieee_underflow 0
		.amdhsa_exception_fp_ieee_inexact 0
		.amdhsa_exception_int_div_zero 0
	.end_amdhsa_kernel
	.section	.text._ZN9rocsparseL18gtsv_LBM_wv_kernelILj256ELj128E21rocsparse_complex_numIdEEEviiiPKT1_S5_S5_PS3_S6_S6_Pi,"axG",@progbits,_ZN9rocsparseL18gtsv_LBM_wv_kernelILj256ELj128E21rocsparse_complex_numIdEEEviiiPKT1_S5_S5_PS3_S6_S6_Pi,comdat
.Lfunc_end337:
	.size	_ZN9rocsparseL18gtsv_LBM_wv_kernelILj256ELj128E21rocsparse_complex_numIdEEEviiiPKT1_S5_S5_PS3_S6_S6_Pi, .Lfunc_end337-_ZN9rocsparseL18gtsv_LBM_wv_kernelILj256ELj128E21rocsparse_complex_numIdEEEviiiPKT1_S5_S5_PS3_S6_S6_Pi
                                        ; -- End function
	.set _ZN9rocsparseL18gtsv_LBM_wv_kernelILj256ELj128E21rocsparse_complex_numIdEEEviiiPKT1_S5_S5_PS3_S6_S6_Pi.num_vgpr, 80
	.set _ZN9rocsparseL18gtsv_LBM_wv_kernelILj256ELj128E21rocsparse_complex_numIdEEEviiiPKT1_S5_S5_PS3_S6_S6_Pi.num_agpr, 0
	.set _ZN9rocsparseL18gtsv_LBM_wv_kernelILj256ELj128E21rocsparse_complex_numIdEEEviiiPKT1_S5_S5_PS3_S6_S6_Pi.numbered_sgpr, 36
	.set _ZN9rocsparseL18gtsv_LBM_wv_kernelILj256ELj128E21rocsparse_complex_numIdEEEviiiPKT1_S5_S5_PS3_S6_S6_Pi.num_named_barrier, 0
	.set _ZN9rocsparseL18gtsv_LBM_wv_kernelILj256ELj128E21rocsparse_complex_numIdEEEviiiPKT1_S5_S5_PS3_S6_S6_Pi.private_seg_size, 0
	.set _ZN9rocsparseL18gtsv_LBM_wv_kernelILj256ELj128E21rocsparse_complex_numIdEEEviiiPKT1_S5_S5_PS3_S6_S6_Pi.uses_vcc, 1
	.set _ZN9rocsparseL18gtsv_LBM_wv_kernelILj256ELj128E21rocsparse_complex_numIdEEEviiiPKT1_S5_S5_PS3_S6_S6_Pi.uses_flat_scratch, 0
	.set _ZN9rocsparseL18gtsv_LBM_wv_kernelILj256ELj128E21rocsparse_complex_numIdEEEviiiPKT1_S5_S5_PS3_S6_S6_Pi.has_dyn_sized_stack, 0
	.set _ZN9rocsparseL18gtsv_LBM_wv_kernelILj256ELj128E21rocsparse_complex_numIdEEEviiiPKT1_S5_S5_PS3_S6_S6_Pi.has_recursion, 0
	.set _ZN9rocsparseL18gtsv_LBM_wv_kernelILj256ELj128E21rocsparse_complex_numIdEEEviiiPKT1_S5_S5_PS3_S6_S6_Pi.has_indirect_call, 0
	.section	.AMDGPU.csdata,"",@progbits
; Kernel info:
; codeLenInByte = 7372
; TotalNumSgprs: 40
; NumVgprs: 80
; ScratchSize: 0
; MemoryBound: 1
; FloatMode: 240
; IeeeMode: 1
; LDSByteSize: 0 bytes/workgroup (compile time only)
; SGPRBlocks: 4
; VGPRBlocks: 19
; NumSGPRsForWavesPerEU: 40
; NumVGPRsForWavesPerEU: 80
; Occupancy: 3
; WaveLimiterHint : 0
; COMPUTE_PGM_RSRC2:SCRATCH_EN: 0
; COMPUTE_PGM_RSRC2:USER_SGPR: 6
; COMPUTE_PGM_RSRC2:TRAP_HANDLER: 0
; COMPUTE_PGM_RSRC2:TGID_X_EN: 1
; COMPUTE_PGM_RSRC2:TGID_Y_EN: 0
; COMPUTE_PGM_RSRC2:TGID_Z_EN: 0
; COMPUTE_PGM_RSRC2:TIDIG_COMP_CNT: 0
	.section	.text._ZN9rocsparseL19gtsv_LBM_rhs_kernelILj256ELj128ELj8E21rocsparse_complex_numIdEEEviiiPKT2_S5_S5_PS3_S5_PKi,"axG",@progbits,_ZN9rocsparseL19gtsv_LBM_rhs_kernelILj256ELj128ELj8E21rocsparse_complex_numIdEEEviiiPKT2_S5_S5_PS3_S5_PKi,comdat
	.globl	_ZN9rocsparseL19gtsv_LBM_rhs_kernelILj256ELj128ELj8E21rocsparse_complex_numIdEEEviiiPKT2_S5_S5_PS3_S5_PKi ; -- Begin function _ZN9rocsparseL19gtsv_LBM_rhs_kernelILj256ELj128ELj8E21rocsparse_complex_numIdEEEviiiPKT2_S5_S5_PS3_S5_PKi
	.p2align	8
	.type	_ZN9rocsparseL19gtsv_LBM_rhs_kernelILj256ELj128ELj8E21rocsparse_complex_numIdEEEviiiPKT2_S5_S5_PS3_S5_PKi,@function
_ZN9rocsparseL19gtsv_LBM_rhs_kernelILj256ELj128ELj8E21rocsparse_complex_numIdEEEviiiPKT2_S5_S5_PS3_S5_PKi: ; @_ZN9rocsparseL19gtsv_LBM_rhs_kernelILj256ELj128ELj8E21rocsparse_complex_numIdEEEviiiPKT2_S5_S5_PS3_S5_PKi
; %bb.0:
	s_load_dword s23, s[4:5], 0x0
	v_lshl_or_b32 v44, s6, 8, v0
	s_waitcnt lgkmcnt(0)
	s_lshr_b32 s22, s23, 7
	v_cmp_gt_i32_e32 vcc, s22, v44
	s_and_saveexec_b64 s[0:1], vcc
	s_cbranch_execz .LBB338_29
; %bb.1:
	s_load_dwordx4 s[8:11], s[4:5], 0x28
	s_load_dwordx2 s[16:17], s[4:5], 0x38
	s_cmp_lt_i32 s23, 1
	v_add_u32_e32 v103, s22, v44
	s_mul_i32 s24, s7, s23
	s_cbranch_scc1 .LBB338_21
; %bb.2:
	s_load_dwordx4 s[12:15], s[4:5], 0x10
	s_load_dwordx2 s[6:7], s[4:5], 0x20
	v_ashrrev_i32_e32 v45, 31, v44
	v_lshlrev_b64 v[0:1], 4, v[44:45]
	s_lshl_b32 s28, s24, 3
	s_waitcnt lgkmcnt(0)
	v_mov_b32_e32 v2, s15
	v_add_co_u32_e32 v0, vcc, s14, v0
	v_addc_co_u32_e32 v1, vcc, v2, v1, vcc
	global_load_dwordx4 v[0:3], v[0:1], off
	s_add_i32 s29, s28, s23
	s_add_i32 s30, s29, s23
	;; [unrolled: 1-line block ×6, first 2 shown]
	s_mul_i32 s25, s22, 0x7f
	s_mul_i32 s26, s22, 0x7e
	s_lshl_b32 s27, s22, 1
	v_add_u32_e32 v104, s22, v103
	s_add_i32 s36, s35, s23
	v_mov_b32_e32 v46, 0
	s_mov_b64 s[18:19], 0
	v_mov_b32_e32 v106, s7
	v_mov_b32_e32 v105, 0
	s_branch .LBB338_5
.LBB338_3:                              ;   in Loop: Header=BB338_5 Depth=1
	s_or_b64 exec, exec, s[4:5]
	v_fma_f64 v[0:1], v[6:7], v[8:9], v[49:50]
	v_fma_f64 v[2:3], v[4:5], v[8:9], v[47:48]
	v_mul_f64 v[4:5], v[51:52], -v[0:1]
	v_mul_f64 v[6:7], v[51:52], v[2:3]
	v_fma_f64 v[2:3], v[2:3], v[10:11], v[4:5]
	v_fma_f64 v[4:5], v[0:1], v[10:11], v[6:7]
	v_mov_b32_e32 v10, s22
	v_add_f64 v[0:1], v[12:13], -v[2:3]
	v_add_f64 v[2:3], v[14:15], -v[4:5]
.LBB338_4:                              ;   in Loop: Header=BB338_5 Depth=1
	s_or_b64 exec, exec, s[2:3]
	v_add_u32_e32 v105, v10, v105
	v_cmp_le_i32_e32 vcc, s23, v105
	s_or_b64 s[18:19], vcc, s[18:19]
	s_andn2_b64 exec, exec, s[18:19]
	s_cbranch_execz .LBB338_20
.LBB338_5:                              ; =>This Inner Loop Header: Depth=1
	v_add_u32_e32 v24, v105, v44
	v_ashrrev_i32_e32 v25, 31, v24
	v_lshlrev_b64 v[4:5], 4, v[24:25]
	v_mov_b32_e32 v12, 0
	v_add_co_u32_e32 v4, vcc, s6, v4
	v_addc_co_u32_e32 v5, vcc, v106, v5, vcc
	global_load_dwordx4 v[8:11], v[4:5], off
	v_mov_b32_e32 v4, 0
	v_mov_b32_e32 v6, 0
	;; [unrolled: 1-line block ×5, first 2 shown]
	v_cmp_gt_u32_e64 s[0:1], s25, v105
	s_and_saveexec_b64 s[2:3], s[0:1]
	s_cbranch_execz .LBB338_7
; %bb.6:                                ;   in Loop: Header=BB338_5 Depth=1
	v_add_u32_e32 v4, v103, v105
	v_ashrrev_i32_e32 v5, 31, v4
	v_lshlrev_b64 v[4:5], 4, v[4:5]
	v_mov_b32_e32 v6, s13
	v_add_co_u32_e32 v4, vcc, s12, v4
	v_addc_co_u32_e32 v5, vcc, v6, v5, vcc
	global_load_dwordx4 v[4:7], v[4:5], off
.LBB338_7:                              ;   in Loop: Header=BB338_5 Depth=1
	s_or_b64 exec, exec, s[2:3]
	v_mov_b32_e32 v14, 0
	v_mov_b32_e32 v15, 0
	s_and_saveexec_b64 s[2:3], s[0:1]
	s_cbranch_execz .LBB338_9
; %bb.8:                                ;   in Loop: Header=BB338_5 Depth=1
	v_add_u32_e32 v12, v103, v105
	v_ashrrev_i32_e32 v13, 31, v12
	v_lshlrev_b64 v[12:13], 4, v[12:13]
	v_mov_b32_e32 v14, s15
	v_add_co_u32_e32 v12, vcc, s14, v12
	v_addc_co_u32_e32 v13, vcc, v14, v13, vcc
	global_load_dwordx4 v[12:15], v[12:13], off
.LBB338_9:                              ;   in Loop: Header=BB338_5 Depth=1
	s_or_b64 exec, exec, s[2:3]
	v_mov_b32_e32 v20, 0
	v_mov_b32_e32 v16, 0
	;; [unrolled: 1-line block ×6, first 2 shown]
	s_and_saveexec_b64 s[2:3], s[0:1]
	s_cbranch_execz .LBB338_11
; %bb.10:                               ;   in Loop: Header=BB338_5 Depth=1
	v_add_u32_e32 v16, v103, v105
	v_ashrrev_i32_e32 v17, 31, v16
	v_lshlrev_b64 v[16:17], 4, v[16:17]
	v_mov_b32_e32 v18, s7
	v_add_co_u32_e32 v16, vcc, s6, v16
	v_addc_co_u32_e32 v17, vcc, v18, v17, vcc
	global_load_dwordx4 v[16:19], v[16:17], off
.LBB338_11:                             ;   in Loop: Header=BB338_5 Depth=1
	s_or_b64 exec, exec, s[2:3]
	v_mov_b32_e32 v22, 0
	v_mov_b32_e32 v23, 0
	v_cmp_gt_u32_e64 s[2:3], s26, v105
	s_and_saveexec_b64 s[4:5], s[2:3]
	s_cbranch_execz .LBB338_13
; %bb.12:                               ;   in Loop: Header=BB338_5 Depth=1
	v_add_u32_e32 v20, v104, v105
	v_ashrrev_i32_e32 v21, 31, v20
	v_lshlrev_b64 v[20:21], 4, v[20:21]
	v_mov_b32_e32 v22, s13
	v_add_co_u32_e32 v20, vcc, s12, v20
	v_addc_co_u32_e32 v21, vcc, v22, v21, vcc
	global_load_dwordx4 v[20:23], v[20:21], off
.LBB338_13:                             ;   in Loop: Header=BB338_5 Depth=1
	s_or_b64 exec, exec, s[4:5]
	v_lshlrev_b64 v[25:26], 2, v[24:25]
	v_mov_b32_e32 v27, s17
	v_add_co_u32_e32 v25, vcc, s16, v25
	v_addc_co_u32_e32 v26, vcc, v27, v26, vcc
	global_load_dword v25, v[25:26], off
	s_waitcnt vmcnt(1)
	v_mul_f64 v[47:48], v[10:11], -v[6:7]
	v_mul_f64 v[49:50], v[10:11], v[4:5]
	v_cmp_ne_u32_e32 vcc, s25, v105
	v_add_u32_e32 v45, s28, v24
	v_add_u32_e32 v36, s29, v24
	;; [unrolled: 1-line block ×8, first 2 shown]
	s_waitcnt vmcnt(0)
	v_cmp_ne_u32_e64 s[4:5], 1, v25
	s_and_b64 s[4:5], vcc, s[4:5]
	s_and_saveexec_b64 s[20:21], s[4:5]
	s_xor_b64 s[20:21], exec, s[20:21]
	s_cbranch_execz .LBB338_17
; %bb.14:                               ;   in Loop: Header=BB338_5 Depth=1
	v_mul_f64 v[37:38], v[0:1], v[14:15]
	v_mul_f64 v[39:40], v[14:15], -v[2:3]
	v_fma_f64 v[41:42], v[6:7], v[8:9], v[49:50]
	v_fma_f64 v[47:48], v[4:5], v[8:9], v[47:48]
	v_mov_b32_e32 v53, s9
	v_mov_b32_e32 v35, v46
	;; [unrolled: 1-line block ×3, first 2 shown]
	v_add_u32_e32 v81, v103, v105
	v_fma_f64 v[37:38], v[2:3], v[12:13], v[37:38]
	v_fma_f64 v[49:50], v[0:1], v[12:13], v[39:40]
	v_lshlrev_b64 v[34:35], 4, v[34:35]
	v_mov_b32_e32 v33, v46
	v_mov_b32_e32 v62, s9
	v_lshlrev_b64 v[51:52], 4, v[32:33]
	v_mov_b32_e32 v64, s9
	v_mov_b32_e32 v31, v46
	v_add_f64 v[38:39], v[37:38], -v[41:42]
	v_add_f64 v[40:41], v[49:50], -v[47:48]
	v_lshlrev_b64 v[47:48], 4, v[45:46]
	v_mov_b32_e32 v37, v46
	v_add_co_u32_e32 v79, vcc, s8, v47
	v_lshlrev_b64 v[36:37], 4, v[36:37]
	v_addc_co_u32_e32 v80, vcc, v53, v48, vcc
	v_mul_f64 v[42:43], v[38:39], v[38:39]
	v_add_co_u32_e32 v139, vcc, s8, v36
	v_add_u32_e32 v45, s28, v81
	v_addc_co_u32_e32 v140, vcc, v61, v37, vcc
	v_lshlrev_b64 v[32:33], 4, v[45:46]
	v_add_co_u32_e32 v141, vcc, s8, v34
	v_fma_f64 v[42:43], v[40:41], v[40:41], v[42:43]
	v_addc_co_u32_e32 v142, vcc, v62, v35, vcc
	v_add_co_u32_e32 v85, vcc, s8, v32
	v_mov_b32_e32 v29, v46
	v_addc_co_u32_e32 v86, vcc, v64, v33, vcc
	v_div_scale_f64 v[55:56], s[4:5], v[42:43], v[42:43], 1.0
	v_lshlrev_b64 v[57:58], 4, v[30:31]
	v_lshlrev_b64 v[59:60], 4, v[28:29]
	global_load_dwordx4 v[28:31], v[79:80], off
	global_load_dwordx4 v[32:35], v[85:86], off
	v_add_u32_e32 v45, s29, v81
	v_lshlrev_b64 v[53:54], 4, v[45:46]
	v_mov_b32_e32 v63, s9
	v_mov_b32_e32 v71, s9
	v_add_co_u32_e32 v143, vcc, s8, v51
	v_add_co_u32_e64 v36, s[4:5], s8, v53
	v_addc_co_u32_e32 v144, vcc, v63, v52, vcc
	v_rcp_f64_e32 v[49:50], v[55:56]
	v_addc_co_u32_e64 v37, s[4:5], v71, v54, s[4:5]
	v_div_scale_f64 v[65:66], vcc, 1.0, v[42:43], 1.0
	global_load_dwordx4 v[51:54], v[36:37], off
	v_mov_b32_e32 v67, s9
	v_add_co_u32_e64 v145, s[4:5], s8, v57
	v_mov_b32_e32 v27, v46
	v_addc_co_u32_e64 v146, s[4:5], v67, v58, s[4:5]
	v_mov_b32_e32 v68, s9
	v_lshlrev_b64 v[26:27], 4, v[26:27]
	v_add_co_u32_e64 v147, s[4:5], s8, v59
	v_fma_f64 v[47:48], -v[55:56], v[49:50], 1.0
	v_mov_b32_e32 v25, v46
	v_addc_co_u32_e64 v148, s[4:5], v68, v60, s[4:5]
	v_mov_b32_e32 v69, s9
	v_lshlrev_b64 v[24:25], 4, v[24:25]
	v_add_co_u32_e64 v149, s[4:5], s8, v26
	v_fma_f64 v[61:62], v[49:50], v[47:48], v[49:50]
	global_load_dwordx4 v[47:50], v[139:140], off
	v_addc_co_u32_e64 v150, s[4:5], v69, v27, s[4:5]
	v_mov_b32_e32 v70, s9
	v_add_u32_e32 v45, s30, v81
	v_add_co_u32_e64 v151, s[4:5], s8, v24
	v_fma_f64 v[63:64], -v[55:56], v[61:62], 1.0
	v_addc_co_u32_e64 v152, s[4:5], v70, v25, s[4:5]
	v_lshlrev_b64 v[24:25], 4, v[45:46]
	v_mov_b32_e32 v72, s9
	v_add_co_u32_e64 v89, s[4:5], s8, v24
	v_addc_co_u32_e64 v90, s[4:5], v72, v25, s[4:5]
	v_fma_f64 v[63:64], v[61:62], v[63:64], v[61:62]
	global_load_dwordx4 v[59:62], v[141:142], off
	global_load_dwordx4 v[71:74], v[143:144], off
	v_add_u32_e32 v45, s31, v81
	v_mov_b32_e32 v82, s9
	v_mov_b32_e32 v83, s9
	;; [unrolled: 1-line block ×4, first 2 shown]
	v_mul_f64 v[57:58], v[65:66], v[63:64]
	v_mov_b32_e32 v88, s9
	v_fma_f64 v[26:27], -v[55:56], v[57:58], v[65:66]
	global_load_dwordx4 v[65:68], v[89:90], off
	global_load_dwordx4 v[75:78], v[145:146], off
	;; [unrolled: 1-line block ×5, first 2 shown]
	v_div_fmas_f64 v[24:25], v[26:27], v[63:64], v[57:58]
	v_lshlrev_b64 v[26:27], 4, v[45:46]
	v_add_u32_e32 v45, s33, v81
	v_add_co_u32_e32 v97, vcc, s8, v26
	v_addc_co_u32_e32 v98, vcc, v82, v27, vcc
	global_load_dwordx4 v[119:122], v[97:98], off
	v_lshlrev_b64 v[26:27], 4, v[45:46]
	v_fma_f64 v[57:58], v[40:41], 0, -v[38:39]
	v_add_co_u32_e32 v153, vcc, s8, v26
	v_addc_co_u32_e32 v154, vcc, v83, v27, vcc
	global_load_dwordx4 v[123:126], v[153:154], off
	v_fma_f64 v[26:27], v[38:39], 0, v[40:41]
	v_div_fixup_f64 v[42:43], v[24:25], v[42:43], 1.0
	v_add_u32_e32 v45, s34, v81
	v_lshlrev_b64 v[55:56], 4, v[45:46]
	v_add_u32_e32 v45, s35, v81
	v_add_co_u32_e32 v155, vcc, s8, v55
	v_addc_co_u32_e32 v156, vcc, v84, v56, vcc
	v_mul_f64 v[24:25], v[57:58], v[42:43]
	v_mul_f64 v[26:27], v[26:27], v[42:43]
	global_load_dwordx4 v[127:130], v[155:156], off
	v_lshlrev_b64 v[63:64], 4, v[45:46]
	v_add_u32_e32 v45, s36, v81
	v_lshlrev_b64 v[38:39], 4, v[45:46]
	v_add_co_u32_e32 v157, vcc, s8, v63
	s_waitcnt vmcnt(13)
	v_mul_f64 v[40:41], v[24:25], v[28:29]
	s_waitcnt vmcnt(12)
	v_mul_f64 v[42:43], v[24:25], v[32:33]
	v_mul_f64 v[55:56], v[24:25], -v[30:31]
	v_mul_f64 v[57:58], v[24:25], -v[34:35]
	v_addc_co_u32_e32 v158, vcc, v87, v64, vcc
	v_add_co_u32_e32 v159, vcc, s8, v38
	v_fma_f64 v[93:94], v[30:31], v[26:27], v[40:41]
	v_fma_f64 v[95:96], v[34:35], v[26:27], v[42:43]
	s_waitcnt vmcnt(10)
	v_mul_f64 v[30:31], v[24:25], v[47:48]
	v_mul_f64 v[34:35], v[24:25], v[51:52]
	v_addc_co_u32_e32 v160, vcc, v88, v39, vcc
	global_load_dwordx4 v[131:134], v[157:158], off
	v_fma_f64 v[101:102], v[28:29], v[26:27], v[55:56]
	v_fma_f64 v[99:100], v[32:33], v[26:27], v[57:58]
	v_mul_f64 v[28:29], v[93:94], -v[14:15]
	v_mul_f64 v[32:33], v[12:13], v[93:94]
	v_mul_f64 v[38:39], v[95:96], -v[10:11]
	v_mul_f64 v[40:41], v[8:9], v[95:96]
	v_mul_f64 v[42:43], v[24:25], -v[49:50]
	v_fma_f64 v[55:56], v[49:50], v[26:27], v[30:31]
	v_mul_f64 v[30:31], v[24:25], -v[53:54]
	v_fma_f64 v[57:58], v[53:54], v[26:27], v[34:35]
	v_fma_f64 v[28:29], v[12:13], v[101:102], v[28:29]
	v_fma_f64 v[32:33], v[14:15], v[101:102], v[32:33]
	v_fma_f64 v[34:35], v[8:9], v[99:100], v[38:39]
	v_fma_f64 v[38:39], v[10:11], v[99:100], v[40:41]
	v_fma_f64 v[63:64], v[47:48], v[26:27], v[42:43]
	v_mul_f64 v[40:41], v[55:56], -v[14:15]
	v_mul_f64 v[42:43], v[12:13], v[55:56]
	v_fma_f64 v[69:70], v[51:52], v[26:27], v[30:31]
	v_mul_f64 v[47:48], v[57:58], -v[10:11]
	v_mul_f64 v[49:50], v[8:9], v[57:58]
	v_add_f64 v[28:29], v[28:29], -v[34:35]
	v_add_f64 v[30:31], v[32:33], -v[38:39]
	s_waitcnt vmcnt(10)
	v_mul_f64 v[32:33], v[24:25], v[59:60]
	v_fma_f64 v[34:35], v[12:13], v[63:64], v[40:41]
	v_fma_f64 v[38:39], v[14:15], v[63:64], v[42:43]
	global_load_dwordx4 v[135:138], v[159:160], off
	s_waitcnt vmcnt(9)
	v_mul_f64 v[40:41], v[24:25], v[65:66]
	v_fma_f64 v[42:43], v[8:9], v[69:70], v[47:48]
	v_fma_f64 v[47:48], v[10:11], v[69:70], v[49:50]
	v_mul_f64 v[49:50], v[24:25], -v[61:62]
	v_fma_f64 v[83:84], v[61:62], v[26:27], v[32:33]
	v_mul_f64 v[32:33], v[24:25], -v[67:68]
	global_store_dwordx4 v[79:80], v[28:31], off
	v_mul_f64 v[53:54], v[24:25], -v[73:74]
	v_fma_f64 v[87:88], v[67:68], v[26:27], v[40:41]
	v_add_f64 v[28:29], v[34:35], -v[42:43]
	v_mul_f64 v[34:35], v[24:25], v[71:72]
	v_add_f64 v[30:31], v[38:39], -v[47:48]
	v_fma_f64 v[81:82], v[59:60], v[26:27], v[49:50]
	v_mul_f64 v[38:39], v[83:84], -v[14:15]
	v_fma_f64 v[91:92], v[65:66], v[26:27], v[32:33]
	s_waitcnt vmcnt(5)
	v_mul_f64 v[32:33], v[24:25], v[119:120]
	v_mul_f64 v[42:43], v[87:88], -v[10:11]
	v_mul_f64 v[49:50], v[12:13], v[83:84]
	v_mul_f64 v[51:52], v[8:9], v[87:88]
	v_fma_f64 v[40:41], v[73:74], v[26:27], v[34:35]
	v_mul_f64 v[59:60], v[24:25], -v[121:122]
	v_fma_f64 v[34:35], v[12:13], v[81:82], v[38:39]
	v_fma_f64 v[38:39], v[71:72], v[26:27], v[53:54]
	;; [unrolled: 1-line block ×6, first 2 shown]
	v_mul_f64 v[53:54], v[40:41], -v[14:15]
	v_mul_f64 v[61:62], v[12:13], v[40:41]
	v_fma_f64 v[42:43], v[119:120], v[26:27], v[59:60]
	v_mul_f64 v[65:66], v[24:25], v[75:76]
	v_mul_f64 v[59:60], v[47:48], -v[10:11]
	v_add_f64 v[32:33], v[34:35], -v[32:33]
	v_mul_f64 v[67:68], v[8:9], v[47:48]
	v_add_f64 v[34:35], v[49:50], -v[51:52]
	v_fma_f64 v[49:50], v[12:13], v[38:39], v[53:54]
	s_waitcnt vmcnt(4)
	v_mul_f64 v[53:54], v[24:25], v[123:124]
	v_fma_f64 v[51:52], v[14:15], v[38:39], v[61:62]
	v_mul_f64 v[61:62], v[24:25], -v[77:78]
	v_fma_f64 v[59:60], v[8:9], v[42:43], v[59:60]
	v_fma_f64 v[73:74], v[77:78], v[26:27], v[65:66]
	;; [unrolled: 1-line block ×3, first 2 shown]
	v_mul_f64 v[67:68], v[24:25], -v[125:126]
	global_store_dwordx4 v[139:140], v[28:31], off
	global_store_dwordx4 v[141:142], v[32:35], off
	v_fma_f64 v[77:78], v[125:126], v[26:27], v[53:54]
	v_mul_f64 v[34:35], v[24:25], v[107:108]
	v_fma_f64 v[71:72], v[75:76], v[26:27], v[61:62]
	v_add_f64 v[28:29], v[49:50], -v[59:60]
	v_mul_f64 v[32:33], v[73:74], -v[14:15]
	v_add_f64 v[30:31], v[51:52], -v[65:66]
	v_fma_f64 v[75:76], v[123:124], v[26:27], v[67:68]
	s_waitcnt vmcnt(5)
	v_mul_f64 v[49:50], v[24:25], v[127:128]
	v_mul_f64 v[51:52], v[77:78], -v[10:11]
	v_mul_f64 v[53:54], v[12:13], v[73:74]
	v_mul_f64 v[65:66], v[8:9], v[77:78]
	v_mul_f64 v[67:68], v[24:25], -v[109:110]
	v_fma_f64 v[32:33], v[12:13], v[71:72], v[32:33]
	v_mul_f64 v[79:80], v[24:25], -v[129:130]
	v_fma_f64 v[61:62], v[109:110], v[26:27], v[34:35]
	v_fma_f64 v[59:60], v[129:130], v[26:27], v[49:50]
	;; [unrolled: 1-line block ×5, first 2 shown]
	global_store_dwordx4 v[143:144], v[28:31], off
	v_fma_f64 v[67:68], v[107:108], v[26:27], v[67:68]
	v_fma_f64 v[65:66], v[127:128], v[26:27], v[79:80]
	v_mul_f64 v[53:54], v[61:62], -v[14:15]
	v_mul_f64 v[79:80], v[59:60], -v[10:11]
	v_add_f64 v[28:29], v[32:33], -v[34:35]
	v_mul_f64 v[32:33], v[12:13], v[61:62]
	v_add_f64 v[30:31], v[49:50], -v[51:52]
	v_mul_f64 v[34:35], v[24:25], v[111:112]
	s_waitcnt vmcnt(5)
	v_mul_f64 v[49:50], v[24:25], v[131:132]
	v_mul_f64 v[107:108], v[8:9], v[59:60]
	v_fma_f64 v[53:54], v[12:13], v[67:68], v[53:54]
	v_fma_f64 v[79:80], v[8:9], v[65:66], v[79:80]
	v_mul_f64 v[109:110], v[24:25], -v[113:114]
	v_fma_f64 v[32:33], v[14:15], v[67:68], v[32:33]
	v_mul_f64 v[119:120], v[24:25], -v[133:134]
	v_fma_f64 v[51:52], v[113:114], v[26:27], v[34:35]
	v_fma_f64 v[49:50], v[133:134], v[26:27], v[49:50]
	;; [unrolled: 1-line block ×3, first 2 shown]
	global_store_dwordx4 v[145:146], v[28:31], off
	v_add_f64 v[107:108], v[53:54], -v[79:80]
	v_fma_f64 v[53:54], v[111:112], v[26:27], v[109:110]
	v_mul_f64 v[28:29], v[24:25], v[115:116]
	v_fma_f64 v[79:80], v[131:132], v[26:27], v[119:120]
	v_mul_f64 v[30:31], v[51:52], -v[14:15]
	v_mul_f64 v[111:112], v[49:50], -v[10:11]
	v_add_f64 v[109:110], v[32:33], -v[34:35]
	s_waitcnt vmcnt(5)
	v_mul_f64 v[32:33], v[24:25], v[135:136]
	v_mul_f64 v[34:35], v[12:13], v[51:52]
	v_mul_f64 v[113:114], v[24:25], -v[117:118]
	v_fma_f64 v[28:29], v[117:118], v[26:27], v[28:29]
	v_mul_f64 v[117:118], v[8:9], v[49:50]
	v_fma_f64 v[119:120], v[12:13], v[53:54], v[30:31]
	v_fma_f64 v[111:112], v[8:9], v[79:80], v[111:112]
	v_mul_f64 v[121:122], v[24:25], -v[137:138]
	v_fma_f64 v[32:33], v[137:138], v[26:27], v[32:33]
	global_store_dwordx4 v[147:148], v[107:110], off
	v_fma_f64 v[30:31], v[115:116], v[26:27], v[113:114]
	v_mul_f64 v[109:110], v[28:29], -v[14:15]
	v_fma_f64 v[113:114], v[14:15], v[53:54], v[34:35]
	v_fma_f64 v[115:116], v[10:11], v[79:80], v[117:118]
	v_add_f64 v[107:108], v[119:120], -v[111:112]
	v_fma_f64 v[34:35], v[135:136], v[26:27], v[121:122]
	v_mul_f64 v[111:112], v[32:33], -v[10:11]
	v_mul_f64 v[117:118], v[12:13], v[28:29]
	v_mul_f64 v[119:120], v[8:9], v[32:33]
	v_fma_f64 v[12:13], v[12:13], v[30:31], v[109:110]
	v_mul_f64 v[121:122], v[6:7], v[93:94]
	v_mul_f64 v[123:124], v[93:94], -v[4:5]
	v_mul_f64 v[125:126], v[95:96], -v[2:3]
	v_mul_f64 v[127:128], v[0:1], v[95:96]
	v_fma_f64 v[8:9], v[8:9], v[34:35], v[111:112]
	v_fma_f64 v[14:15], v[14:15], v[30:31], v[117:118]
	v_fma_f64 v[10:11], v[10:11], v[34:35], v[119:120]
	v_add_f64 v[109:110], v[113:114], -v[115:116]
	v_fma_f64 v[111:112], -v[4:5], v[101:102], v[121:122]
	v_fma_f64 v[113:114], -v[6:7], v[101:102], v[123:124]
	v_fma_f64 v[115:116], v[0:1], v[99:100], v[125:126]
	v_fma_f64 v[117:118], v[2:3], v[99:100], v[127:128]
	v_add_f64 v[8:9], v[12:13], -v[8:9]
	v_mul_f64 v[119:120], v[6:7], v[55:56]
	v_mul_f64 v[121:122], v[55:56], -v[4:5]
	v_add_f64 v[10:11], v[14:15], -v[10:11]
	v_mul_f64 v[123:124], v[57:58], -v[2:3]
	v_mul_f64 v[125:126], v[0:1], v[57:58]
	global_store_dwordx4 v[149:150], v[107:110], off
	v_add_f64 v[12:13], v[111:112], v[115:116]
	v_add_f64 v[14:15], v[113:114], v[117:118]
	v_fma_f64 v[107:108], -v[4:5], v[63:64], v[119:120]
	v_fma_f64 v[109:110], -v[6:7], v[63:64], v[121:122]
	global_store_dwordx4 v[151:152], v[8:11], off
	v_mul_f64 v[115:116], v[87:88], -v[2:3]
	v_mul_f64 v[8:9], v[6:7], v[83:84]
	v_mul_f64 v[10:11], v[83:84], -v[4:5]
	v_mul_f64 v[117:118], v[0:1], v[87:88]
	v_mul_f64 v[119:120], v[6:7], v[40:41]
	v_mul_f64 v[121:122], v[47:48], -v[2:3]
	v_fma_f64 v[111:112], v[0:1], v[69:70], v[123:124]
	v_fma_f64 v[113:114], v[2:3], v[69:70], v[125:126]
	v_mul_f64 v[123:124], v[40:41], -v[4:5]
	v_mul_f64 v[125:126], v[0:1], v[47:48]
	v_fma_f64 v[127:128], -v[4:5], v[81:82], v[8:9]
	v_fma_f64 v[129:130], -v[6:7], v[81:82], v[10:11]
	v_fma_f64 v[115:116], v[0:1], v[91:92], v[115:116]
	v_fma_f64 v[117:118], v[2:3], v[91:92], v[117:118]
	v_fma_f64 v[119:120], -v[4:5], v[38:39], v[119:120]
	v_fma_f64 v[121:122], v[0:1], v[42:43], v[121:122]
	v_add_f64 v[8:9], v[107:108], v[111:112]
	v_add_f64 v[10:11], v[109:110], v[113:114]
	v_mul_f64 v[111:112], v[6:7], v[73:74]
	v_mul_f64 v[113:114], v[77:78], -v[2:3]
	global_store_dwordx4 v[85:86], v[12:15], off
	v_fma_f64 v[85:86], -v[6:7], v[38:39], v[123:124]
	v_fma_f64 v[109:110], v[2:3], v[42:43], v[125:126]
	v_add_f64 v[12:13], v[127:128], v[115:116]
	v_add_f64 v[14:15], v[129:130], v[117:118]
	;; [unrolled: 1-line block ×3, first 2 shown]
	v_mul_f64 v[115:116], v[73:74], -v[4:5]
	v_mul_f64 v[117:118], v[0:1], v[77:78]
	v_mul_f64 v[119:120], v[6:7], v[61:62]
	v_mul_f64 v[121:122], v[61:62], -v[4:5]
	v_mul_f64 v[123:124], v[59:60], -v[2:3]
	v_mul_f64 v[125:126], v[0:1], v[59:60]
	v_fma_f64 v[111:112], -v[4:5], v[71:72], v[111:112]
	v_fma_f64 v[113:114], v[0:1], v[75:76], v[113:114]
	v_add_f64 v[109:110], v[85:86], v[109:110]
	v_fma_f64 v[85:86], -v[6:7], v[71:72], v[115:116]
	v_fma_f64 v[115:116], v[2:3], v[75:76], v[117:118]
	v_fma_f64 v[117:118], -v[4:5], v[67:68], v[119:120]
	v_fma_f64 v[119:120], -v[6:7], v[67:68], v[121:122]
	v_fma_f64 v[121:122], v[0:1], v[65:66], v[123:124]
	v_fma_f64 v[123:124], v[2:3], v[65:66], v[125:126]
	v_mul_f64 v[125:126], v[51:52], -v[4:5]
	v_mul_f64 v[129:130], v[0:1], v[49:50]
	v_mul_f64 v[131:132], v[6:7], v[28:29]
	v_mul_f64 v[133:134], v[28:29], -v[4:5]
	v_mul_f64 v[135:136], v[32:33], -v[2:3]
	v_mul_f64 v[137:138], v[0:1], v[32:33]
	v_add_f64 v[111:112], v[111:112], v[113:114]
	v_mul_f64 v[113:114], v[6:7], v[51:52]
	v_mul_f64 v[127:128], v[49:50], -v[2:3]
	v_fma_f64 v[125:126], -v[6:7], v[53:54], v[125:126]
	v_fma_f64 v[129:130], v[2:3], v[79:80], v[129:130]
	v_fma_f64 v[131:132], -v[4:5], v[30:31], v[131:132]
	v_fma_f64 v[133:134], -v[6:7], v[30:31], v[133:134]
	v_fma_f64 v[135:136], v[0:1], v[34:35], v[135:136]
	v_fma_f64 v[137:138], v[2:3], v[34:35], v[137:138]
	v_fma_f64 v[139:140], -v[4:5], v[53:54], v[113:114]
	v_fma_f64 v[127:128], v[0:1], v[79:80], v[127:128]
	v_add_f64 v[113:114], v[85:86], v[115:116]
	v_add_f64 v[115:116], v[117:118], v[121:122]
	;; [unrolled: 1-line block ×6, first 2 shown]
	global_store_dwordx4 v[36:37], v[8:11], off
	v_add_f64 v[119:120], v[139:140], v[127:128]
	v_mov_b32_e32 v8, 0
	v_mov_b32_e32 v10, 0
	;; [unrolled: 1-line block ×4, first 2 shown]
	global_store_dwordx4 v[89:90], v[12:15], off
	global_store_dwordx4 v[97:98], v[107:110], off
	;; [unrolled: 1-line block ×6, first 2 shown]
	s_and_saveexec_b64 s[4:5], s[2:3]
	s_cbranch_execz .LBB338_16
; %bb.15:                               ;   in Loop: Header=BB338_5 Depth=1
	v_add_u32_e32 v12, v104, v105
	v_add_u32_e32 v45, s28, v12
	v_lshlrev_b64 v[8:9], 4, v[45:46]
	v_mov_b32_e32 v10, s9
	v_add_co_u32_e32 v13, vcc, s8, v8
	v_addc_co_u32_e32 v14, vcc, v10, v9, vcc
	global_load_dwordx4 v[8:11], v[13:14], off
	v_mul_f64 v[36:37], v[22:23], -v[4:5]
	v_mul_f64 v[85:86], v[6:7], v[22:23]
	v_mul_f64 v[89:90], v[0:1], v[22:23]
	v_mul_f64 v[97:98], v[22:23], -v[2:3]
	v_add_u32_e32 v45, s29, v12
	v_mov_b32_e32 v15, s9
	v_fma_f64 v[36:37], -v[6:7], v[20:21], v[36:37]
	v_fma_f64 v[85:86], -v[4:5], v[20:21], v[85:86]
	v_fma_f64 v[89:90], v[2:3], v[20:21], v[89:90]
	v_fma_f64 v[97:98], v[0:1], v[20:21], v[97:98]
	v_mul_f64 v[4:5], v[36:37], v[93:94]
	v_mul_f64 v[6:7], v[93:94], -v[85:86]
	v_mul_f64 v[93:94], v[95:96], -v[89:90]
	v_mul_f64 v[95:96], v[97:98], v[95:96]
	v_fma_f64 v[4:5], -v[85:86], v[101:102], v[4:5]
	v_fma_f64 v[6:7], -v[36:37], v[101:102], v[6:7]
	v_fma_f64 v[93:94], v[97:98], v[99:100], v[93:94]
	v_fma_f64 v[95:96], v[89:90], v[99:100], v[95:96]
	v_mul_f64 v[101:102], v[36:37], v[83:84]
	v_add_f64 v[93:94], v[4:5], -v[93:94]
	v_add_f64 v[95:96], v[6:7], -v[95:96]
	v_lshlrev_b64 v[4:5], 4, v[45:46]
	v_add_u32_e32 v45, s30, v12
	v_add_co_u32_e32 v99, vcc, s8, v4
	v_addc_co_u32_e32 v100, vcc, v15, v5, vcc
	global_load_dwordx4 v[4:7], v[99:100], off
	s_waitcnt vmcnt(1)
	v_add_f64 v[8:9], v[93:94], v[8:9]
	v_add_f64 v[10:11], v[95:96], v[10:11]
	v_lshlrev_b64 v[93:94], 4, v[45:46]
	v_mul_f64 v[95:96], v[57:58], -v[89:90]
	v_add_co_u32_e32 v93, vcc, s8, v93
	v_addc_co_u32_e32 v94, vcc, v15, v94, vcc
	v_mul_f64 v[57:58], v[97:98], v[57:58]
	global_store_dwordx4 v[13:14], v[8:11], off
	global_load_dwordx4 v[8:11], v[93:94], off
	v_mul_f64 v[13:14], v[36:37], v[55:56]
	v_mul_f64 v[55:56], v[55:56], -v[85:86]
	v_add_u32_e32 v45, s31, v12
	v_fma_f64 v[57:58], v[89:90], v[69:70], v[57:58]
	v_fma_f64 v[13:14], -v[85:86], v[63:64], v[13:14]
	v_fma_f64 v[55:56], -v[36:37], v[63:64], v[55:56]
	v_fma_f64 v[63:64], v[97:98], v[69:70], v[95:96]
	v_mul_f64 v[69:70], v[83:84], -v[85:86]
	v_mul_f64 v[83:84], v[87:88], -v[89:90]
	v_mul_f64 v[87:88], v[97:98], v[87:88]
	v_fma_f64 v[95:96], -v[85:86], v[81:82], v[101:102]
	v_add_f64 v[55:56], v[55:56], -v[57:58]
	v_add_f64 v[13:14], v[13:14], -v[63:64]
	v_fma_f64 v[57:58], -v[36:37], v[81:82], v[69:70]
	v_fma_f64 v[63:64], v[97:98], v[91:92], v[83:84]
	v_fma_f64 v[69:70], v[89:90], v[91:92], v[87:88]
	v_mul_f64 v[81:82], v[77:78], -v[89:90]
	v_mul_f64 v[77:78], v[97:98], v[77:78]
	v_add_f64 v[57:58], v[57:58], -v[69:70]
	v_mul_f64 v[69:70], v[36:37], v[73:74]
	v_mul_f64 v[73:74], v[73:74], -v[85:86]
	s_waitcnt vmcnt(2)
	v_add_f64 v[6:7], v[55:56], v[6:7]
	v_add_f64 v[55:56], v[95:96], -v[63:64]
	v_add_f64 v[4:5], v[13:14], v[4:5]
	v_lshlrev_b64 v[13:14], 4, v[45:46]
	v_add_u32_e32 v45, s33, v12
	v_add_co_u32_e32 v13, vcc, s8, v13
	v_addc_co_u32_e32 v14, vcc, v15, v14, vcc
	v_mul_f64 v[63:64], v[47:48], -v[89:90]
	global_store_dwordx4 v[99:100], v[4:7], off
	global_load_dwordx4 v[4:7], v[13:14], off
	v_mul_f64 v[47:48], v[97:98], v[47:48]
	s_waitcnt vmcnt(2)
	v_add_f64 v[8:9], v[55:56], v[8:9]
	v_add_f64 v[10:11], v[57:58], v[10:11]
	v_lshlrev_b64 v[55:56], 4, v[45:46]
	v_mul_f64 v[57:58], v[36:37], v[40:41]
	v_add_co_u32_e32 v55, vcc, s8, v55
	v_addc_co_u32_e32 v56, vcc, v15, v56, vcc
	v_mul_f64 v[40:41], v[40:41], -v[85:86]
	global_store_dwordx4 v[93:94], v[8:11], off
	global_load_dwordx4 v[8:11], v[55:56], off
	v_fma_f64 v[57:58], -v[85:86], v[38:39], v[57:58]
	v_add_u32_e32 v45, s34, v12
	v_fma_f64 v[38:39], -v[36:37], v[38:39], v[40:41]
	v_fma_f64 v[40:41], v[97:98], v[42:43], v[63:64]
	v_fma_f64 v[42:43], v[89:90], v[42:43], v[47:48]
	v_fma_f64 v[47:48], -v[85:86], v[71:72], v[69:70]
	v_fma_f64 v[63:64], -v[36:37], v[71:72], v[73:74]
	v_fma_f64 v[69:70], v[97:98], v[75:76], v[81:82]
	v_fma_f64 v[71:72], v[89:90], v[75:76], v[77:78]
	v_add_f64 v[40:41], v[57:58], -v[40:41]
	v_add_f64 v[38:39], v[38:39], -v[42:43]
	;; [unrolled: 1-line block ×4, first 2 shown]
	s_waitcnt vmcnt(2)
	v_add_f64 v[4:5], v[40:41], v[4:5]
	v_add_f64 v[6:7], v[38:39], v[6:7]
	v_lshlrev_b64 v[38:39], 4, v[45:46]
	v_mul_f64 v[40:41], v[97:98], v[59:60]
	v_add_co_u32_e32 v38, vcc, s8, v38
	v_addc_co_u32_e32 v39, vcc, v15, v39, vcc
	v_add_u32_e32 v45, s35, v12
	v_fma_f64 v[40:41], v[89:90], v[65:66], v[40:41]
	s_waitcnt vmcnt(0)
	v_add_f64 v[8:9], v[42:43], v[8:9]
	v_add_f64 v[10:11], v[47:48], v[10:11]
	global_store_dwordx4 v[13:14], v[4:7], off
	global_store_dwordx4 v[55:56], v[8:11], off
	global_load_dwordx4 v[4:7], v[38:39], off
	v_mul_f64 v[8:9], v[36:37], v[61:62]
	v_mul_f64 v[10:11], v[61:62], -v[85:86]
	v_mul_f64 v[13:14], v[59:60], -v[89:90]
	v_fma_f64 v[8:9], -v[85:86], v[67:68], v[8:9]
	v_fma_f64 v[10:11], -v[36:37], v[67:68], v[10:11]
	v_fma_f64 v[13:14], v[97:98], v[65:66], v[13:14]
	v_add_f64 v[10:11], v[10:11], -v[40:41]
	v_add_f64 v[8:9], v[8:9], -v[13:14]
	v_mul_f64 v[13:14], v[51:52], -v[85:86]
	v_mul_f64 v[40:41], v[97:98], v[49:50]
	v_fma_f64 v[13:14], -v[36:37], v[53:54], v[13:14]
	v_fma_f64 v[40:41], v[89:90], v[79:80], v[40:41]
	v_add_f64 v[14:15], v[13:14], -v[40:41]
	v_ashrrev_i32_e32 v13, 31, v12
	s_waitcnt vmcnt(0)
	v_add_f64 v[4:5], v[8:9], v[4:5]
	v_add_f64 v[6:7], v[10:11], v[6:7]
	v_lshlrev_b64 v[8:9], 4, v[45:46]
	v_mov_b32_e32 v10, s9
	v_add_co_u32_e32 v8, vcc, s8, v8
	v_addc_co_u32_e32 v9, vcc, v10, v9, vcc
	v_mul_f64 v[10:11], v[36:37], v[51:52]
	global_store_dwordx4 v[38:39], v[4:7], off
	global_load_dwordx4 v[4:7], v[8:9], off
	v_mul_f64 v[38:39], v[49:50], -v[89:90]
	v_add_u32_e32 v45, s36, v12
	v_fma_f64 v[10:11], -v[85:86], v[53:54], v[10:11]
	v_fma_f64 v[38:39], v[97:98], v[79:80], v[38:39]
	v_add_f64 v[10:11], v[10:11], -v[38:39]
	v_mov_b32_e32 v38, s9
	v_mov_b32_e32 v39, s15
	s_waitcnt vmcnt(0)
	v_add_f64 v[4:5], v[10:11], v[4:5]
	v_add_f64 v[6:7], v[14:15], v[6:7]
	v_lshlrev_b64 v[10:11], 4, v[12:13]
	v_lshlrev_b64 v[12:13], 4, v[45:46]
	v_add_co_u32_e32 v14, vcc, s8, v12
	v_addc_co_u32_e32 v15, vcc, v38, v13, vcc
	global_store_dwordx4 v[8:9], v[4:7], off
	v_add_co_u32_e32 v8, vcc, s14, v10
	v_addc_co_u32_e32 v9, vcc, v39, v11, vcc
	global_load_dwordx4 v[4:7], v[14:15], off
	global_load_dwordx4 v[10:13], v[8:9], off
	v_mul_f64 v[8:9], v[2:3], -v[22:23]
	v_mul_f64 v[2:3], v[2:3], v[20:21]
	v_fma_f64 v[8:9], v[20:21], v[0:1], v[8:9]
	v_fma_f64 v[0:1], v[22:23], v[0:1], v[2:3]
	v_mul_f64 v[20:21], v[36:37], v[28:29]
	v_mul_f64 v[22:23], v[28:29], -v[85:86]
	v_mul_f64 v[28:29], v[32:33], -v[89:90]
	v_mul_f64 v[32:33], v[97:98], v[32:33]
	v_mul_f64 v[2:3], v[18:19], v[8:9]
	v_mul_f64 v[18:19], v[18:19], -v[0:1]
	v_fma_f64 v[0:1], v[0:1], v[16:17], v[2:3]
	v_fma_f64 v[2:3], v[8:9], v[16:17], v[18:19]
	v_fma_f64 v[8:9], -v[85:86], v[30:31], v[20:21]
	v_fma_f64 v[16:17], -v[36:37], v[30:31], v[22:23]
	v_fma_f64 v[18:19], v[97:98], v[34:35], v[28:29]
	v_fma_f64 v[20:21], v[89:90], v[34:35], v[32:33]
	v_mul_f64 v[22:23], v[24:25], -v[0:1]
	v_mul_f64 v[24:25], v[24:25], v[2:3]
	v_add_f64 v[8:9], v[8:9], -v[18:19]
	v_add_f64 v[16:17], v[16:17], -v[20:21]
	v_fma_f64 v[18:19], v[2:3], v[26:27], v[22:23]
	v_fma_f64 v[20:21], v[0:1], v[26:27], v[24:25]
	s_waitcnt vmcnt(1)
	v_add_f64 v[0:1], v[8:9], v[4:5]
	v_add_f64 v[2:3], v[16:17], v[6:7]
	s_waitcnt vmcnt(0)
	v_add_f64 v[10:11], v[10:11], -v[18:19]
	v_add_f64 v[8:9], v[12:13], -v[20:21]
	global_store_dwordx4 v[14:15], v[0:3], off
.LBB338_16:                             ;   in Loop: Header=BB338_5 Depth=1
	s_or_b64 exec, exec, s[4:5]
	v_mov_b32_e32 v2, v8
	v_mov_b32_e32 v0, v10
	;; [unrolled: 1-line block ×4, first 2 shown]
                                        ; implicit-def: $vgpr4_vgpr5
                                        ; implicit-def: $vgpr12_vgpr13
                                        ; implicit-def: $vgpr8_vgpr9
                                        ; implicit-def: $vgpr47_vgpr48
                                        ; implicit-def: $vgpr49_vgpr50
                                        ; implicit-def: $vgpr36
                                        ; implicit-def: $vgpr34
                                        ; implicit-def: $vgpr32
                                        ; implicit-def: $vgpr30
                                        ; implicit-def: $vgpr28
                                        ; implicit-def: $vgpr26
                                        ; implicit-def: $vgpr24
.LBB338_17:                             ;   in Loop: Header=BB338_5 Depth=1
	s_or_saveexec_b64 s[2:3], s[20:21]
	v_mov_b32_e32 v10, s27
	s_xor_b64 exec, exec, s[2:3]
	s_cbranch_execz .LBB338_4
; %bb.18:                               ;   in Loop: Header=BB338_5 Depth=1
	v_mul_f64 v[10:11], v[2:3], v[2:3]
	v_lshlrev_b64 v[16:17], 4, v[45:46]
	v_mov_b32_e32 v35, v46
	v_mov_b32_e32 v37, v46
	v_lshlrev_b64 v[20:21], 4, v[34:35]
	v_mov_b32_e32 v25, s9
	v_lshlrev_b64 v[18:19], 4, v[36:37]
	v_add_co_u32_e32 v73, vcc, s8, v16
	v_fma_f64 v[10:11], v[0:1], v[0:1], v[10:11]
	v_addc_co_u32_e32 v74, vcc, v25, v17, vcc
	v_mov_b32_e32 v40, s9
	v_add_co_u32_e32 v75, vcc, s8, v18
	v_mov_b32_e32 v33, v46
	v_addc_co_u32_e32 v76, vcc, v40, v19, vcc
	v_div_scale_f64 v[38:39], s[4:5], v[10:11], v[10:11], 1.0
	v_mov_b32_e32 v41, s9
	v_lshlrev_b64 v[22:23], 4, v[32:33]
	v_add_co_u32_e32 v77, vcc, s8, v20
	v_mov_b32_e32 v31, v46
	v_addc_co_u32_e32 v78, vcc, v41, v21, vcc
	v_mov_b32_e32 v42, s9
	v_lshlrev_b64 v[30:31], 4, v[30:31]
	v_add_co_u32_e32 v79, vcc, s8, v22
	v_mov_b32_e32 v29, v46
	v_addc_co_u32_e32 v80, vcc, v42, v23, vcc
	v_rcp_f64_e32 v[34:35], v[38:39]
	v_mov_b32_e32 v43, s9
	v_lshlrev_b64 v[28:29], 4, v[28:29]
	v_add_co_u32_e32 v81, vcc, s8, v30
	v_mov_b32_e32 v27, v46
	v_addc_co_u32_e32 v82, vcc, v43, v31, vcc
	v_mov_b32_e32 v45, s9
	v_lshlrev_b64 v[32:33], 4, v[26:27]
	v_add_co_u32_e32 v83, vcc, s8, v28
	v_addc_co_u32_e32 v84, vcc, v45, v29, vcc
	v_mov_b32_e32 v25, v46
	v_mov_b32_e32 v51, s9
	v_add_co_u32_e32 v85, vcc, s8, v32
	v_lshlrev_b64 v[24:25], 4, v[24:25]
	v_addc_co_u32_e32 v86, vcc, v51, v33, vcc
	v_mov_b32_e32 v32, s9
	v_add_co_u32_e32 v87, vcc, s8, v24
	v_fma_f64 v[30:31], -v[38:39], v[34:35], 1.0
	global_load_dwordx4 v[16:19], v[73:74], off
	global_load_dwordx4 v[20:23], v[75:76], off
	;; [unrolled: 1-line block ×6, first 2 shown]
	v_addc_co_u32_e32 v88, vcc, v32, v25, vcc
	global_load_dwordx4 v[65:68], v[85:86], off
	global_load_dwordx4 v[69:72], v[87:88], off
	v_div_scale_f64 v[24:25], vcc, 1.0, v[10:11], 1.0
	v_fma_f64 v[30:31], v[34:35], v[30:31], v[34:35]
	v_fma_f64 v[32:33], -v[38:39], v[30:31], 1.0
	v_fma_f64 v[30:31], v[30:31], v[32:33], v[30:31]
	v_mul_f64 v[32:33], v[24:25], v[30:31]
	v_fma_f64 v[24:25], -v[38:39], v[32:33], v[24:25]
	v_div_fmas_f64 v[24:25], v[24:25], v[30:31], v[32:33]
	v_fma_f64 v[30:31], v[0:1], 0, -v[2:3]
	v_fma_f64 v[0:1], v[2:3], 0, v[0:1]
	v_div_fixup_f64 v[10:11], v[24:25], v[10:11], 1.0
	v_mul_f64 v[51:52], v[30:31], v[10:11]
	v_mul_f64 v[10:11], v[0:1], v[10:11]
	s_waitcnt vmcnt(7)
	v_mul_f64 v[0:1], v[51:52], -v[18:19]
	v_mul_f64 v[2:3], v[51:52], v[16:17]
	s_waitcnt vmcnt(6)
	v_mul_f64 v[24:25], v[51:52], -v[22:23]
	;; [unrolled: 3-line block ×8, first 2 shown]
	v_mul_f64 v[111:112], v[51:52], v[69:70]
	v_fma_f64 v[40:41], v[16:17], v[10:11], v[0:1]
	v_fma_f64 v[42:43], v[18:19], v[10:11], v[2:3]
	;; [unrolled: 1-line block ×16, first 2 shown]
	global_store_dwordx4 v[73:74], v[40:43], off
	global_store_dwordx4 v[75:76], v[36:39], off
	;; [unrolled: 1-line block ×8, first 2 shown]
	s_and_saveexec_b64 s[4:5], s[0:1]
	s_cbranch_execz .LBB338_3
; %bb.19:                               ;   in Loop: Header=BB338_5 Depth=1
	v_add_u32_e32 v65, v103, v105
	v_add_u32_e32 v45, s28, v65
	v_lshlrev_b64 v[53:54], 4, v[45:46]
	v_mov_b32_e32 v45, s9
	v_add_co_u32_e32 v61, vcc, s8, v53
	v_addc_co_u32_e32 v62, vcc, v45, v54, vcc
	global_load_dwordx4 v[53:56], v[61:62], off
	v_add_u32_e32 v45, s29, v65
	v_lshlrev_b64 v[57:58], 4, v[45:46]
	v_add_u32_e32 v45, s30, v65
	v_mov_b32_e32 v59, s9
	v_add_co_u32_e32 v63, vcc, s8, v57
	v_addc_co_u32_e32 v64, vcc, v59, v58, vcc
	global_load_dwordx4 v[57:60], v[63:64], off
	s_waitcnt vmcnt(1)
	v_fma_f64 v[53:54], -v[4:5], v[40:41], v[53:54]
	v_fma_f64 v[55:56], -v[6:7], v[40:41], v[55:56]
	v_fma_f64 v[40:41], v[6:7], v[42:43], v[53:54]
	v_fma_f64 v[42:43], -v[4:5], v[42:43], v[55:56]
	v_lshlrev_b64 v[53:54], 4, v[45:46]
	v_mov_b32_e32 v55, s9
	v_add_co_u32_e32 v53, vcc, s8, v53
	v_addc_co_u32_e32 v54, vcc, v55, v54, vcc
	v_add_u32_e32 v45, s31, v65
	global_store_dwordx4 v[61:62], v[40:43], off
	global_load_dwordx4 v[40:43], v[53:54], off
	s_waitcnt vmcnt(2)
	v_fma_f64 v[55:56], -v[4:5], v[36:37], v[57:58]
	v_fma_f64 v[57:58], -v[6:7], v[36:37], v[59:60]
	v_fma_f64 v[36:37], v[6:7], v[38:39], v[55:56]
	v_fma_f64 v[38:39], -v[4:5], v[38:39], v[57:58]
	v_lshlrev_b64 v[55:56], 4, v[45:46]
	v_add_u32_e32 v45, s33, v65
	v_mov_b32_e32 v57, s9
	v_add_co_u32_e32 v55, vcc, s8, v55
	v_addc_co_u32_e32 v56, vcc, v57, v56, vcc
	global_store_dwordx4 v[63:64], v[36:39], off
	global_load_dwordx4 v[36:39], v[55:56], off
	s_waitcnt vmcnt(2)
	v_fma_f64 v[40:41], -v[4:5], v[32:33], v[40:41]
	v_fma_f64 v[42:43], -v[6:7], v[32:33], v[42:43]
	v_fma_f64 v[32:33], v[6:7], v[34:35], v[40:41]
	v_fma_f64 v[34:35], -v[4:5], v[34:35], v[42:43]
	v_lshlrev_b64 v[40:41], 4, v[45:46]
	v_mov_b32_e32 v42, s9
	v_add_co_u32_e32 v40, vcc, s8, v40
	v_addc_co_u32_e32 v41, vcc, v42, v41, vcc
	v_add_u32_e32 v45, s34, v65
	global_store_dwordx4 v[53:54], v[32:35], off
	global_load_dwordx4 v[32:35], v[40:41], off
	s_waitcnt vmcnt(2)
	v_fma_f64 v[36:37], -v[4:5], v[28:29], v[36:37]
	v_fma_f64 v[38:39], -v[6:7], v[28:29], v[38:39]
	v_fma_f64 v[28:29], v[6:7], v[30:31], v[36:37]
	v_fma_f64 v[30:31], -v[4:5], v[30:31], v[38:39]
	s_waitcnt vmcnt(0)
	v_fma_f64 v[32:33], -v[4:5], v[24:25], v[32:33]
	v_fma_f64 v[34:35], -v[6:7], v[24:25], v[34:35]
	v_fma_f64 v[24:25], v[6:7], v[26:27], v[32:33]
	v_fma_f64 v[26:27], -v[4:5], v[26:27], v[34:35]
	v_lshlrev_b64 v[32:33], 4, v[45:46]
	global_store_dwordx4 v[55:56], v[28:31], off
	global_store_dwordx4 v[40:41], v[24:27], off
	v_add_co_u32_e32 v32, vcc, s8, v32
	v_addc_co_u32_e32 v33, vcc, v42, v33, vcc
	global_load_dwordx4 v[24:27], v[32:33], off
	v_add_u32_e32 v45, s35, v65
	s_waitcnt vmcnt(0)
	v_fma_f64 v[24:25], -v[4:5], v[20:21], v[24:25]
	v_fma_f64 v[26:27], -v[6:7], v[20:21], v[26:27]
	v_fma_f64 v[20:21], v[6:7], v[22:23], v[24:25]
	v_fma_f64 v[22:23], -v[4:5], v[22:23], v[26:27]
	v_lshlrev_b64 v[24:25], 4, v[45:46]
	v_mov_b32_e32 v26, s9
	v_add_co_u32_e32 v24, vcc, s8, v24
	v_addc_co_u32_e32 v25, vcc, v26, v25, vcc
	v_add_u32_e32 v45, s36, v65
	global_store_dwordx4 v[32:33], v[20:23], off
	global_load_dwordx4 v[20:23], v[24:25], off
	s_waitcnt vmcnt(0)
	v_fma_f64 v[20:21], -v[4:5], v[16:17], v[20:21]
	v_fma_f64 v[22:23], -v[6:7], v[16:17], v[22:23]
	v_fma_f64 v[16:17], v[6:7], v[18:19], v[20:21]
	v_fma_f64 v[18:19], -v[4:5], v[18:19], v[22:23]
	v_lshlrev_b64 v[20:21], 4, v[45:46]
	v_mov_b32_e32 v22, s9
	v_add_co_u32_e32 v20, vcc, s8, v20
	v_addc_co_u32_e32 v21, vcc, v22, v21, vcc
	global_store_dwordx4 v[24:25], v[16:19], off
	global_load_dwordx4 v[16:19], v[20:21], off
	s_waitcnt vmcnt(0)
	v_fma_f64 v[16:17], -v[4:5], v[0:1], v[16:17]
	v_fma_f64 v[18:19], -v[6:7], v[0:1], v[18:19]
	v_fma_f64 v[0:1], v[6:7], v[2:3], v[16:17]
	v_fma_f64 v[2:3], -v[4:5], v[2:3], v[18:19]
	global_store_dwordx4 v[20:21], v[0:3], off
	s_branch .LBB338_3
.LBB338_20:
	s_or_b64 exec, exec, s[18:19]
	s_branch .LBB338_22
.LBB338_21:
	v_mov_b32_e32 v105, 0
.LBB338_22:
	v_subrev_u32_e32 v2, s22, v105
	v_add_u32_e32 v0, v2, v44
	v_ashrrev_i32_e32 v1, 31, v0
	v_lshlrev_b64 v[0:1], 2, v[0:1]
	s_waitcnt lgkmcnt(0)
	v_mov_b32_e32 v3, s17
	v_add_co_u32_e32 v0, vcc, s16, v0
	v_addc_co_u32_e32 v1, vcc, v3, v1, vcc
	s_waitcnt vmcnt(0)
	buffer_wbinvl1_vol
	global_load_dword v0, v[0:1], off
	s_waitcnt vmcnt(0)
	v_mul_lo_u32 v0, v0, s22
	v_sub_u32_e32 v8, v2, v0
	v_cmp_lt_i32_e32 vcc, -1, v8
	s_and_b64 exec, exec, vcc
	s_cbranch_execz .LBB338_29
; %bb.23:
	s_lshl_b32 s4, s24, 3
	s_add_i32 s5, s4, s23
	s_add_i32 s6, s5, s23
	;; [unrolled: 1-line block ×7, first 2 shown]
	s_lshl_b32 s18, s22, 1
	s_mov_b64 s[0:1], 0
	v_mov_b32_e32 v9, s17
	v_mov_b32_e32 v10, s11
	;; [unrolled: 1-line block ×3, first 2 shown]
	s_branch .LBB338_25
.LBB338_24:                             ;   in Loop: Header=BB338_25 Depth=1
	s_or_b64 exec, exec, s[2:3]
	v_sub_u32_e32 v8, v8, v4
	v_cmp_gt_i32_e32 vcc, 0, v8
	s_or_b64 s[0:1], vcc, s[0:1]
	s_andn2_b64 exec, exec, s[0:1]
	s_cbranch_execz .LBB338_29
.LBB338_25:                             ; =>This Inner Loop Header: Depth=1
	v_add_u32_e32 v6, v8, v44
	v_ashrrev_i32_e32 v7, 31, v6
	s_waitcnt vmcnt(0)
	v_lshlrev_b64 v[0:1], 2, v[6:7]
	v_add_co_u32_e32 v0, vcc, s16, v0
	v_addc_co_u32_e32 v1, vcc, v9, v1, vcc
	global_load_dword v4, v[0:1], off
	v_lshlrev_b64 v[0:1], 4, v[6:7]
	v_add_co_u32_e32 v0, vcc, s10, v0
	v_addc_co_u32_e32 v1, vcc, v10, v1, vcc
	global_load_dwordx4 v[0:3], v[0:1], off
	s_waitcnt vmcnt(1)
	v_cmp_ne_u32_e32 vcc, 1, v4
	s_and_saveexec_b64 s[2:3], vcc
	s_xor_b64 s[2:3], exec, s[2:3]
	s_cbranch_execz .LBB338_27
; %bb.26:                               ;   in Loop: Header=BB338_25 Depth=1
	v_add_u32_e32 v7, v103, v8
	v_add_u32_e32 v4, s4, v7
	v_lshlrev_b64 v[11:12], 4, v[4:5]
	v_mov_b32_e32 v4, s9
	v_add_co_u32_e32 v11, vcc, s8, v11
	v_addc_co_u32_e32 v12, vcc, v4, v12, vcc
	v_add_u32_e32 v4, s5, v7
	v_lshlrev_b64 v[19:20], 4, v[4:5]
	v_add_u32_e32 v4, s6, v7
	v_lshlrev_b64 v[23:24], 4, v[4:5]
	;; [unrolled: 2-line block ×8, first 2 shown]
	v_mov_b32_e32 v4, s9
	v_add_co_u32_e32 v49, vcc, s8, v15
	v_addc_co_u32_e32 v50, vcc, v4, v16, vcc
	global_load_dwordx4 v[11:14], v[11:12], off
	v_add_co_u32_e32 v19, vcc, s8, v19
	global_load_dwordx4 v[15:18], v[49:50], off
	v_addc_co_u32_e32 v20, vcc, v4, v20, vcc
	global_load_dwordx4 v[19:22], v[19:20], off
	v_mov_b32_e32 v7, s9
	v_add_co_u32_e32 v35, vcc, s8, v23
	v_addc_co_u32_e32 v36, vcc, v7, v24, vcc
	v_mov_b32_e32 v27, s9
	v_add_co_u32_e32 v37, vcc, s8, v25
	v_addc_co_u32_e32 v38, vcc, v27, v26, vcc
	;; [unrolled: 3-line block ×5, first 2 shown]
	v_add_u32_e32 v4, s5, v6
	v_mov_b32_e32 v54, s9
	v_add_co_u32_e32 v53, vcc, s8, v41
	v_lshlrev_b64 v[55:56], 4, v[4:5]
	v_addc_co_u32_e32 v54, vcc, v54, v42, vcc
	v_mov_b32_e32 v57, s9
	global_load_dwordx4 v[23:26], v[35:36], off
	global_load_dwordx4 v[27:30], v[37:38], off
	;; [unrolled: 1-line block ×3, first 2 shown]
	s_nop 0
	global_load_dwordx4 v[35:38], v[47:48], off
	global_load_dwordx4 v[39:42], v[51:52], off
	s_nop 0
	global_load_dwordx4 v[45:48], v[53:54], off
	v_add_co_u32_e32 v51, vcc, s8, v55
	v_addc_co_u32_e32 v52, vcc, v57, v56, vcc
	v_add_u32_e32 v4, s6, v6
	s_waitcnt vmcnt(7)
	v_fma_f64 v[15:16], -v[0:1], v[11:12], v[15:16]
	v_fma_f64 v[17:18], -v[2:3], v[11:12], v[17:18]
	v_fma_f64 v[15:16], v[2:3], v[13:14], v[15:16]
	v_fma_f64 v[17:18], -v[0:1], v[13:14], v[17:18]
	global_store_dwordx4 v[49:50], v[15:18], off
	global_load_dwordx4 v[15:18], v[51:52], off
	v_lshlrev_b64 v[49:50], 4, v[4:5]
	v_add_u32_e32 v4, s7, v6
	v_add_co_u32_e32 v49, vcc, s8, v49
	v_addc_co_u32_e32 v50, vcc, v7, v50, vcc
	s_waitcnt vmcnt(0)
	v_fma_f64 v[15:16], -v[0:1], v[19:20], v[15:16]
	v_fma_f64 v[17:18], -v[2:3], v[19:20], v[17:18]
	v_fma_f64 v[15:16], v[2:3], v[21:22], v[15:16]
	v_fma_f64 v[17:18], -v[0:1], v[21:22], v[17:18]
	global_store_dwordx4 v[51:52], v[15:18], off
	global_load_dwordx4 v[15:18], v[49:50], off
	v_lshlrev_b64 v[51:52], 4, v[4:5]
	v_add_u32_e32 v4, s12, v6
	v_add_co_u32_e32 v51, vcc, s8, v51
	v_addc_co_u32_e32 v52, vcc, v7, v52, vcc
	;; [unrolled: 11-line block ×5, first 2 shown]
	v_lshlrev_b64 v[6:7], 4, v[4:5]
	v_subrev_u32_e32 v4, s22, v8
	v_add_co_u32_e32 v6, vcc, s8, v6
	v_addc_co_u32_e32 v7, vcc, v43, v7, vcc
	v_mov_b32_e32 v43, s11
	s_waitcnt vmcnt(0)
	v_fma_f64 v[15:16], -v[0:1], v[35:36], v[15:16]
	v_fma_f64 v[17:18], -v[2:3], v[35:36], v[17:18]
	v_fma_f64 v[15:16], v[2:3], v[37:38], v[15:16]
	v_fma_f64 v[17:18], -v[0:1], v[37:38], v[17:18]
	global_store_dwordx4 v[51:52], v[15:18], off
	global_load_dwordx4 v[15:18], v[49:50], off
	v_mov_b32_e32 v52, s9
	s_waitcnt vmcnt(0)
	v_fma_f64 v[15:16], -v[0:1], v[39:40], v[15:16]
	v_fma_f64 v[17:18], -v[2:3], v[39:40], v[17:18]
	v_fma_f64 v[15:16], v[2:3], v[41:42], v[15:16]
	v_fma_f64 v[17:18], -v[0:1], v[41:42], v[17:18]
	global_store_dwordx4 v[49:50], v[15:18], off
	global_load_dwordx4 v[15:18], v[6:7], off
	v_add_u32_e32 v49, v4, v44
	v_ashrrev_i32_e32 v50, 31, v49
	v_lshlrev_b64 v[50:51], 4, v[49:50]
	v_add_u32_e32 v4, s4, v49
	v_add_co_u32_e32 v50, vcc, s10, v50
	v_addc_co_u32_e32 v51, vcc, v43, v51, vcc
	s_waitcnt vmcnt(0)
	v_fma_f64 v[15:16], -v[0:1], v[45:46], v[15:16]
	v_fma_f64 v[17:18], -v[2:3], v[45:46], v[17:18]
	v_fma_f64 v[15:16], v[2:3], v[47:48], v[15:16]
	v_fma_f64 v[17:18], -v[0:1], v[47:48], v[17:18]
	global_load_dwordx4 v[0:3], v[50:51], off
	v_lshlrev_b64 v[50:51], 4, v[4:5]
	v_add_u32_e32 v4, s5, v49
	v_add_co_u32_e32 v50, vcc, s8, v50
	v_addc_co_u32_e32 v51, vcc, v52, v51, vcc
	global_store_dwordx4 v[6:7], v[15:18], off
	global_load_dwordx4 v[15:18], v[50:51], off
	s_waitcnt vmcnt(0)
	v_fma_f64 v[6:7], -v[0:1], v[11:12], v[15:16]
	v_fma_f64 v[15:16], -v[2:3], v[11:12], v[17:18]
	v_mov_b32_e32 v17, s9
	v_fma_f64 v[11:12], v[2:3], v[13:14], v[6:7]
	v_fma_f64 v[13:14], -v[0:1], v[13:14], v[15:16]
	v_lshlrev_b64 v[6:7], 4, v[4:5]
	v_mov_b32_e32 v15, s9
	v_add_co_u32_e32 v6, vcc, s8, v6
	v_addc_co_u32_e32 v7, vcc, v15, v7, vcc
	v_add_u32_e32 v4, s6, v49
	global_store_dwordx4 v[50:51], v[11:14], off
	global_load_dwordx4 v[11:14], v[6:7], off
	v_lshlrev_b64 v[15:16], 4, v[4:5]
	v_add_u32_e32 v4, s7, v49
	v_add_co_u32_e32 v15, vcc, s8, v15
	v_addc_co_u32_e32 v16, vcc, v17, v16, vcc
	s_waitcnt vmcnt(0)
	v_fma_f64 v[11:12], -v[0:1], v[19:20], v[11:12]
	v_fma_f64 v[13:14], -v[2:3], v[19:20], v[13:14]
	v_fma_f64 v[11:12], v[2:3], v[21:22], v[11:12]
	v_fma_f64 v[13:14], -v[0:1], v[21:22], v[13:14]
	global_store_dwordx4 v[6:7], v[11:14], off
	global_load_dwordx4 v[11:14], v[15:16], off
	s_waitcnt vmcnt(0)
	v_fma_f64 v[6:7], -v[0:1], v[23:24], v[11:12]
	v_fma_f64 v[13:14], -v[2:3], v[23:24], v[13:14]
	v_fma_f64 v[11:12], v[2:3], v[25:26], v[6:7]
	v_fma_f64 v[13:14], -v[0:1], v[25:26], v[13:14]
	v_lshlrev_b64 v[6:7], 4, v[4:5]
	v_add_u32_e32 v4, s12, v49
	v_add_co_u32_e32 v6, vcc, s8, v6
	v_addc_co_u32_e32 v7, vcc, v17, v7, vcc
	global_store_dwordx4 v[15:16], v[11:14], off
	global_load_dwordx4 v[11:14], v[6:7], off
	v_lshlrev_b64 v[15:16], 4, v[4:5]
	v_add_u32_e32 v4, s13, v49
	v_add_co_u32_e32 v15, vcc, s8, v15
	v_addc_co_u32_e32 v16, vcc, v17, v16, vcc
	s_waitcnt vmcnt(0)
	v_fma_f64 v[11:12], -v[0:1], v[27:28], v[11:12]
	v_fma_f64 v[13:14], -v[2:3], v[27:28], v[13:14]
	v_fma_f64 v[11:12], v[2:3], v[29:30], v[11:12]
	v_fma_f64 v[13:14], -v[0:1], v[29:30], v[13:14]
	global_store_dwordx4 v[6:7], v[11:14], off
	global_load_dwordx4 v[11:14], v[15:16], off
	s_waitcnt vmcnt(0)
	v_fma_f64 v[6:7], -v[0:1], v[31:32], v[11:12]
	v_fma_f64 v[13:14], -v[2:3], v[31:32], v[13:14]
	v_fma_f64 v[11:12], v[2:3], v[33:34], v[6:7]
	v_fma_f64 v[13:14], -v[0:1], v[33:34], v[13:14]
	v_lshlrev_b64 v[6:7], 4, v[4:5]
	v_add_u32_e32 v4, s14, v49
	v_add_co_u32_e32 v6, vcc, s8, v6
	v_addc_co_u32_e32 v7, vcc, v17, v7, vcc
	global_store_dwordx4 v[15:16], v[11:14], off
	global_load_dwordx4 v[11:14], v[6:7], off
	v_lshlrev_b64 v[15:16], 4, v[4:5]
	v_add_u32_e32 v4, s15, v49
	v_add_co_u32_e32 v15, vcc, s8, v15
	v_addc_co_u32_e32 v16, vcc, v17, v16, vcc
	s_waitcnt vmcnt(0)
	v_fma_f64 v[11:12], -v[0:1], v[35:36], v[11:12]
	v_fma_f64 v[13:14], -v[2:3], v[35:36], v[13:14]
	v_fma_f64 v[11:12], v[2:3], v[37:38], v[11:12]
	v_fma_f64 v[13:14], -v[0:1], v[37:38], v[13:14]
	global_store_dwordx4 v[6:7], v[11:14], off
	global_load_dwordx4 v[11:14], v[15:16], off
	s_waitcnt vmcnt(0)
	v_fma_f64 v[6:7], -v[0:1], v[39:40], v[11:12]
	v_fma_f64 v[13:14], -v[2:3], v[39:40], v[13:14]
	v_fma_f64 v[11:12], v[2:3], v[41:42], v[6:7]
	v_fma_f64 v[13:14], -v[0:1], v[41:42], v[13:14]
	v_lshlrev_b64 v[6:7], 4, v[4:5]
	v_add_co_u32_e32 v6, vcc, s8, v6
	v_addc_co_u32_e32 v7, vcc, v17, v7, vcc
	global_store_dwordx4 v[15:16], v[11:14], off
	global_load_dwordx4 v[11:14], v[6:7], off
	s_waitcnt vmcnt(0)
	v_fma_f64 v[11:12], -v[0:1], v[45:46], v[11:12]
	v_fma_f64 v[13:14], -v[2:3], v[45:46], v[13:14]
	v_fma_f64 v[11:12], v[2:3], v[47:48], v[11:12]
	v_fma_f64 v[13:14], -v[0:1], v[47:48], v[13:14]
                                        ; implicit-def: $vgpr0_vgpr1
	global_store_dwordx4 v[6:7], v[11:14], off
                                        ; implicit-def: $vgpr6
.LBB338_27:                             ;   in Loop: Header=BB338_25 Depth=1
	s_or_saveexec_b64 s[2:3], s[2:3]
	v_mov_b32_e32 v4, s18
	s_xor_b64 exec, exec, s[2:3]
	s_cbranch_execz .LBB338_24
; %bb.28:                               ;   in Loop: Header=BB338_25 Depth=1
	v_add_u32_e32 v7, v103, v8
	v_add_u32_e32 v4, s4, v7
	v_lshlrev_b64 v[11:12], 4, v[4:5]
	v_mov_b32_e32 v4, s9
	v_add_co_u32_e32 v19, vcc, s8, v11
	v_addc_co_u32_e32 v20, vcc, v4, v12, vcc
	v_add_u32_e32 v4, s4, v6
	v_lshlrev_b64 v[11:12], 4, v[4:5]
	v_mov_b32_e32 v4, s9
	v_add_co_u32_e32 v21, vcc, s8, v11
	v_addc_co_u32_e32 v22, vcc, v4, v12, vcc
	global_load_dwordx4 v[11:14], v[19:20], off
	global_load_dwordx4 v[15:18], v[21:22], off
	v_add_u32_e32 v4, s5, v7
	v_lshlrev_b64 v[19:20], 4, v[4:5]
	v_add_u32_e32 v4, s5, v6
	v_mov_b32_e32 v25, s9
	v_lshlrev_b64 v[23:24], 4, v[4:5]
	v_add_co_u32_e32 v19, vcc, s8, v19
	v_addc_co_u32_e32 v20, vcc, v25, v20, vcc
	v_mov_b32_e32 v26, s9
	v_add_co_u32_e32 v23, vcc, s8, v23
	v_addc_co_u32_e32 v24, vcc, v26, v24, vcc
	v_add_u32_e32 v4, s6, v7
	s_waitcnt vmcnt(0)
	v_fma_f64 v[15:16], -v[0:1], v[11:12], v[15:16]
	v_fma_f64 v[17:18], -v[2:3], v[11:12], v[17:18]
	v_fma_f64 v[11:12], v[2:3], v[13:14], v[15:16]
	v_fma_f64 v[13:14], -v[0:1], v[13:14], v[17:18]
	global_store_dwordx4 v[21:22], v[11:14], off
	global_load_dwordx4 v[11:14], v[19:20], off
	s_nop 0
	global_load_dwordx4 v[15:18], v[23:24], off
	v_lshlrev_b64 v[19:20], 4, v[4:5]
	v_add_u32_e32 v4, s6, v6
	v_lshlrev_b64 v[21:22], 4, v[4:5]
	v_add_co_u32_e32 v19, vcc, s8, v19
	v_addc_co_u32_e32 v20, vcc, v25, v20, vcc
	v_add_co_u32_e32 v21, vcc, s8, v21
	v_addc_co_u32_e32 v22, vcc, v26, v22, vcc
	v_add_u32_e32 v4, s7, v7
	s_waitcnt vmcnt(0)
	v_fma_f64 v[15:16], -v[0:1], v[11:12], v[15:16]
	v_fma_f64 v[17:18], -v[2:3], v[11:12], v[17:18]
	v_fma_f64 v[11:12], v[2:3], v[13:14], v[15:16]
	v_fma_f64 v[13:14], -v[0:1], v[13:14], v[17:18]
	global_store_dwordx4 v[23:24], v[11:14], off
	global_load_dwordx4 v[11:14], v[19:20], off
	s_nop 0
	global_load_dwordx4 v[15:18], v[21:22], off
	v_lshlrev_b64 v[19:20], 4, v[4:5]
	v_add_u32_e32 v4, s7, v6
	v_lshlrev_b64 v[23:24], 4, v[4:5]
	v_add_co_u32_e32 v19, vcc, s8, v19
	v_addc_co_u32_e32 v20, vcc, v25, v20, vcc
	;; [unrolled: 17-line block ×5, first 2 shown]
	v_add_co_u32_e32 v21, vcc, s8, v21
	v_addc_co_u32_e32 v22, vcc, v26, v22, vcc
	v_add_u32_e32 v4, s15, v7
	s_waitcnt vmcnt(0)
	v_fma_f64 v[15:16], -v[0:1], v[11:12], v[15:16]
	v_fma_f64 v[17:18], -v[2:3], v[11:12], v[17:18]
	v_fma_f64 v[11:12], v[2:3], v[13:14], v[15:16]
	v_fma_f64 v[13:14], -v[0:1], v[13:14], v[17:18]
	global_store_dwordx4 v[23:24], v[11:14], off
	global_load_dwordx4 v[11:14], v[19:20], off
	s_nop 0
	global_load_dwordx4 v[15:18], v[21:22], off
	v_lshlrev_b64 v[19:20], 4, v[4:5]
	v_add_u32_e32 v4, s15, v6
	v_mov_b32_e32 v23, s9
	v_lshlrev_b64 v[6:7], 4, v[4:5]
	v_add_co_u32_e32 v19, vcc, s8, v19
	v_addc_co_u32_e32 v20, vcc, v23, v20, vcc
	v_mov_b32_e32 v24, s9
	v_add_co_u32_e32 v6, vcc, s8, v6
	v_addc_co_u32_e32 v7, vcc, v24, v7, vcc
	v_mov_b32_e32 v4, s22
	s_waitcnt vmcnt(0)
	v_fma_f64 v[15:16], -v[0:1], v[11:12], v[15:16]
	v_fma_f64 v[17:18], -v[2:3], v[11:12], v[17:18]
	v_fma_f64 v[11:12], v[2:3], v[13:14], v[15:16]
	v_fma_f64 v[13:14], -v[0:1], v[13:14], v[17:18]
	global_store_dwordx4 v[21:22], v[11:14], off
	global_load_dwordx4 v[11:14], v[19:20], off
	s_nop 0
	global_load_dwordx4 v[15:18], v[6:7], off
	s_waitcnt vmcnt(0)
	v_fma_f64 v[15:16], -v[0:1], v[11:12], v[15:16]
	v_fma_f64 v[17:18], -v[2:3], v[11:12], v[17:18]
	v_fma_f64 v[11:12], v[2:3], v[13:14], v[15:16]
	v_fma_f64 v[13:14], -v[0:1], v[13:14], v[17:18]
	global_store_dwordx4 v[6:7], v[11:14], off
	s_branch .LBB338_24
.LBB338_29:
	s_endpgm
	.section	.rodata,"a",@progbits
	.p2align	6, 0x0
	.amdhsa_kernel _ZN9rocsparseL19gtsv_LBM_rhs_kernelILj256ELj128ELj8E21rocsparse_complex_numIdEEEviiiPKT2_S5_S5_PS3_S5_PKi
		.amdhsa_group_segment_fixed_size 0
		.amdhsa_private_segment_fixed_size 0
		.amdhsa_kernarg_size 64
		.amdhsa_user_sgpr_count 6
		.amdhsa_user_sgpr_private_segment_buffer 1
		.amdhsa_user_sgpr_dispatch_ptr 0
		.amdhsa_user_sgpr_queue_ptr 0
		.amdhsa_user_sgpr_kernarg_segment_ptr 1
		.amdhsa_user_sgpr_dispatch_id 0
		.amdhsa_user_sgpr_flat_scratch_init 0
		.amdhsa_user_sgpr_private_segment_size 0
		.amdhsa_uses_dynamic_stack 0
		.amdhsa_system_sgpr_private_segment_wavefront_offset 0
		.amdhsa_system_sgpr_workgroup_id_x 1
		.amdhsa_system_sgpr_workgroup_id_y 1
		.amdhsa_system_sgpr_workgroup_id_z 0
		.amdhsa_system_sgpr_workgroup_info 0
		.amdhsa_system_vgpr_workitem_id 0
		.amdhsa_next_free_vgpr 161
		.amdhsa_next_free_sgpr 37
		.amdhsa_reserve_vcc 1
		.amdhsa_reserve_flat_scratch 0
		.amdhsa_float_round_mode_32 0
		.amdhsa_float_round_mode_16_64 0
		.amdhsa_float_denorm_mode_32 3
		.amdhsa_float_denorm_mode_16_64 3
		.amdhsa_dx10_clamp 1
		.amdhsa_ieee_mode 1
		.amdhsa_fp16_overflow 0
		.amdhsa_exception_fp_ieee_invalid_op 0
		.amdhsa_exception_fp_denorm_src 0
		.amdhsa_exception_fp_ieee_div_zero 0
		.amdhsa_exception_fp_ieee_overflow 0
		.amdhsa_exception_fp_ieee_underflow 0
		.amdhsa_exception_fp_ieee_inexact 0
		.amdhsa_exception_int_div_zero 0
	.end_amdhsa_kernel
	.section	.text._ZN9rocsparseL19gtsv_LBM_rhs_kernelILj256ELj128ELj8E21rocsparse_complex_numIdEEEviiiPKT2_S5_S5_PS3_S5_PKi,"axG",@progbits,_ZN9rocsparseL19gtsv_LBM_rhs_kernelILj256ELj128ELj8E21rocsparse_complex_numIdEEEviiiPKT2_S5_S5_PS3_S5_PKi,comdat
.Lfunc_end338:
	.size	_ZN9rocsparseL19gtsv_LBM_rhs_kernelILj256ELj128ELj8E21rocsparse_complex_numIdEEEviiiPKT2_S5_S5_PS3_S5_PKi, .Lfunc_end338-_ZN9rocsparseL19gtsv_LBM_rhs_kernelILj256ELj128ELj8E21rocsparse_complex_numIdEEEviiiPKT2_S5_S5_PS3_S5_PKi
                                        ; -- End function
	.set _ZN9rocsparseL19gtsv_LBM_rhs_kernelILj256ELj128ELj8E21rocsparse_complex_numIdEEEviiiPKT2_S5_S5_PS3_S5_PKi.num_vgpr, 161
	.set _ZN9rocsparseL19gtsv_LBM_rhs_kernelILj256ELj128ELj8E21rocsparse_complex_numIdEEEviiiPKT2_S5_S5_PS3_S5_PKi.num_agpr, 0
	.set _ZN9rocsparseL19gtsv_LBM_rhs_kernelILj256ELj128ELj8E21rocsparse_complex_numIdEEEviiiPKT2_S5_S5_PS3_S5_PKi.numbered_sgpr, 37
	.set _ZN9rocsparseL19gtsv_LBM_rhs_kernelILj256ELj128ELj8E21rocsparse_complex_numIdEEEviiiPKT2_S5_S5_PS3_S5_PKi.num_named_barrier, 0
	.set _ZN9rocsparseL19gtsv_LBM_rhs_kernelILj256ELj128ELj8E21rocsparse_complex_numIdEEEviiiPKT2_S5_S5_PS3_S5_PKi.private_seg_size, 0
	.set _ZN9rocsparseL19gtsv_LBM_rhs_kernelILj256ELj128ELj8E21rocsparse_complex_numIdEEEviiiPKT2_S5_S5_PS3_S5_PKi.uses_vcc, 1
	.set _ZN9rocsparseL19gtsv_LBM_rhs_kernelILj256ELj128ELj8E21rocsparse_complex_numIdEEEviiiPKT2_S5_S5_PS3_S5_PKi.uses_flat_scratch, 0
	.set _ZN9rocsparseL19gtsv_LBM_rhs_kernelILj256ELj128ELj8E21rocsparse_complex_numIdEEEviiiPKT2_S5_S5_PS3_S5_PKi.has_dyn_sized_stack, 0
	.set _ZN9rocsparseL19gtsv_LBM_rhs_kernelILj256ELj128ELj8E21rocsparse_complex_numIdEEEviiiPKT2_S5_S5_PS3_S5_PKi.has_recursion, 0
	.set _ZN9rocsparseL19gtsv_LBM_rhs_kernelILj256ELj128ELj8E21rocsparse_complex_numIdEEEviiiPKT2_S5_S5_PS3_S5_PKi.has_indirect_call, 0
	.section	.AMDGPU.csdata,"",@progbits
; Kernel info:
; codeLenInByte = 8776
; TotalNumSgprs: 41
; NumVgprs: 161
; ScratchSize: 0
; MemoryBound: 1
; FloatMode: 240
; IeeeMode: 1
; LDSByteSize: 0 bytes/workgroup (compile time only)
; SGPRBlocks: 5
; VGPRBlocks: 40
; NumSGPRsForWavesPerEU: 41
; NumVGPRsForWavesPerEU: 161
; Occupancy: 1
; WaveLimiterHint : 0
; COMPUTE_PGM_RSRC2:SCRATCH_EN: 0
; COMPUTE_PGM_RSRC2:USER_SGPR: 6
; COMPUTE_PGM_RSRC2:TRAP_HANDLER: 0
; COMPUTE_PGM_RSRC2:TGID_X_EN: 1
; COMPUTE_PGM_RSRC2:TGID_Y_EN: 1
; COMPUTE_PGM_RSRC2:TGID_Z_EN: 0
; COMPUTE_PGM_RSRC2:TIDIG_COMP_CNT: 0
	.section	.text._ZN9rocsparseL19gtsv_LBM_rhs_kernelILj256ELj128ELj4E21rocsparse_complex_numIdEEEviiiPKT2_S5_S5_PS3_S5_PKi,"axG",@progbits,_ZN9rocsparseL19gtsv_LBM_rhs_kernelILj256ELj128ELj4E21rocsparse_complex_numIdEEEviiiPKT2_S5_S5_PS3_S5_PKi,comdat
	.globl	_ZN9rocsparseL19gtsv_LBM_rhs_kernelILj256ELj128ELj4E21rocsparse_complex_numIdEEEviiiPKT2_S5_S5_PS3_S5_PKi ; -- Begin function _ZN9rocsparseL19gtsv_LBM_rhs_kernelILj256ELj128ELj4E21rocsparse_complex_numIdEEEviiiPKT2_S5_S5_PS3_S5_PKi
	.p2align	8
	.type	_ZN9rocsparseL19gtsv_LBM_rhs_kernelILj256ELj128ELj4E21rocsparse_complex_numIdEEEviiiPKT2_S5_S5_PS3_S5_PKi,@function
_ZN9rocsparseL19gtsv_LBM_rhs_kernelILj256ELj128ELj4E21rocsparse_complex_numIdEEEviiiPKT2_S5_S5_PS3_S5_PKi: ; @_ZN9rocsparseL19gtsv_LBM_rhs_kernelILj256ELj128ELj4E21rocsparse_complex_numIdEEEviiiPKT2_S5_S5_PS3_S5_PKi
; %bb.0:
	s_load_dword s23, s[4:5], 0x0
	v_lshl_or_b32 v28, s6, 8, v0
	s_waitcnt lgkmcnt(0)
	s_lshr_b32 s22, s23, 7
	v_cmp_gt_i32_e32 vcc, s22, v28
	s_and_saveexec_b64 s[0:1], vcc
	s_cbranch_execz .LBB339_29
; %bb.1:
	s_load_dwordx4 s[8:11], s[4:5], 0x28
	s_load_dwordx2 s[16:17], s[4:5], 0x38
	s_cmp_lt_i32 s23, 1
	v_add_u32_e32 v65, s22, v28
	s_mul_i32 s24, s7, s23
	s_cbranch_scc1 .LBB339_21
; %bb.2:
	s_load_dwordx4 s[12:15], s[4:5], 0x10
	s_load_dwordx2 s[6:7], s[4:5], 0x20
	v_ashrrev_i32_e32 v29, 31, v28
	v_lshlrev_b64 v[0:1], 4, v[28:29]
	s_lshl_b32 s28, s24, 2
	s_waitcnt lgkmcnt(0)
	v_mov_b32_e32 v2, s15
	v_add_co_u32_e32 v0, vcc, s14, v0
	v_addc_co_u32_e32 v1, vcc, v2, v1, vcc
	global_load_dwordx4 v[0:3], v[0:1], off
	s_add_i32 s29, s28, s23
	s_add_i32 s30, s29, s23
	s_mul_i32 s25, s22, 0x7f
	s_mul_i32 s26, s22, 0x7e
	s_lshl_b32 s27, s22, 1
	v_add_u32_e32 v67, s22, v65
	s_add_i32 s31, s30, s23
	v_mov_b32_e32 v30, 0
	s_mov_b64 s[18:19], 0
	v_mov_b32_e32 v68, s7
	v_mov_b32_e32 v66, 0
	s_branch .LBB339_5
.LBB339_3:                              ;   in Loop: Header=BB339_5 Depth=1
	s_or_b64 exec, exec, s[4:5]
	v_fma_f64 v[0:1], v[6:7], v[8:9], v[33:34]
	v_fma_f64 v[2:3], v[4:5], v[8:9], v[31:32]
	v_mov_b32_e32 v10, s22
	v_mul_f64 v[4:5], v[35:36], -v[0:1]
	v_mul_f64 v[6:7], v[35:36], v[2:3]
	v_fma_f64 v[2:3], v[2:3], v[14:15], v[4:5]
	v_fma_f64 v[4:5], v[0:1], v[14:15], v[6:7]
	v_add_f64 v[0:1], v[16:17], -v[2:3]
	v_add_f64 v[2:3], v[18:19], -v[4:5]
.LBB339_4:                              ;   in Loop: Header=BB339_5 Depth=1
	s_or_b64 exec, exec, s[2:3]
	v_add_u32_e32 v66, v10, v66
	v_cmp_le_i32_e32 vcc, s23, v66
	s_or_b64 s[18:19], vcc, s[18:19]
	s_andn2_b64 exec, exec, s[18:19]
	s_cbranch_execz .LBB339_20
.LBB339_5:                              ; =>This Inner Loop Header: Depth=1
	v_add_u32_e32 v25, v66, v28
	v_ashrrev_i32_e32 v26, 31, v25
	v_lshlrev_b64 v[4:5], 4, v[25:26]
	v_mov_b32_e32 v16, 0
	v_add_co_u32_e32 v4, vcc, s6, v4
	v_addc_co_u32_e32 v5, vcc, v68, v5, vcc
	global_load_dwordx4 v[8:11], v[4:5], off
	v_mov_b32_e32 v4, 0
	v_mov_b32_e32 v6, 0
	;; [unrolled: 1-line block ×5, first 2 shown]
	v_cmp_gt_u32_e64 s[0:1], s25, v66
	s_and_saveexec_b64 s[2:3], s[0:1]
	s_cbranch_execz .LBB339_7
; %bb.6:                                ;   in Loop: Header=BB339_5 Depth=1
	v_add_u32_e32 v4, v65, v66
	v_ashrrev_i32_e32 v5, 31, v4
	v_lshlrev_b64 v[4:5], 4, v[4:5]
	v_mov_b32_e32 v6, s13
	v_add_co_u32_e32 v4, vcc, s12, v4
	v_addc_co_u32_e32 v5, vcc, v6, v5, vcc
	global_load_dwordx4 v[4:7], v[4:5], off
.LBB339_7:                              ;   in Loop: Header=BB339_5 Depth=1
	s_or_b64 exec, exec, s[2:3]
	v_mov_b32_e32 v18, 0
	v_mov_b32_e32 v19, 0
	s_and_saveexec_b64 s[2:3], s[0:1]
	s_cbranch_execz .LBB339_9
; %bb.8:                                ;   in Loop: Header=BB339_5 Depth=1
	v_add_u32_e32 v12, v65, v66
	v_ashrrev_i32_e32 v13, 31, v12
	v_lshlrev_b64 v[12:13], 4, v[12:13]
	v_mov_b32_e32 v14, s15
	v_add_co_u32_e32 v12, vcc, s14, v12
	v_addc_co_u32_e32 v13, vcc, v14, v13, vcc
	global_load_dwordx4 v[16:19], v[12:13], off
.LBB339_9:                              ;   in Loop: Header=BB339_5 Depth=1
	s_or_b64 exec, exec, s[2:3]
	v_mov_b32_e32 v20, 0
	v_mov_b32_e32 v12, 0
	;; [unrolled: 1-line block ×6, first 2 shown]
	s_and_saveexec_b64 s[2:3], s[0:1]
	s_cbranch_execz .LBB339_11
; %bb.10:                               ;   in Loop: Header=BB339_5 Depth=1
	v_add_u32_e32 v12, v65, v66
	v_ashrrev_i32_e32 v13, 31, v12
	v_lshlrev_b64 v[12:13], 4, v[12:13]
	v_mov_b32_e32 v14, s7
	v_add_co_u32_e32 v12, vcc, s6, v12
	v_addc_co_u32_e32 v13, vcc, v14, v13, vcc
	global_load_dwordx4 v[12:15], v[12:13], off
.LBB339_11:                             ;   in Loop: Header=BB339_5 Depth=1
	s_or_b64 exec, exec, s[2:3]
	v_mov_b32_e32 v22, 0
	v_mov_b32_e32 v23, 0
	v_cmp_gt_u32_e64 s[2:3], s26, v66
	s_and_saveexec_b64 s[4:5], s[2:3]
	s_cbranch_execz .LBB339_13
; %bb.12:                               ;   in Loop: Header=BB339_5 Depth=1
	v_add_u32_e32 v20, v67, v66
	v_ashrrev_i32_e32 v21, 31, v20
	v_lshlrev_b64 v[20:21], 4, v[20:21]
	v_mov_b32_e32 v22, s13
	v_add_co_u32_e32 v20, vcc, s12, v20
	v_addc_co_u32_e32 v21, vcc, v22, v21, vcc
	global_load_dwordx4 v[20:23], v[20:21], off
.LBB339_13:                             ;   in Loop: Header=BB339_5 Depth=1
	s_or_b64 exec, exec, s[4:5]
	v_lshlrev_b64 v[26:27], 2, v[25:26]
	v_mov_b32_e32 v24, s17
	v_add_co_u32_e32 v26, vcc, s16, v26
	v_addc_co_u32_e32 v27, vcc, v24, v27, vcc
	global_load_dword v26, v[26:27], off
	s_waitcnt vmcnt(1)
	v_mul_f64 v[31:32], v[10:11], -v[6:7]
	v_mul_f64 v[33:34], v[10:11], v[4:5]
	v_cmp_ne_u32_e32 vcc, s25, v66
	v_add_u32_e32 v29, s28, v25
	v_add_u32_e32 v24, s29, v25
	;; [unrolled: 1-line block ×4, first 2 shown]
	s_waitcnt vmcnt(0)
	v_cmp_ne_u32_e64 s[4:5], 1, v26
	s_and_b64 s[4:5], vcc, s[4:5]
	s_and_saveexec_b64 s[20:21], s[4:5]
	s_xor_b64 s[20:21], exec, s[20:21]
	s_cbranch_execz .LBB339_17
; %bb.14:                               ;   in Loop: Header=BB339_5 Depth=1
	v_mul_f64 v[25:26], v[0:1], v[18:19]
	v_mul_f64 v[38:39], v[18:19], -v[2:3]
	v_fma_f64 v[33:34], v[6:7], v[8:9], v[33:34]
	v_fma_f64 v[31:32], v[4:5], v[8:9], v[31:32]
	v_add_u32_e32 v71, v65, v66
	v_mov_b32_e32 v36, s9
	v_mov_b32_e32 v63, s9
	;; [unrolled: 1-line block ×3, first 2 shown]
	v_fma_f64 v[25:26], v[2:3], v[16:17], v[25:26]
	v_fma_f64 v[38:39], v[0:1], v[16:17], v[38:39]
	v_mov_b32_e32 v75, s9
	v_mov_b32_e32 v76, s9
	v_add_f64 v[26:27], v[25:26], -v[33:34]
	v_add_f64 v[33:34], v[38:39], -v[31:32]
	v_mov_b32_e32 v25, s9
	v_mul_f64 v[31:32], v[26:27], v[26:27]
	v_fma_f64 v[59:60], v[33:34], 0, -v[26:27]
	v_fma_f64 v[26:27], v[26:27], 0, v[33:34]
	v_fma_f64 v[38:39], v[33:34], v[33:34], v[31:32]
	v_lshlrev_b64 v[31:32], 4, v[29:30]
	v_add_u32_e32 v29, s28, v71
	v_add_co_u32_e32 v57, vcc, s8, v31
	v_lshlrev_b64 v[45:46], 4, v[29:30]
	v_addc_co_u32_e32 v58, vcc, v25, v32, vcc
	v_div_scale_f64 v[49:50], s[4:5], v[38:39], v[38:39], 1.0
	v_add_co_u32_e32 v31, vcc, s8, v45
	v_addc_co_u32_e32 v32, vcc, v36, v46, vcc
	global_load_dwordx4 v[41:44], v[57:58], off
	global_load_dwordx4 v[45:48], v[31:32], off
	v_mov_b32_e32 v25, v30
	v_lshlrev_b64 v[24:25], 4, v[24:25]
	v_mov_b32_e32 v29, s9
	v_add_co_u32_e64 v81, s[4:5], s8, v24
	v_addc_co_u32_e64 v82, s[4:5], v29, v25, s[4:5]
	v_add_u32_e32 v29, s29, v71
	v_rcp_f64_e32 v[51:52], v[49:50]
	v_fma_f64 v[53:54], -v[49:50], v[51:52], 1.0
	v_fma_f64 v[51:52], v[51:52], v[53:54], v[51:52]
	v_div_scale_f64 v[53:54], vcc, 1.0, v[38:39], 1.0
	v_fma_f64 v[55:56], -v[49:50], v[51:52], 1.0
	v_fma_f64 v[51:52], v[51:52], v[55:56], v[51:52]
	v_mul_f64 v[55:56], v[53:54], v[51:52]
	v_fma_f64 v[49:50], -v[49:50], v[55:56], v[53:54]
	v_lshlrev_b64 v[53:54], 4, v[29:30]
	v_add_u32_e32 v29, s30, v71
	v_div_fmas_f64 v[24:25], v[49:50], v[51:52], v[55:56]
	global_load_dwordx4 v[49:52], v[81:82], off
	v_add_co_u32_e32 v83, vcc, s8, v53
	v_addc_co_u32_e32 v84, vcc, v36, v54, vcc
	global_load_dwordx4 v[53:56], v[83:84], off
	v_mov_b32_e32 v36, v30
	v_div_fixup_f64 v[39:40], v[24:25], v[38:39], 1.0
	v_mov_b32_e32 v38, v30
	v_mul_f64 v[24:25], v[59:60], v[39:40]
	v_mul_f64 v[26:27], v[26:27], v[39:40]
	s_waitcnt vmcnt(3)
	v_mul_f64 v[33:34], v[24:25], v[41:42]
	s_waitcnt vmcnt(2)
	v_mul_f64 v[39:40], v[24:25], v[45:46]
	v_mul_f64 v[59:60], v[24:25], -v[43:44]
	v_mul_f64 v[61:62], v[24:25], -v[47:48]
	v_fma_f64 v[33:34], v[43:44], v[26:27], v[33:34]
	v_fma_f64 v[39:40], v[47:48], v[26:27], v[39:40]
	v_lshlrev_b64 v[43:44], 4, v[37:38]
	v_lshlrev_b64 v[47:48], 4, v[35:36]
	v_fma_f64 v[37:38], v[41:42], v[26:27], v[59:60]
	v_fma_f64 v[35:36], v[45:46], v[26:27], v[61:62]
	v_add_co_u32_e32 v85, vcc, s8, v43
	v_mul_f64 v[45:46], v[16:17], v[33:34]
	v_mul_f64 v[59:60], v[39:40], -v[10:11]
	v_mul_f64 v[61:62], v[8:9], v[39:40]
	v_mul_f64 v[41:42], v[33:34], -v[18:19]
	v_add_co_u32_e64 v87, s[4:5], s8, v47
	v_addc_co_u32_e32 v86, vcc, v63, v44, vcc
	v_fma_f64 v[69:70], v[18:19], v[37:38], v[45:46]
	v_fma_f64 v[45:46], v[8:9], v[35:36], v[59:60]
	;; [unrolled: 1-line block ×3, first 2 shown]
	v_addc_co_u32_e64 v88, vcc, v72, v48, s[4:5]
	v_fma_f64 v[63:64], v[16:17], v[37:38], v[41:42]
	v_lshlrev_b64 v[61:62], 4, v[29:30]
	v_add_u32_e32 v29, s31, v71
	global_load_dwordx4 v[41:44], v[85:86], off
	v_lshlrev_b64 v[73:74], 4, v[29:30]
	v_add_f64 v[47:48], v[69:70], -v[59:60]
	global_load_dwordx4 v[69:72], v[87:88], off
	v_add_co_u32_e32 v89, vcc, s8, v61
	v_addc_co_u32_e32 v90, vcc, v75, v62, vcc
	v_add_f64 v[45:46], v[63:64], -v[45:46]
	v_add_co_u32_e32 v91, vcc, s8, v73
	v_addc_co_u32_e32 v92, vcc, v76, v74, vcc
	global_load_dwordx4 v[73:76], v[89:90], off
	global_load_dwordx4 v[77:80], v[91:92], off
	s_nop 0
	global_store_dwordx4 v[57:58], v[45:48], off
	s_waitcnt vmcnt(6)
	v_mul_f64 v[45:46], v[24:25], -v[51:52]
	v_fma_f64 v[57:58], v[49:50], v[26:27], v[45:46]
	v_mul_f64 v[45:46], v[24:25], v[49:50]
	v_fma_f64 v[61:62], v[51:52], v[26:27], v[45:46]
	s_waitcnt vmcnt(5)
	v_mul_f64 v[45:46], v[24:25], -v[55:56]
	v_mul_f64 v[47:48], v[16:17], v[61:62]
	v_fma_f64 v[59:60], v[53:54], v[26:27], v[45:46]
	v_mul_f64 v[45:46], v[24:25], v[53:54]
	v_fma_f64 v[47:48], v[18:19], v[57:58], v[47:48]
	v_fma_f64 v[63:64], v[55:56], v[26:27], v[45:46]
	v_mul_f64 v[45:46], v[61:62], -v[18:19]
	v_mul_f64 v[49:50], v[63:64], -v[10:11]
	v_mul_f64 v[51:52], v[8:9], v[63:64]
	v_fma_f64 v[45:46], v[16:17], v[57:58], v[45:46]
	v_fma_f64 v[49:50], v[8:9], v[59:60], v[49:50]
	;; [unrolled: 1-line block ×3, first 2 shown]
	v_add_f64 v[45:46], v[45:46], -v[49:50]
	v_add_f64 v[47:48], v[47:48], -v[51:52]
	s_waitcnt vmcnt(3)
	v_mul_f64 v[51:52], v[24:25], v[69:70]
	v_mul_f64 v[49:50], v[24:25], -v[71:72]
	global_store_dwordx4 v[81:82], v[45:48], off
	v_fma_f64 v[51:52], v[71:72], v[26:27], v[51:52]
	v_mul_f64 v[45:46], v[24:25], -v[43:44]
	v_mul_f64 v[47:48], v[24:25], v[41:42]
	v_fma_f64 v[49:50], v[69:70], v[26:27], v[49:50]
	s_waitcnt vmcnt(2)
	v_mul_f64 v[55:56], v[24:25], v[77:78]
	v_mul_f64 v[53:54], v[24:25], -v[79:80]
	v_fma_f64 v[41:42], v[41:42], v[26:27], v[45:46]
	v_fma_f64 v[45:46], v[43:44], v[26:27], v[47:48]
	v_mul_f64 v[43:44], v[24:25], -v[75:76]
	v_mul_f64 v[47:48], v[24:25], v[73:74]
	v_fma_f64 v[55:56], v[79:80], v[26:27], v[55:56]
	v_fma_f64 v[53:54], v[77:78], v[26:27], v[53:54]
	v_mul_f64 v[69:70], v[45:46], -v[18:19]
	v_fma_f64 v[43:44], v[73:74], v[26:27], v[43:44]
	v_mul_f64 v[73:74], v[51:52], -v[18:19]
	v_fma_f64 v[47:48], v[75:76], v[26:27], v[47:48]
	v_mul_f64 v[71:72], v[16:17], v[45:46]
	v_mul_f64 v[77:78], v[55:56], -v[10:11]
	v_fma_f64 v[69:70], v[16:17], v[41:42], v[69:70]
	v_fma_f64 v[73:74], v[16:17], v[49:50], v[73:74]
	v_mul_f64 v[16:17], v[16:17], v[51:52]
	v_fma_f64 v[71:72], v[18:19], v[41:42], v[71:72]
	v_mul_f64 v[75:76], v[8:9], v[47:48]
	v_fma_f64 v[77:78], v[8:9], v[53:54], v[77:78]
	v_fma_f64 v[18:19], v[18:19], v[49:50], v[16:17]
	v_mul_f64 v[16:17], v[47:48], -v[10:11]
	v_fma_f64 v[75:76], v[10:11], v[43:44], v[75:76]
	v_fma_f64 v[16:17], v[8:9], v[43:44], v[16:17]
	v_mul_f64 v[8:9], v[8:9], v[55:56]
	v_fma_f64 v[79:80], v[10:11], v[53:54], v[8:9]
	v_add_f64 v[8:9], v[69:70], -v[16:17]
	v_add_f64 v[10:11], v[71:72], -v[75:76]
	;; [unrolled: 1-line block ×3, first 2 shown]
	v_mul_f64 v[69:70], v[6:7], v[33:34]
	v_mul_f64 v[71:72], v[33:34], -v[4:5]
	v_mul_f64 v[73:74], v[6:7], v[61:62]
	v_mul_f64 v[75:76], v[0:1], v[63:64]
	v_add_f64 v[18:19], v[18:19], -v[79:80]
	v_mul_f64 v[79:80], v[0:1], v[55:56]
	global_store_dwordx4 v[85:86], v[8:11], off
	v_fma_f64 v[69:70], -v[4:5], v[37:38], v[69:70]
	v_mul_f64 v[8:9], v[39:40], -v[2:3]
	v_mul_f64 v[10:11], v[0:1], v[39:40]
	v_fma_f64 v[71:72], -v[6:7], v[37:38], v[71:72]
	global_store_dwordx4 v[87:88], v[16:19], off
	v_fma_f64 v[73:74], -v[4:5], v[57:58], v[73:74]
	v_mul_f64 v[16:17], v[61:62], -v[4:5]
	v_mul_f64 v[18:19], v[63:64], -v[2:3]
	v_fma_f64 v[79:80], v[2:3], v[53:54], v[79:80]
	v_fma_f64 v[8:9], v[0:1], v[35:36], v[8:9]
	;; [unrolled: 1-line block ×3, first 2 shown]
	v_fma_f64 v[77:78], -v[6:7], v[57:58], v[16:17]
	v_fma_f64 v[16:17], v[0:1], v[59:60], v[18:19]
	v_fma_f64 v[18:19], v[2:3], v[59:60], v[75:76]
	v_add_f64 v[8:9], v[69:70], v[8:9]
	v_add_f64 v[10:11], v[71:72], v[10:11]
	v_mul_f64 v[69:70], v[6:7], v[45:46]
	v_mul_f64 v[71:72], v[45:46], -v[4:5]
	v_mul_f64 v[75:76], v[0:1], v[47:48]
	v_add_f64 v[16:17], v[73:74], v[16:17]
	v_mul_f64 v[73:74], v[47:48], -v[2:3]
	v_add_f64 v[18:19], v[77:78], v[18:19]
	v_mul_f64 v[77:78], v[55:56], -v[2:3]
	v_fma_f64 v[69:70], -v[4:5], v[41:42], v[69:70]
	v_fma_f64 v[71:72], -v[6:7], v[41:42], v[71:72]
	v_fma_f64 v[75:76], v[2:3], v[43:44], v[75:76]
	v_fma_f64 v[73:74], v[0:1], v[43:44], v[73:74]
	;; [unrolled: 1-line block ×3, first 2 shown]
	v_add_f64 v[71:72], v[71:72], v[75:76]
	v_mul_f64 v[75:76], v[51:52], -v[4:5]
	v_add_f64 v[69:70], v[69:70], v[73:74]
	v_mul_f64 v[73:74], v[6:7], v[51:52]
	global_store_dwordx4 v[31:32], v[8:11], off
	global_store_dwordx4 v[83:84], v[16:19], off
	;; [unrolled: 1-line block ×3, first 2 shown]
	v_fma_f64 v[75:76], -v[6:7], v[49:50], v[75:76]
	v_mov_b32_e32 v8, 0
	v_fma_f64 v[73:74], -v[4:5], v[49:50], v[73:74]
	v_mov_b32_e32 v10, 0
	v_mov_b32_e32 v9, 0
	;; [unrolled: 1-line block ×3, first 2 shown]
	v_add_f64 v[75:76], v[75:76], v[79:80]
	v_add_f64 v[73:74], v[73:74], v[77:78]
	global_store_dwordx4 v[91:92], v[73:76], off
	s_and_saveexec_b64 s[4:5], s[2:3]
	s_cbranch_execz .LBB339_16
; %bb.15:                               ;   in Loop: Header=BB339_5 Depth=1
	v_add_u32_e32 v31, v67, v66
	v_add_u32_e32 v29, s28, v31
	v_lshlrev_b64 v[8:9], 4, v[29:30]
	v_add_u32_e32 v29, s29, v31
	v_mov_b32_e32 v10, s9
	v_add_co_u32_e32 v69, vcc, s8, v8
	v_lshlrev_b64 v[16:17], 4, v[29:30]
	v_addc_co_u32_e32 v70, vcc, v10, v9, vcc
	v_mov_b32_e32 v18, s9
	v_add_co_u32_e32 v71, vcc, s8, v16
	global_load_dwordx4 v[8:11], v[69:70], off
	v_addc_co_u32_e32 v72, vcc, v18, v17, vcc
	global_load_dwordx4 v[16:19], v[71:72], off
	v_mul_f64 v[73:74], v[22:23], -v[4:5]
	v_mul_f64 v[75:76], v[6:7], v[22:23]
	v_mul_f64 v[77:78], v[0:1], v[22:23]
	v_mul_f64 v[79:80], v[22:23], -v[2:3]
	v_add_u32_e32 v29, s30, v31
	v_mov_b32_e32 v85, s9
	v_fma_f64 v[73:74], -v[6:7], v[20:21], v[73:74]
	v_fma_f64 v[75:76], -v[4:5], v[20:21], v[75:76]
	v_fma_f64 v[77:78], v[2:3], v[20:21], v[77:78]
	v_fma_f64 v[79:80], v[0:1], v[20:21], v[79:80]
	v_mul_f64 v[4:5], v[73:74], v[33:34]
	v_mul_f64 v[6:7], v[33:34], -v[75:76]
	v_mul_f64 v[32:33], v[39:40], -v[77:78]
	v_mul_f64 v[39:40], v[79:80], v[39:40]
	v_mul_f64 v[81:82], v[73:74], v[61:62]
	v_mul_f64 v[61:62], v[61:62], -v[75:76]
	v_mul_f64 v[83:84], v[63:64], -v[77:78]
	v_mul_f64 v[63:64], v[79:80], v[63:64]
	v_fma_f64 v[4:5], -v[75:76], v[37:38], v[4:5]
	v_fma_f64 v[6:7], -v[73:74], v[37:38], v[6:7]
	v_fma_f64 v[33:34], v[79:80], v[35:36], v[32:33]
	v_fma_f64 v[35:36], v[77:78], v[35:36], v[39:40]
	v_fma_f64 v[37:38], -v[75:76], v[57:58], v[81:82]
	v_fma_f64 v[39:40], -v[73:74], v[57:58], v[61:62]
	v_fma_f64 v[57:58], v[79:80], v[59:60], v[83:84]
	v_fma_f64 v[59:60], v[77:78], v[59:60], v[63:64]
	v_ashrrev_i32_e32 v32, 31, v31
	v_lshlrev_b64 v[61:62], 4, v[31:32]
	v_add_f64 v[4:5], v[4:5], -v[33:34]
	v_add_f64 v[6:7], v[6:7], -v[35:36]
	v_mov_b32_e32 v63, s9
	v_mov_b32_e32 v64, s15
	v_add_f64 v[32:33], v[37:38], -v[57:58]
	v_add_f64 v[34:35], v[39:40], -v[59:60]
	v_lshlrev_b64 v[36:37], 4, v[29:30]
	v_add_u32_e32 v29, s31, v31
	v_lshlrev_b64 v[38:39], 4, v[29:30]
	v_add_co_u32_e32 v31, vcc, s8, v36
	s_waitcnt vmcnt(1)
	v_add_f64 v[4:5], v[4:5], v[8:9]
	v_add_f64 v[6:7], v[6:7], v[10:11]
	s_waitcnt vmcnt(0)
	v_add_f64 v[8:9], v[32:33], v[16:17]
	v_add_f64 v[10:11], v[34:35], v[18:19]
	v_addc_co_u32_e32 v32, vcc, v85, v37, vcc
	v_add_co_u32_e32 v33, vcc, s8, v38
	v_addc_co_u32_e32 v34, vcc, v63, v39, vcc
	v_add_co_u32_e32 v16, vcc, s14, v61
	global_store_dwordx4 v[69:70], v[4:7], off
	global_store_dwordx4 v[71:72], v[8:11], off
	v_addc_co_u32_e32 v17, vcc, v64, v62, vcc
	global_load_dwordx4 v[4:7], v[31:32], off
	global_load_dwordx4 v[8:11], v[33:34], off
	v_mul_f64 v[35:36], v[2:3], -v[22:23]
	global_load_dwordx4 v[16:19], v[16:17], off
	v_mul_f64 v[2:3], v[2:3], v[20:21]
	v_mul_f64 v[37:38], v[79:80], v[47:48]
	v_fma_f64 v[20:21], v[20:21], v[0:1], v[35:36]
	v_mul_f64 v[35:36], v[47:48], -v[77:78]
	v_fma_f64 v[0:1], v[22:23], v[0:1], v[2:3]
	v_mul_f64 v[2:3], v[73:74], v[45:46]
	v_mul_f64 v[22:23], v[45:46], -v[75:76]
	v_mul_f64 v[45:46], v[73:74], v[51:52]
	v_mul_f64 v[47:48], v[51:52], -v[75:76]
	v_mul_f64 v[51:52], v[55:56], -v[77:78]
	v_mul_f64 v[39:40], v[14:15], v[20:21]
	v_mul_f64 v[55:56], v[79:80], v[55:56]
	v_mul_f64 v[14:15], v[14:15], -v[0:1]
	v_fma_f64 v[2:3], -v[75:76], v[41:42], v[2:3]
	v_fma_f64 v[22:23], -v[73:74], v[41:42], v[22:23]
	v_fma_f64 v[0:1], v[0:1], v[12:13], v[39:40]
	v_fma_f64 v[39:40], v[79:80], v[53:54], v[51:52]
	;; [unrolled: 1-line block ×5, first 2 shown]
	v_fma_f64 v[35:36], -v[75:76], v[49:50], v[45:46]
	v_fma_f64 v[37:38], -v[73:74], v[49:50], v[47:48]
	v_fma_f64 v[41:42], v[77:78], v[53:54], v[55:56]
	v_mul_f64 v[43:44], v[24:25], -v[0:1]
	v_mul_f64 v[24:25], v[24:25], v[12:13]
	v_add_f64 v[2:3], v[2:3], -v[14:15]
	v_add_f64 v[14:15], v[22:23], -v[20:21]
	;; [unrolled: 1-line block ×4, first 2 shown]
	v_fma_f64 v[12:13], v[12:13], v[26:27], v[43:44]
	v_fma_f64 v[24:25], v[0:1], v[26:27], v[24:25]
	s_waitcnt vmcnt(2)
	v_add_f64 v[0:1], v[2:3], v[4:5]
	v_add_f64 v[2:3], v[14:15], v[6:7]
	s_waitcnt vmcnt(1)
	v_add_f64 v[4:5], v[20:21], v[8:9]
	v_add_f64 v[6:7], v[22:23], v[10:11]
	s_waitcnt vmcnt(0)
	v_add_f64 v[10:11], v[16:17], -v[12:13]
	v_add_f64 v[8:9], v[18:19], -v[24:25]
	global_store_dwordx4 v[31:32], v[0:3], off
	global_store_dwordx4 v[33:34], v[4:7], off
.LBB339_16:                             ;   in Loop: Header=BB339_5 Depth=1
	s_or_b64 exec, exec, s[4:5]
	v_mov_b32_e32 v2, v8
	v_mov_b32_e32 v0, v10
	;; [unrolled: 1-line block ×4, first 2 shown]
                                        ; implicit-def: $vgpr4_vgpr5
                                        ; implicit-def: $vgpr16_vgpr17
                                        ; implicit-def: $vgpr8_vgpr9
                                        ; implicit-def: $vgpr31_vgpr32
                                        ; implicit-def: $vgpr33_vgpr34
                                        ; implicit-def: $vgpr24
                                        ; implicit-def: $vgpr37
                                        ; implicit-def: $vgpr35
.LBB339_17:                             ;   in Loop: Header=BB339_5 Depth=1
	s_or_saveexec_b64 s[2:3], s[20:21]
	v_mov_b32_e32 v10, s27
	s_xor_b64 exec, exec, s[2:3]
	s_cbranch_execz .LBB339_4
; %bb.18:                               ;   in Loop: Header=BB339_5 Depth=1
	v_mul_f64 v[10:11], v[2:3], v[2:3]
	v_mov_b32_e32 v25, v30
	v_lshlrev_b64 v[12:13], 4, v[24:25]
	v_mov_b32_e32 v22, s9
	v_mov_b32_e32 v38, v30
	;; [unrolled: 1-line block ×3, first 2 shown]
	v_lshlrev_b64 v[20:21], 4, v[37:38]
	v_mov_b32_e32 v36, v30
	v_fma_f64 v[14:15], v[0:1], v[0:1], v[10:11]
	v_lshlrev_b64 v[10:11], 4, v[29:30]
	v_mov_b32_e32 v29, s9
	v_add_co_u32_e32 v45, vcc, s8, v10
	v_addc_co_u32_e32 v46, vcc, v22, v11, vcc
	v_add_co_u32_e32 v47, vcc, s8, v12
	v_div_scale_f64 v[26:27], s[4:5], v[14:15], v[14:15], 1.0
	v_addc_co_u32_e32 v48, vcc, v23, v13, vcc
	v_lshlrev_b64 v[35:36], 4, v[35:36]
	v_add_co_u32_e32 v49, vcc, s8, v20
	v_addc_co_u32_e32 v50, vcc, v29, v21, vcc
	v_mov_b32_e32 v41, s9
	v_add_co_u32_e32 v53, vcc, s8, v35
	v_addc_co_u32_e32 v54, vcc, v41, v36, vcc
	global_load_dwordx4 v[10:13], v[45:46], off
	global_load_dwordx4 v[20:23], v[47:48], off
	;; [unrolled: 1-line block ×4, first 2 shown]
	v_rcp_f64_e32 v[24:25], v[26:27]
	v_div_scale_f64 v[35:36], vcc, 1.0, v[14:15], 1.0
	v_fma_f64 v[51:52], -v[26:27], v[24:25], 1.0
	v_fma_f64 v[24:25], v[24:25], v[51:52], v[24:25]
	v_fma_f64 v[51:52], -v[26:27], v[24:25], 1.0
	v_fma_f64 v[24:25], v[24:25], v[51:52], v[24:25]
	v_mul_f64 v[51:52], v[35:36], v[24:25]
	v_fma_f64 v[26:27], -v[26:27], v[51:52], v[35:36]
	v_div_fmas_f64 v[24:25], v[26:27], v[24:25], v[51:52]
	v_fma_f64 v[26:27], v[0:1], 0, -v[2:3]
	v_fma_f64 v[0:1], v[2:3], 0, v[0:1]
	v_div_fixup_f64 v[14:15], v[24:25], v[14:15], 1.0
	v_mul_f64 v[35:36], v[26:27], v[14:15]
	v_mul_f64 v[14:15], v[0:1], v[14:15]
	s_waitcnt vmcnt(3)
	v_mul_f64 v[0:1], v[35:36], -v[12:13]
	v_mul_f64 v[2:3], v[35:36], v[10:11]
	s_waitcnt vmcnt(2)
	v_mul_f64 v[51:52], v[35:36], -v[22:23]
	;; [unrolled: 3-line block ×4, first 2 shown]
	v_mul_f64 v[63:64], v[35:36], v[41:42]
	v_fma_f64 v[24:25], v[10:11], v[14:15], v[0:1]
	v_fma_f64 v[26:27], v[12:13], v[14:15], v[2:3]
	;; [unrolled: 1-line block ×8, first 2 shown]
	global_store_dwordx4 v[45:46], v[24:27], off
	global_store_dwordx4 v[47:48], v[20:23], off
	;; [unrolled: 1-line block ×4, first 2 shown]
	s_and_saveexec_b64 s[4:5], s[0:1]
	s_cbranch_execz .LBB339_3
; %bb.19:                               ;   in Loop: Header=BB339_5 Depth=1
	v_add_u32_e32 v51, v65, v66
	v_add_u32_e32 v29, s28, v51
	v_lshlrev_b64 v[37:38], 4, v[29:30]
	v_mov_b32_e32 v29, s9
	v_add_co_u32_e32 v45, vcc, s8, v37
	v_addc_co_u32_e32 v46, vcc, v29, v38, vcc
	v_add_u32_e32 v29, s29, v51
	v_lshlrev_b64 v[41:42], 4, v[29:30]
	v_mov_b32_e32 v29, s9
	v_add_co_u32_e32 v47, vcc, s8, v41
	global_load_dwordx4 v[37:40], v[45:46], off
	v_addc_co_u32_e32 v48, vcc, v29, v42, vcc
	global_load_dwordx4 v[41:44], v[47:48], off
	v_add_u32_e32 v29, s30, v51
	v_lshlrev_b64 v[49:50], 4, v[29:30]
	v_add_u32_e32 v29, s31, v51
	v_mov_b32_e32 v53, s9
	v_lshlrev_b64 v[51:52], 4, v[29:30]
	v_mov_b32_e32 v54, s9
	s_waitcnt vmcnt(1)
	v_fma_f64 v[37:38], -v[4:5], v[24:25], v[37:38]
	v_fma_f64 v[39:40], -v[6:7], v[24:25], v[39:40]
	s_waitcnt vmcnt(0)
	v_fma_f64 v[41:42], -v[4:5], v[20:21], v[41:42]
	v_fma_f64 v[43:44], -v[6:7], v[20:21], v[43:44]
	v_fma_f64 v[24:25], v[6:7], v[26:27], v[37:38]
	v_fma_f64 v[26:27], -v[4:5], v[26:27], v[39:40]
	v_add_co_u32_e32 v37, vcc, s8, v49
	v_fma_f64 v[20:21], v[6:7], v[22:23], v[41:42]
	v_fma_f64 v[22:23], -v[4:5], v[22:23], v[43:44]
	v_addc_co_u32_e32 v38, vcc, v53, v50, vcc
	v_add_co_u32_e32 v39, vcc, s8, v51
	global_store_dwordx4 v[45:46], v[24:27], off
	v_addc_co_u32_e32 v40, vcc, v54, v52, vcc
	global_load_dwordx4 v[24:27], v[37:38], off
	s_nop 0
	global_store_dwordx4 v[47:48], v[20:23], off
	global_load_dwordx4 v[20:23], v[39:40], off
	s_waitcnt vmcnt(2)
	v_fma_f64 v[24:25], -v[4:5], v[10:11], v[24:25]
	v_fma_f64 v[26:27], -v[6:7], v[10:11], v[26:27]
	s_waitcnt vmcnt(0)
	v_fma_f64 v[20:21], -v[4:5], v[0:1], v[20:21]
	v_fma_f64 v[22:23], -v[6:7], v[0:1], v[22:23]
	v_fma_f64 v[10:11], v[6:7], v[12:13], v[24:25]
	v_fma_f64 v[12:13], -v[4:5], v[12:13], v[26:27]
	v_fma_f64 v[0:1], v[6:7], v[2:3], v[20:21]
	v_fma_f64 v[2:3], -v[4:5], v[2:3], v[22:23]
	global_store_dwordx4 v[37:38], v[10:13], off
	global_store_dwordx4 v[39:40], v[0:3], off
	s_branch .LBB339_3
.LBB339_20:
	s_or_b64 exec, exec, s[18:19]
	s_branch .LBB339_22
.LBB339_21:
	v_mov_b32_e32 v66, 0
.LBB339_22:
	v_subrev_u32_e32 v2, s22, v66
	v_add_u32_e32 v0, v2, v28
	v_ashrrev_i32_e32 v1, 31, v0
	v_lshlrev_b64 v[0:1], 2, v[0:1]
	s_waitcnt lgkmcnt(0)
	v_mov_b32_e32 v3, s17
	v_add_co_u32_e32 v0, vcc, s16, v0
	v_addc_co_u32_e32 v1, vcc, v3, v1, vcc
	s_waitcnt vmcnt(0)
	buffer_wbinvl1_vol
	global_load_dword v0, v[0:1], off
	s_waitcnt vmcnt(0)
	v_mul_lo_u32 v0, v0, s22
	v_sub_u32_e32 v8, v2, v0
	v_cmp_lt_i32_e32 vcc, -1, v8
	s_and_b64 exec, exec, vcc
	s_cbranch_execz .LBB339_29
; %bb.23:
	s_lshl_b32 s4, s24, 2
	s_add_i32 s5, s4, s23
	s_add_i32 s6, s5, s23
	;; [unrolled: 1-line block ×3, first 2 shown]
	s_lshl_b32 s12, s22, 1
	s_mov_b64 s[0:1], 0
	v_mov_b32_e32 v9, s17
	v_mov_b32_e32 v10, s11
	;; [unrolled: 1-line block ×3, first 2 shown]
	s_branch .LBB339_25
.LBB339_24:                             ;   in Loop: Header=BB339_25 Depth=1
	s_or_b64 exec, exec, s[2:3]
	v_sub_u32_e32 v8, v8, v4
	v_cmp_gt_i32_e32 vcc, 0, v8
	s_or_b64 s[0:1], vcc, s[0:1]
	s_andn2_b64 exec, exec, s[0:1]
	s_cbranch_execz .LBB339_29
.LBB339_25:                             ; =>This Inner Loop Header: Depth=1
	v_add_u32_e32 v6, v8, v28
	v_ashrrev_i32_e32 v7, 31, v6
	s_waitcnt vmcnt(0)
	v_lshlrev_b64 v[0:1], 2, v[6:7]
	v_add_co_u32_e32 v0, vcc, s16, v0
	v_addc_co_u32_e32 v1, vcc, v9, v1, vcc
	global_load_dword v4, v[0:1], off
	v_lshlrev_b64 v[0:1], 4, v[6:7]
	v_add_co_u32_e32 v0, vcc, s10, v0
	v_addc_co_u32_e32 v1, vcc, v10, v1, vcc
	global_load_dwordx4 v[0:3], v[0:1], off
	s_waitcnt vmcnt(1)
	v_cmp_ne_u32_e32 vcc, 1, v4
	s_and_saveexec_b64 s[2:3], vcc
	s_xor_b64 s[2:3], exec, s[2:3]
	s_cbranch_execz .LBB339_27
; %bb.26:                               ;   in Loop: Header=BB339_25 Depth=1
	v_add_u32_e32 v7, v65, v8
	v_add_u32_e32 v4, s4, v7
	v_lshlrev_b64 v[11:12], 4, v[4:5]
	v_mov_b32_e32 v4, s9
	v_add_co_u32_e32 v11, vcc, s8, v11
	v_addc_co_u32_e32 v12, vcc, v4, v12, vcc
	v_add_u32_e32 v4, s5, v7
	v_lshlrev_b64 v[19:20], 4, v[4:5]
	v_add_u32_e32 v4, s6, v7
	v_lshlrev_b64 v[23:24], 4, v[4:5]
	;; [unrolled: 2-line block ×4, first 2 shown]
	v_mov_b32_e32 v4, s9
	v_add_co_u32_e32 v33, vcc, s8, v15
	v_addc_co_u32_e32 v34, vcc, v4, v16, vcc
	global_load_dwordx4 v[11:14], v[11:12], off
	v_add_co_u32_e32 v19, vcc, s8, v19
	global_load_dwordx4 v[15:18], v[33:34], off
	v_addc_co_u32_e32 v20, vcc, v4, v20, vcc
	global_load_dwordx4 v[19:22], v[19:20], off
	v_mov_b32_e32 v7, s9
	v_add_co_u32_e32 v35, vcc, s8, v23
	v_addc_co_u32_e32 v36, vcc, v7, v24, vcc
	v_add_u32_e32 v4, s5, v6
	v_mov_b32_e32 v27, s9
	v_add_co_u32_e32 v37, vcc, s8, v25
	v_lshlrev_b64 v[39:40], 4, v[4:5]
	v_addc_co_u32_e32 v38, vcc, v27, v26, vcc
	v_mov_b32_e32 v41, s9
	global_load_dwordx4 v[23:26], v[35:36], off
	global_load_dwordx4 v[29:32], v[37:38], off
	v_add_co_u32_e32 v35, vcc, s8, v39
	v_addc_co_u32_e32 v36, vcc, v41, v40, vcc
	v_add_u32_e32 v4, s6, v6
	s_waitcnt vmcnt(3)
	v_fma_f64 v[15:16], -v[0:1], v[11:12], v[15:16]
	v_fma_f64 v[17:18], -v[2:3], v[11:12], v[17:18]
	v_fma_f64 v[15:16], v[2:3], v[13:14], v[15:16]
	v_fma_f64 v[17:18], -v[0:1], v[13:14], v[17:18]
	global_store_dwordx4 v[33:34], v[15:18], off
	global_load_dwordx4 v[15:18], v[35:36], off
	v_lshlrev_b64 v[33:34], 4, v[4:5]
	v_add_u32_e32 v4, s7, v6
	v_add_co_u32_e32 v33, vcc, s8, v33
	v_addc_co_u32_e32 v34, vcc, v7, v34, vcc
	v_lshlrev_b64 v[6:7], 4, v[4:5]
	v_subrev_u32_e32 v4, s22, v8
	v_add_co_u32_e32 v6, vcc, s8, v6
	v_addc_co_u32_e32 v7, vcc, v27, v7, vcc
	v_mov_b32_e32 v27, s11
	s_waitcnt vmcnt(0)
	v_fma_f64 v[15:16], -v[0:1], v[19:20], v[15:16]
	v_fma_f64 v[17:18], -v[2:3], v[19:20], v[17:18]
	v_fma_f64 v[15:16], v[2:3], v[21:22], v[15:16]
	v_fma_f64 v[17:18], -v[0:1], v[21:22], v[17:18]
	global_store_dwordx4 v[35:36], v[15:18], off
	global_load_dwordx4 v[15:18], v[33:34], off
	v_mov_b32_e32 v36, s9
	s_waitcnt vmcnt(0)
	v_fma_f64 v[15:16], -v[0:1], v[23:24], v[15:16]
	v_fma_f64 v[17:18], -v[2:3], v[23:24], v[17:18]
	v_fma_f64 v[15:16], v[2:3], v[25:26], v[15:16]
	v_fma_f64 v[17:18], -v[0:1], v[25:26], v[17:18]
	global_store_dwordx4 v[33:34], v[15:18], off
	global_load_dwordx4 v[15:18], v[6:7], off
	v_add_u32_e32 v33, v4, v28
	v_ashrrev_i32_e32 v34, 31, v33
	v_lshlrev_b64 v[34:35], 4, v[33:34]
	v_add_u32_e32 v4, s4, v33
	v_add_co_u32_e32 v34, vcc, s10, v34
	v_addc_co_u32_e32 v35, vcc, v27, v35, vcc
	s_waitcnt vmcnt(0)
	v_fma_f64 v[15:16], -v[0:1], v[29:30], v[15:16]
	v_fma_f64 v[17:18], -v[2:3], v[29:30], v[17:18]
	v_fma_f64 v[15:16], v[2:3], v[31:32], v[15:16]
	v_fma_f64 v[17:18], -v[0:1], v[31:32], v[17:18]
	global_load_dwordx4 v[0:3], v[34:35], off
	v_lshlrev_b64 v[34:35], 4, v[4:5]
	v_add_u32_e32 v4, s5, v33
	v_add_co_u32_e32 v34, vcc, s8, v34
	v_addc_co_u32_e32 v35, vcc, v36, v35, vcc
	global_store_dwordx4 v[6:7], v[15:18], off
	global_load_dwordx4 v[15:18], v[34:35], off
	s_waitcnt vmcnt(0)
	v_fma_f64 v[6:7], -v[0:1], v[11:12], v[15:16]
	v_fma_f64 v[15:16], -v[2:3], v[11:12], v[17:18]
	v_mov_b32_e32 v17, s9
	v_fma_f64 v[11:12], v[2:3], v[13:14], v[6:7]
	v_fma_f64 v[13:14], -v[0:1], v[13:14], v[15:16]
	v_lshlrev_b64 v[6:7], 4, v[4:5]
	v_mov_b32_e32 v15, s9
	v_add_co_u32_e32 v6, vcc, s8, v6
	v_addc_co_u32_e32 v7, vcc, v15, v7, vcc
	v_add_u32_e32 v4, s6, v33
	global_store_dwordx4 v[34:35], v[11:14], off
	global_load_dwordx4 v[11:14], v[6:7], off
	v_lshlrev_b64 v[15:16], 4, v[4:5]
	v_add_u32_e32 v4, s7, v33
	v_add_co_u32_e32 v15, vcc, s8, v15
	v_addc_co_u32_e32 v16, vcc, v17, v16, vcc
	s_waitcnt vmcnt(0)
	v_fma_f64 v[11:12], -v[0:1], v[19:20], v[11:12]
	v_fma_f64 v[13:14], -v[2:3], v[19:20], v[13:14]
	v_fma_f64 v[11:12], v[2:3], v[21:22], v[11:12]
	v_fma_f64 v[13:14], -v[0:1], v[21:22], v[13:14]
	global_store_dwordx4 v[6:7], v[11:14], off
	global_load_dwordx4 v[11:14], v[15:16], off
	s_waitcnt vmcnt(0)
	v_fma_f64 v[6:7], -v[0:1], v[23:24], v[11:12]
	v_fma_f64 v[13:14], -v[2:3], v[23:24], v[13:14]
	v_fma_f64 v[11:12], v[2:3], v[25:26], v[6:7]
	v_fma_f64 v[13:14], -v[0:1], v[25:26], v[13:14]
	v_lshlrev_b64 v[6:7], 4, v[4:5]
	v_add_co_u32_e32 v6, vcc, s8, v6
	v_addc_co_u32_e32 v7, vcc, v17, v7, vcc
	global_store_dwordx4 v[15:16], v[11:14], off
	global_load_dwordx4 v[11:14], v[6:7], off
	s_waitcnt vmcnt(0)
	v_fma_f64 v[11:12], -v[0:1], v[29:30], v[11:12]
	v_fma_f64 v[13:14], -v[2:3], v[29:30], v[13:14]
	v_fma_f64 v[11:12], v[2:3], v[31:32], v[11:12]
	v_fma_f64 v[13:14], -v[0:1], v[31:32], v[13:14]
                                        ; implicit-def: $vgpr0_vgpr1
	global_store_dwordx4 v[6:7], v[11:14], off
                                        ; implicit-def: $vgpr6
.LBB339_27:                             ;   in Loop: Header=BB339_25 Depth=1
	s_or_saveexec_b64 s[2:3], s[2:3]
	v_mov_b32_e32 v4, s12
	s_xor_b64 exec, exec, s[2:3]
	s_cbranch_execz .LBB339_24
; %bb.28:                               ;   in Loop: Header=BB339_25 Depth=1
	v_add_u32_e32 v7, v65, v8
	v_add_u32_e32 v4, s4, v7
	v_lshlrev_b64 v[11:12], 4, v[4:5]
	v_mov_b32_e32 v4, s9
	v_add_co_u32_e32 v19, vcc, s8, v11
	v_addc_co_u32_e32 v20, vcc, v4, v12, vcc
	v_add_u32_e32 v4, s4, v6
	v_lshlrev_b64 v[11:12], 4, v[4:5]
	v_mov_b32_e32 v4, s9
	v_add_co_u32_e32 v21, vcc, s8, v11
	v_addc_co_u32_e32 v22, vcc, v4, v12, vcc
	global_load_dwordx4 v[11:14], v[19:20], off
	global_load_dwordx4 v[15:18], v[21:22], off
	v_add_u32_e32 v4, s5, v7
	v_lshlrev_b64 v[19:20], 4, v[4:5]
	v_add_u32_e32 v4, s5, v6
	v_mov_b32_e32 v25, s9
	v_lshlrev_b64 v[23:24], 4, v[4:5]
	v_add_co_u32_e32 v19, vcc, s8, v19
	v_addc_co_u32_e32 v20, vcc, v25, v20, vcc
	v_mov_b32_e32 v26, s9
	v_add_co_u32_e32 v23, vcc, s8, v23
	v_addc_co_u32_e32 v24, vcc, v26, v24, vcc
	v_add_u32_e32 v4, s6, v7
	s_waitcnt vmcnt(0)
	v_fma_f64 v[15:16], -v[0:1], v[11:12], v[15:16]
	v_fma_f64 v[17:18], -v[2:3], v[11:12], v[17:18]
	v_fma_f64 v[11:12], v[2:3], v[13:14], v[15:16]
	v_fma_f64 v[13:14], -v[0:1], v[13:14], v[17:18]
	global_store_dwordx4 v[21:22], v[11:14], off
	global_load_dwordx4 v[11:14], v[19:20], off
	s_nop 0
	global_load_dwordx4 v[15:18], v[23:24], off
	v_lshlrev_b64 v[19:20], 4, v[4:5]
	v_add_u32_e32 v4, s6, v6
	v_lshlrev_b64 v[21:22], 4, v[4:5]
	v_add_co_u32_e32 v19, vcc, s8, v19
	v_addc_co_u32_e32 v20, vcc, v25, v20, vcc
	v_add_co_u32_e32 v21, vcc, s8, v21
	v_addc_co_u32_e32 v22, vcc, v26, v22, vcc
	v_add_u32_e32 v4, s7, v7
	s_waitcnt vmcnt(0)
	v_fma_f64 v[15:16], -v[0:1], v[11:12], v[15:16]
	v_fma_f64 v[17:18], -v[2:3], v[11:12], v[17:18]
	v_fma_f64 v[11:12], v[2:3], v[13:14], v[15:16]
	v_fma_f64 v[13:14], -v[0:1], v[13:14], v[17:18]
	global_store_dwordx4 v[23:24], v[11:14], off
	global_load_dwordx4 v[11:14], v[19:20], off
	s_nop 0
	global_load_dwordx4 v[15:18], v[21:22], off
	v_lshlrev_b64 v[19:20], 4, v[4:5]
	v_add_u32_e32 v4, s7, v6
	v_mov_b32_e32 v23, s9
	v_lshlrev_b64 v[6:7], 4, v[4:5]
	v_add_co_u32_e32 v19, vcc, s8, v19
	v_addc_co_u32_e32 v20, vcc, v23, v20, vcc
	v_mov_b32_e32 v24, s9
	v_add_co_u32_e32 v6, vcc, s8, v6
	v_addc_co_u32_e32 v7, vcc, v24, v7, vcc
	v_mov_b32_e32 v4, s22
	s_waitcnt vmcnt(0)
	v_fma_f64 v[15:16], -v[0:1], v[11:12], v[15:16]
	v_fma_f64 v[17:18], -v[2:3], v[11:12], v[17:18]
	v_fma_f64 v[11:12], v[2:3], v[13:14], v[15:16]
	v_fma_f64 v[13:14], -v[0:1], v[13:14], v[17:18]
	global_store_dwordx4 v[21:22], v[11:14], off
	global_load_dwordx4 v[11:14], v[19:20], off
	s_nop 0
	global_load_dwordx4 v[15:18], v[6:7], off
	s_waitcnt vmcnt(0)
	v_fma_f64 v[15:16], -v[0:1], v[11:12], v[15:16]
	v_fma_f64 v[17:18], -v[2:3], v[11:12], v[17:18]
	v_fma_f64 v[11:12], v[2:3], v[13:14], v[15:16]
	v_fma_f64 v[13:14], -v[0:1], v[13:14], v[17:18]
	global_store_dwordx4 v[6:7], v[11:14], off
	s_branch .LBB339_24
.LBB339_29:
	s_endpgm
	.section	.rodata,"a",@progbits
	.p2align	6, 0x0
	.amdhsa_kernel _ZN9rocsparseL19gtsv_LBM_rhs_kernelILj256ELj128ELj4E21rocsparse_complex_numIdEEEviiiPKT2_S5_S5_PS3_S5_PKi
		.amdhsa_group_segment_fixed_size 0
		.amdhsa_private_segment_fixed_size 0
		.amdhsa_kernarg_size 64
		.amdhsa_user_sgpr_count 6
		.amdhsa_user_sgpr_private_segment_buffer 1
		.amdhsa_user_sgpr_dispatch_ptr 0
		.amdhsa_user_sgpr_queue_ptr 0
		.amdhsa_user_sgpr_kernarg_segment_ptr 1
		.amdhsa_user_sgpr_dispatch_id 0
		.amdhsa_user_sgpr_flat_scratch_init 0
		.amdhsa_user_sgpr_private_segment_size 0
		.amdhsa_uses_dynamic_stack 0
		.amdhsa_system_sgpr_private_segment_wavefront_offset 0
		.amdhsa_system_sgpr_workgroup_id_x 1
		.amdhsa_system_sgpr_workgroup_id_y 1
		.amdhsa_system_sgpr_workgroup_id_z 0
		.amdhsa_system_sgpr_workgroup_info 0
		.amdhsa_system_vgpr_workitem_id 0
		.amdhsa_next_free_vgpr 93
		.amdhsa_next_free_sgpr 32
		.amdhsa_reserve_vcc 1
		.amdhsa_reserve_flat_scratch 0
		.amdhsa_float_round_mode_32 0
		.amdhsa_float_round_mode_16_64 0
		.amdhsa_float_denorm_mode_32 3
		.amdhsa_float_denorm_mode_16_64 3
		.amdhsa_dx10_clamp 1
		.amdhsa_ieee_mode 1
		.amdhsa_fp16_overflow 0
		.amdhsa_exception_fp_ieee_invalid_op 0
		.amdhsa_exception_fp_denorm_src 0
		.amdhsa_exception_fp_ieee_div_zero 0
		.amdhsa_exception_fp_ieee_overflow 0
		.amdhsa_exception_fp_ieee_underflow 0
		.amdhsa_exception_fp_ieee_inexact 0
		.amdhsa_exception_int_div_zero 0
	.end_amdhsa_kernel
	.section	.text._ZN9rocsparseL19gtsv_LBM_rhs_kernelILj256ELj128ELj4E21rocsparse_complex_numIdEEEviiiPKT2_S5_S5_PS3_S5_PKi,"axG",@progbits,_ZN9rocsparseL19gtsv_LBM_rhs_kernelILj256ELj128ELj4E21rocsparse_complex_numIdEEEviiiPKT2_S5_S5_PS3_S5_PKi,comdat
.Lfunc_end339:
	.size	_ZN9rocsparseL19gtsv_LBM_rhs_kernelILj256ELj128ELj4E21rocsparse_complex_numIdEEEviiiPKT2_S5_S5_PS3_S5_PKi, .Lfunc_end339-_ZN9rocsparseL19gtsv_LBM_rhs_kernelILj256ELj128ELj4E21rocsparse_complex_numIdEEEviiiPKT2_S5_S5_PS3_S5_PKi
                                        ; -- End function
	.set _ZN9rocsparseL19gtsv_LBM_rhs_kernelILj256ELj128ELj4E21rocsparse_complex_numIdEEEviiiPKT2_S5_S5_PS3_S5_PKi.num_vgpr, 93
	.set _ZN9rocsparseL19gtsv_LBM_rhs_kernelILj256ELj128ELj4E21rocsparse_complex_numIdEEEviiiPKT2_S5_S5_PS3_S5_PKi.num_agpr, 0
	.set _ZN9rocsparseL19gtsv_LBM_rhs_kernelILj256ELj128ELj4E21rocsparse_complex_numIdEEEviiiPKT2_S5_S5_PS3_S5_PKi.numbered_sgpr, 32
	.set _ZN9rocsparseL19gtsv_LBM_rhs_kernelILj256ELj128ELj4E21rocsparse_complex_numIdEEEviiiPKT2_S5_S5_PS3_S5_PKi.num_named_barrier, 0
	.set _ZN9rocsparseL19gtsv_LBM_rhs_kernelILj256ELj128ELj4E21rocsparse_complex_numIdEEEviiiPKT2_S5_S5_PS3_S5_PKi.private_seg_size, 0
	.set _ZN9rocsparseL19gtsv_LBM_rhs_kernelILj256ELj128ELj4E21rocsparse_complex_numIdEEEviiiPKT2_S5_S5_PS3_S5_PKi.uses_vcc, 1
	.set _ZN9rocsparseL19gtsv_LBM_rhs_kernelILj256ELj128ELj4E21rocsparse_complex_numIdEEEviiiPKT2_S5_S5_PS3_S5_PKi.uses_flat_scratch, 0
	.set _ZN9rocsparseL19gtsv_LBM_rhs_kernelILj256ELj128ELj4E21rocsparse_complex_numIdEEEviiiPKT2_S5_S5_PS3_S5_PKi.has_dyn_sized_stack, 0
	.set _ZN9rocsparseL19gtsv_LBM_rhs_kernelILj256ELj128ELj4E21rocsparse_complex_numIdEEEviiiPKT2_S5_S5_PS3_S5_PKi.has_recursion, 0
	.set _ZN9rocsparseL19gtsv_LBM_rhs_kernelILj256ELj128ELj4E21rocsparse_complex_numIdEEEviiiPKT2_S5_S5_PS3_S5_PKi.has_indirect_call, 0
	.section	.AMDGPU.csdata,"",@progbits
; Kernel info:
; codeLenInByte = 5192
; TotalNumSgprs: 36
; NumVgprs: 93
; ScratchSize: 0
; MemoryBound: 1
; FloatMode: 240
; IeeeMode: 1
; LDSByteSize: 0 bytes/workgroup (compile time only)
; SGPRBlocks: 4
; VGPRBlocks: 23
; NumSGPRsForWavesPerEU: 36
; NumVGPRsForWavesPerEU: 93
; Occupancy: 2
; WaveLimiterHint : 0
; COMPUTE_PGM_RSRC2:SCRATCH_EN: 0
; COMPUTE_PGM_RSRC2:USER_SGPR: 6
; COMPUTE_PGM_RSRC2:TRAP_HANDLER: 0
; COMPUTE_PGM_RSRC2:TGID_X_EN: 1
; COMPUTE_PGM_RSRC2:TGID_Y_EN: 1
; COMPUTE_PGM_RSRC2:TGID_Z_EN: 0
; COMPUTE_PGM_RSRC2:TIDIG_COMP_CNT: 0
	.section	.text._ZN9rocsparseL19gtsv_LBM_rhs_kernelILj256ELj128ELj2E21rocsparse_complex_numIdEEEviiiPKT2_S5_S5_PS3_S5_PKi,"axG",@progbits,_ZN9rocsparseL19gtsv_LBM_rhs_kernelILj256ELj128ELj2E21rocsparse_complex_numIdEEEviiiPKT2_S5_S5_PS3_S5_PKi,comdat
	.globl	_ZN9rocsparseL19gtsv_LBM_rhs_kernelILj256ELj128ELj2E21rocsparse_complex_numIdEEEviiiPKT2_S5_S5_PS3_S5_PKi ; -- Begin function _ZN9rocsparseL19gtsv_LBM_rhs_kernelILj256ELj128ELj2E21rocsparse_complex_numIdEEEviiiPKT2_S5_S5_PS3_S5_PKi
	.p2align	8
	.type	_ZN9rocsparseL19gtsv_LBM_rhs_kernelILj256ELj128ELj2E21rocsparse_complex_numIdEEEviiiPKT2_S5_S5_PS3_S5_PKi,@function
_ZN9rocsparseL19gtsv_LBM_rhs_kernelILj256ELj128ELj2E21rocsparse_complex_numIdEEEviiiPKT2_S5_S5_PS3_S5_PKi: ; @_ZN9rocsparseL19gtsv_LBM_rhs_kernelILj256ELj128ELj2E21rocsparse_complex_numIdEEEviiiPKT2_S5_S5_PS3_S5_PKi
; %bb.0:
	s_load_dword s25, s[4:5], 0x0
	v_lshl_or_b32 v24, s6, 8, v0
	s_waitcnt lgkmcnt(0)
	s_lshr_b32 s24, s25, 7
	v_cmp_gt_i32_e32 vcc, s24, v24
	s_and_saveexec_b64 s[0:1], vcc
	s_cbranch_execz .LBB340_29
; %bb.1:
	s_load_dwordx4 s[8:11], s[4:5], 0x28
	s_load_dwordx2 s[16:17], s[4:5], 0x38
	s_cmp_lt_i32 s25, 1
	v_add_u32_e32 v47, s24, v24
	s_mul_i32 s26, s7, s25
	s_cbranch_scc1 .LBB340_21
; %bb.2:
	s_load_dwordx4 s[12:15], s[4:5], 0x10
	s_load_dwordx2 s[18:19], s[4:5], 0x20
	v_ashrrev_i32_e32 v25, 31, v24
	v_lshlrev_b64 v[0:1], 4, v[24:25]
	s_lshl_b32 s30, s26, 1
	s_waitcnt lgkmcnt(0)
	v_mov_b32_e32 v2, s15
	v_add_co_u32_e32 v0, vcc, s14, v0
	v_addc_co_u32_e32 v1, vcc, v2, v1, vcc
	global_load_dwordx4 v[4:7], v[0:1], off
	s_mul_i32 s27, s24, 0x7f
	s_mul_i32 s28, s24, 0x7e
	s_lshl_b32 s29, s24, 1
	v_add_u32_e32 v49, s24, v47
	s_add_i32 s31, s30, s25
	v_mov_b32_e32 v26, 0
	s_mov_b64 s[20:21], 0
	v_mov_b32_e32 v50, s19
	v_mov_b32_e32 v48, 0
	s_branch .LBB340_5
.LBB340_3:                              ;   in Loop: Header=BB340_5 Depth=1
	s_or_b64 exec, exec, s[4:5]
	v_fma_f64 v[2:3], v[2:3], v[8:9], v[29:30]
	v_fma_f64 v[0:1], v[0:1], v[8:9], v[27:28]
	v_mul_f64 v[4:5], v[20:21], -v[2:3]
	v_mul_f64 v[6:7], v[20:21], v[0:1]
	v_fma_f64 v[0:1], v[0:1], v[10:11], v[4:5]
	v_fma_f64 v[2:3], v[2:3], v[10:11], v[6:7]
	v_mov_b32_e32 v10, s24
	v_add_f64 v[4:5], v[12:13], -v[0:1]
	v_add_f64 v[6:7], v[14:15], -v[2:3]
.LBB340_4:                              ;   in Loop: Header=BB340_5 Depth=1
	s_or_b64 exec, exec, s[2:3]
	v_add_u32_e32 v48, v10, v48
	v_cmp_le_i32_e32 vcc, s25, v48
	s_or_b64 s[20:21], vcc, s[20:21]
	s_andn2_b64 exec, exec, s[20:21]
	s_cbranch_execz .LBB340_20
.LBB340_5:                              ; =>This Inner Loop Header: Depth=1
	v_add_u32_e32 v31, v48, v24
	v_ashrrev_i32_e32 v32, 31, v31
	v_lshlrev_b64 v[0:1], 4, v[31:32]
	v_mov_b32_e32 v12, 0
	v_add_co_u32_e32 v0, vcc, s18, v0
	v_addc_co_u32_e32 v1, vcc, v50, v1, vcc
	global_load_dwordx4 v[8:11], v[0:1], off
	v_mov_b32_e32 v0, 0
	v_mov_b32_e32 v2, 0
	;; [unrolled: 1-line block ×5, first 2 shown]
	v_cmp_gt_u32_e64 s[0:1], s27, v48
	s_and_saveexec_b64 s[2:3], s[0:1]
	s_cbranch_execz .LBB340_7
; %bb.6:                                ;   in Loop: Header=BB340_5 Depth=1
	v_add_u32_e32 v0, v47, v48
	v_ashrrev_i32_e32 v1, 31, v0
	v_lshlrev_b64 v[0:1], 4, v[0:1]
	v_mov_b32_e32 v2, s13
	v_add_co_u32_e32 v0, vcc, s12, v0
	v_addc_co_u32_e32 v1, vcc, v2, v1, vcc
	global_load_dwordx4 v[0:3], v[0:1], off
.LBB340_7:                              ;   in Loop: Header=BB340_5 Depth=1
	s_or_b64 exec, exec, s[2:3]
	v_mov_b32_e32 v14, 0
	v_mov_b32_e32 v15, 0
	s_and_saveexec_b64 s[2:3], s[0:1]
	s_cbranch_execz .LBB340_9
; %bb.8:                                ;   in Loop: Header=BB340_5 Depth=1
	v_add_u32_e32 v12, v47, v48
	v_ashrrev_i32_e32 v13, 31, v12
	v_lshlrev_b64 v[12:13], 4, v[12:13]
	v_mov_b32_e32 v14, s15
	v_add_co_u32_e32 v12, vcc, s14, v12
	v_addc_co_u32_e32 v13, vcc, v14, v13, vcc
	global_load_dwordx4 v[12:15], v[12:13], off
.LBB340_9:                              ;   in Loop: Header=BB340_5 Depth=1
	s_or_b64 exec, exec, s[2:3]
	v_mov_b32_e32 v20, 0
	v_mov_b32_e32 v16, 0
	;; [unrolled: 1-line block ×6, first 2 shown]
	s_and_saveexec_b64 s[2:3], s[0:1]
	s_cbranch_execz .LBB340_11
; %bb.10:                               ;   in Loop: Header=BB340_5 Depth=1
	v_add_u32_e32 v16, v47, v48
	v_ashrrev_i32_e32 v17, 31, v16
	v_lshlrev_b64 v[16:17], 4, v[16:17]
	v_mov_b32_e32 v18, s19
	v_add_co_u32_e32 v16, vcc, s18, v16
	v_addc_co_u32_e32 v17, vcc, v18, v17, vcc
	global_load_dwordx4 v[16:19], v[16:17], off
.LBB340_11:                             ;   in Loop: Header=BB340_5 Depth=1
	s_or_b64 exec, exec, s[2:3]
	v_mov_b32_e32 v22, 0
	v_mov_b32_e32 v23, 0
	v_cmp_gt_u32_e64 s[2:3], s28, v48
	s_and_saveexec_b64 s[4:5], s[2:3]
	s_cbranch_execz .LBB340_13
; %bb.12:                               ;   in Loop: Header=BB340_5 Depth=1
	v_add_u32_e32 v20, v49, v48
	v_ashrrev_i32_e32 v21, 31, v20
	v_lshlrev_b64 v[20:21], 4, v[20:21]
	v_mov_b32_e32 v22, s13
	v_add_co_u32_e32 v20, vcc, s12, v20
	v_addc_co_u32_e32 v21, vcc, v22, v21, vcc
	global_load_dwordx4 v[20:23], v[20:21], off
.LBB340_13:                             ;   in Loop: Header=BB340_5 Depth=1
	s_or_b64 exec, exec, s[4:5]
	v_lshlrev_b64 v[27:28], 2, v[31:32]
	v_mov_b32_e32 v25, s17
	v_add_co_u32_e32 v27, vcc, s16, v27
	v_addc_co_u32_e32 v28, vcc, v25, v28, vcc
	global_load_dword v32, v[27:28], off
	s_waitcnt vmcnt(1)
	v_mul_f64 v[27:28], v[10:11], -v[2:3]
	v_mul_f64 v[29:30], v[10:11], v[0:1]
	v_cmp_ne_u32_e32 vcc, s27, v48
	v_add_u32_e32 v25, s30, v31
	v_add_u32_e32 v31, s31, v31
	s_waitcnt vmcnt(0)
	v_cmp_ne_u32_e64 s[4:5], 1, v32
	s_and_b64 s[4:5], vcc, s[4:5]
	s_and_saveexec_b64 s[6:7], s[4:5]
	s_xor_b64 s[22:23], exec, s[6:7]
	s_cbranch_execz .LBB340_17
; %bb.14:                               ;   in Loop: Header=BB340_5 Depth=1
	v_mul_f64 v[32:33], v[4:5], v[14:15]
	v_mul_f64 v[34:35], v[14:15], -v[6:7]
	v_fma_f64 v[29:30], v[2:3], v[8:9], v[29:30]
	v_fma_f64 v[27:28], v[0:1], v[8:9], v[27:28]
	v_lshlrev_b64 v[39:40], 4, v[25:26]
	v_mov_b32_e32 v53, s9
	v_add_u32_e32 v54, v47, v48
	v_add_u32_e32 v25, s30, v54
	v_fma_f64 v[32:33], v[6:7], v[12:13], v[32:33]
	v_fma_f64 v[34:35], v[4:5], v[12:13], v[34:35]
	v_mov_b32_e32 v58, s9
	v_mov_b32_e32 v57, s9
	;; [unrolled: 1-line block ×3, first 2 shown]
	v_add_f64 v[29:30], v[32:33], -v[29:30]
	v_add_f64 v[27:28], v[34:35], -v[27:28]
	v_mul_f64 v[32:33], v[29:30], v[29:30]
	v_fma_f64 v[35:36], v[27:28], v[27:28], v[32:33]
	v_mov_b32_e32 v32, v26
	v_lshlrev_b64 v[43:44], 4, v[31:32]
	v_div_scale_f64 v[41:42], s[4:5], v[35:36], v[35:36], 1.0
	v_div_scale_f64 v[45:46], vcc, 1.0, v[35:36], 1.0
	v_add_co_u32_e64 v55, s[4:5], s8, v39
	v_addc_co_u32_e64 v56, s[4:5], v53, v40, s[4:5]
	v_lshlrev_b64 v[39:40], 4, v[25:26]
	v_add_u32_e32 v25, s31, v54
	v_add_co_u32_e64 v61, s[6:7], s8, v39
	v_addc_co_u32_e64 v62, s[6:7], v58, v40, s[6:7]
	v_add_co_u32_e64 v59, s[4:5], s8, v43
	v_rcp_f64_e32 v[33:34], v[41:42]
	v_addc_co_u32_e64 v60, s[4:5], v57, v44, s[4:5]
	v_lshlrev_b64 v[43:44], 4, v[25:26]
	v_add_co_u32_e64 v63, s[4:5], s8, v43
	v_addc_co_u32_e64 v64, s[4:5], v64, v44, s[4:5]
	v_fma_f64 v[37:38], -v[41:42], v[33:34], 1.0
	v_fma_f64 v[37:38], v[33:34], v[37:38], v[33:34]
	global_load_dwordx4 v[31:34], v[55:56], off
	v_fma_f64 v[51:52], -v[41:42], v[37:38], 1.0
	v_fma_f64 v[51:52], v[37:38], v[51:52], v[37:38]
	global_load_dwordx4 v[37:40], v[61:62], off
	v_mul_f64 v[53:54], v[45:46], v[51:52]
	v_fma_f64 v[45:46], -v[41:42], v[53:54], v[45:46]
	global_load_dwordx4 v[41:44], v[59:60], off
	v_div_fmas_f64 v[45:46], v[45:46], v[51:52], v[53:54]
	global_load_dwordx4 v[51:54], v[63:64], off
	v_div_fixup_f64 v[35:36], v[45:46], v[35:36], 1.0
	v_fma_f64 v[45:46], v[27:28], 0, -v[29:30]
	v_fma_f64 v[27:28], v[29:30], 0, v[27:28]
	v_mul_f64 v[29:30], v[45:46], v[35:36]
	v_mul_f64 v[27:28], v[27:28], v[35:36]
	s_waitcnt vmcnt(3)
	v_mul_f64 v[35:36], v[29:30], -v[33:34]
	v_mul_f64 v[45:46], v[29:30], v[31:32]
	v_fma_f64 v[31:32], v[31:32], v[27:28], v[35:36]
	v_fma_f64 v[35:36], v[33:34], v[27:28], v[45:46]
	s_waitcnt vmcnt(2)
	v_mul_f64 v[33:34], v[29:30], -v[39:40]
	v_mul_f64 v[45:46], v[29:30], v[37:38]
	v_fma_f64 v[33:34], v[37:38], v[27:28], v[33:34]
	v_fma_f64 v[37:38], v[39:40], v[27:28], v[45:46]
	;; [unrolled: 5-line block ×3, first 2 shown]
	s_waitcnt vmcnt(0)
	v_mul_f64 v[41:42], v[29:30], -v[53:54]
	v_mul_f64 v[45:46], v[29:30], v[51:52]
	v_mul_f64 v[57:58], v[43:44], -v[14:15]
	v_fma_f64 v[41:42], v[51:52], v[27:28], v[41:42]
	v_mul_f64 v[51:52], v[35:36], -v[14:15]
	v_fma_f64 v[45:46], v[53:54], v[27:28], v[45:46]
	v_mul_f64 v[53:54], v[12:13], v[35:36]
	v_fma_f64 v[57:58], v[12:13], v[39:40], v[57:58]
	v_fma_f64 v[51:52], v[12:13], v[31:32], v[51:52]
	v_mul_f64 v[12:13], v[12:13], v[43:44]
	v_fma_f64 v[53:54], v[14:15], v[31:32], v[53:54]
	v_fma_f64 v[65:66], v[14:15], v[39:40], v[12:13]
	v_mul_f64 v[12:13], v[37:38], -v[10:11]
	v_mul_f64 v[14:15], v[8:9], v[37:38]
	v_fma_f64 v[12:13], v[8:9], v[33:34], v[12:13]
	v_fma_f64 v[14:15], v[10:11], v[33:34], v[14:15]
	v_add_f64 v[12:13], v[51:52], -v[12:13]
	v_mul_f64 v[51:52], v[45:46], -v[10:11]
	v_add_f64 v[14:15], v[53:54], -v[14:15]
	v_mul_f64 v[53:54], v[35:36], -v[0:1]
	v_fma_f64 v[51:52], v[8:9], v[41:42], v[51:52]
	v_mul_f64 v[8:9], v[8:9], v[45:46]
	global_store_dwordx4 v[55:56], v[12:15], off
	v_mul_f64 v[55:56], v[37:38], -v[6:7]
	v_mul_f64 v[14:15], v[2:3], v[35:36]
	v_fma_f64 v[53:54], -v[2:3], v[31:32], v[53:54]
	v_fma_f64 v[8:9], v[10:11], v[41:42], v[8:9]
	v_add_f64 v[10:11], v[57:58], -v[51:52]
	v_fma_f64 v[51:52], v[4:5], v[33:34], v[55:56]
	v_fma_f64 v[14:15], -v[0:1], v[31:32], v[14:15]
	v_mul_f64 v[55:56], v[2:3], v[43:44]
	v_mul_f64 v[57:58], v[4:5], v[45:46]
	v_add_f64 v[12:13], v[65:66], -v[8:9]
	v_mul_f64 v[8:9], v[4:5], v[37:38]
	v_add_f64 v[51:52], v[14:15], v[51:52]
	v_mul_f64 v[14:15], v[45:46], -v[6:7]
	v_fma_f64 v[55:56], -v[0:1], v[39:40], v[55:56]
	v_fma_f64 v[57:58], v[6:7], v[41:42], v[57:58]
	global_store_dwordx4 v[59:60], v[10:13], off
	v_fma_f64 v[8:9], v[6:7], v[33:34], v[8:9]
	v_mov_b32_e32 v10, 0
	v_mov_b32_e32 v11, 0
	v_fma_f64 v[14:15], v[4:5], v[41:42], v[14:15]
	v_add_f64 v[53:54], v[53:54], v[8:9]
	v_mul_f64 v[8:9], v[43:44], -v[0:1]
	v_add_f64 v[55:56], v[55:56], v[14:15]
	v_fma_f64 v[8:9], -v[2:3], v[39:40], v[8:9]
	v_add_f64 v[57:58], v[8:9], v[57:58]
	v_mov_b32_e32 v8, 0
	v_mov_b32_e32 v9, 0
	global_store_dwordx4 v[61:62], v[51:54], off
	global_store_dwordx4 v[63:64], v[55:58], off
	s_and_saveexec_b64 s[4:5], s[2:3]
	s_cbranch_execz .LBB340_16
; %bb.15:                               ;   in Loop: Header=BB340_5 Depth=1
	v_add_u32_e32 v51, v49, v48
	v_add_u32_e32 v25, s30, v51
	v_lshlrev_b64 v[8:9], 4, v[25:26]
	v_mov_b32_e32 v10, s9
	v_add_co_u32_e32 v55, vcc, s8, v8
	v_add_u32_e32 v25, s31, v51
	v_addc_co_u32_e32 v56, vcc, v10, v9, vcc
	v_lshlrev_b64 v[8:9], 4, v[25:26]
	v_ashrrev_i32_e32 v52, 31, v51
	v_add_co_u32_e32 v57, vcc, s8, v8
	v_lshlrev_b64 v[51:52], 4, v[51:52]
	v_addc_co_u32_e32 v58, vcc, v10, v9, vcc
	v_mov_b32_e32 v25, s15
	v_add_co_u32_e32 v51, vcc, s14, v51
	v_addc_co_u32_e32 v52, vcc, v25, v52, vcc
	global_load_dwordx4 v[8:11], v[55:56], off
	global_load_dwordx4 v[12:15], v[57:58], off
	v_mul_f64 v[59:60], v[22:23], -v[0:1]
	global_load_dwordx4 v[51:54], v[51:52], off
	v_mul_f64 v[61:62], v[2:3], v[22:23]
	v_mul_f64 v[63:64], v[4:5], v[22:23]
	v_mul_f64 v[65:66], v[22:23], -v[6:7]
	v_mul_f64 v[67:68], v[6:7], -v[22:23]
	v_mul_f64 v[69:70], v[6:7], v[20:21]
	v_fma_f64 v[2:3], -v[2:3], v[20:21], v[59:60]
	v_fma_f64 v[0:1], -v[0:1], v[20:21], v[61:62]
	v_fma_f64 v[6:7], v[6:7], v[20:21], v[63:64]
	v_fma_f64 v[59:60], v[4:5], v[20:21], v[65:66]
	;; [unrolled: 1-line block ×4, first 2 shown]
	v_mul_f64 v[22:23], v[2:3], v[35:36]
	v_mul_f64 v[65:66], v[2:3], v[43:44]
	v_mul_f64 v[35:36], v[35:36], -v[0:1]
	v_mul_f64 v[61:62], v[37:38], -v[6:7]
	v_mul_f64 v[37:38], v[59:60], v[37:38]
	v_mul_f64 v[63:64], v[18:19], v[20:21]
	v_mul_f64 v[18:19], v[18:19], -v[4:5]
	v_mul_f64 v[43:44], v[43:44], -v[0:1]
	;; [unrolled: 1-line block ×3, first 2 shown]
	v_mul_f64 v[45:46], v[59:60], v[45:46]
	v_fma_f64 v[22:23], -v[0:1], v[31:32], v[22:23]
	v_fma_f64 v[31:32], -v[2:3], v[31:32], v[35:36]
	v_fma_f64 v[0:1], -v[0:1], v[39:40], v[65:66]
	v_fma_f64 v[4:5], v[4:5], v[16:17], v[63:64]
	v_fma_f64 v[16:17], v[20:21], v[16:17], v[18:19]
	;; [unrolled: 1-line block ×4, first 2 shown]
	v_fma_f64 v[2:3], -v[2:3], v[39:40], v[43:44]
	v_fma_f64 v[33:34], v[59:60], v[41:42], v[67:68]
	v_fma_f64 v[6:7], v[6:7], v[41:42], v[45:46]
	v_mul_f64 v[35:36], v[29:30], -v[4:5]
	v_mul_f64 v[29:30], v[29:30], v[16:17]
	v_add_f64 v[18:19], v[22:23], -v[18:19]
	v_add_f64 v[20:21], v[31:32], -v[20:21]
	;; [unrolled: 1-line block ×4, first 2 shown]
	v_fma_f64 v[16:17], v[16:17], v[27:28], v[35:36]
	v_fma_f64 v[27:28], v[4:5], v[27:28], v[29:30]
	s_waitcnt vmcnt(2)
	v_add_f64 v[0:1], v[18:19], v[8:9]
	v_add_f64 v[2:3], v[20:21], v[10:11]
	s_waitcnt vmcnt(1)
	v_add_f64 v[4:5], v[22:23], v[12:13]
	s_waitcnt vmcnt(0)
	v_add_f64 v[10:11], v[51:52], -v[16:17]
	v_add_f64 v[8:9], v[53:54], -v[27:28]
	v_add_f64 v[6:7], v[6:7], v[14:15]
	global_store_dwordx4 v[55:56], v[0:3], off
	global_store_dwordx4 v[57:58], v[4:7], off
.LBB340_16:                             ;   in Loop: Header=BB340_5 Depth=1
	s_or_b64 exec, exec, s[4:5]
	v_mov_b32_e32 v6, v8
	v_mov_b32_e32 v4, v10
	;; [unrolled: 1-line block ×4, first 2 shown]
                                        ; implicit-def: $vgpr0_vgpr1
                                        ; implicit-def: $vgpr12_vgpr13
                                        ; implicit-def: $vgpr8_vgpr9
                                        ; implicit-def: $vgpr27_vgpr28
                                        ; implicit-def: $vgpr29_vgpr30
                                        ; implicit-def: $vgpr31
.LBB340_17:                             ;   in Loop: Header=BB340_5 Depth=1
	s_or_saveexec_b64 s[2:3], s[22:23]
	v_mov_b32_e32 v10, s29
	s_xor_b64 exec, exec, s[2:3]
	s_cbranch_execz .LBB340_4
; %bb.18:                               ;   in Loop: Header=BB340_5 Depth=1
	v_mul_f64 v[10:11], v[6:7], v[6:7]
	v_lshlrev_b64 v[16:17], 4, v[25:26]
	v_mov_b32_e32 v32, v26
	v_mov_b32_e32 v18, s9
	v_lshlrev_b64 v[31:32], 4, v[31:32]
	v_add_co_u32_e32 v35, vcc, s8, v16
	v_addc_co_u32_e32 v36, vcc, v18, v17, vcc
	v_fma_f64 v[10:11], v[4:5], v[4:5], v[10:11]
	v_mov_b32_e32 v25, s9
	v_add_co_u32_e32 v39, vcc, s8, v31
	v_addc_co_u32_e32 v40, vcc, v25, v32, vcc
	global_load_dwordx4 v[16:19], v[35:36], off
	global_load_dwordx4 v[31:34], v[39:40], off
	v_div_scale_f64 v[20:21], s[4:5], v[10:11], v[10:11], 1.0
	v_rcp_f64_e32 v[22:23], v[20:21]
	v_fma_f64 v[37:38], -v[20:21], v[22:23], 1.0
	v_fma_f64 v[22:23], v[22:23], v[37:38], v[22:23]
	v_div_scale_f64 v[37:38], vcc, 1.0, v[10:11], 1.0
	v_fma_f64 v[41:42], -v[20:21], v[22:23], 1.0
	v_fma_f64 v[22:23], v[22:23], v[41:42], v[22:23]
	v_mul_f64 v[41:42], v[37:38], v[22:23]
	v_fma_f64 v[20:21], -v[20:21], v[41:42], v[37:38]
	v_div_fmas_f64 v[20:21], v[20:21], v[22:23], v[41:42]
	v_fma_f64 v[22:23], v[4:5], 0, -v[6:7]
	v_fma_f64 v[4:5], v[6:7], 0, v[4:5]
	v_div_fixup_f64 v[10:11], v[20:21], v[10:11], 1.0
	v_mul_f64 v[20:21], v[22:23], v[10:11]
	v_mul_f64 v[10:11], v[4:5], v[10:11]
	s_waitcnt vmcnt(1)
	v_mul_f64 v[4:5], v[20:21], -v[18:19]
	v_mul_f64 v[6:7], v[20:21], v[16:17]
	s_waitcnt vmcnt(0)
	v_mul_f64 v[22:23], v[20:21], -v[33:34]
	v_mul_f64 v[37:38], v[20:21], v[31:32]
	v_fma_f64 v[16:17], v[16:17], v[10:11], v[4:5]
	v_fma_f64 v[18:19], v[18:19], v[10:11], v[6:7]
	;; [unrolled: 1-line block ×4, first 2 shown]
	global_store_dwordx4 v[35:36], v[16:19], off
	global_store_dwordx4 v[39:40], v[4:7], off
	s_and_saveexec_b64 s[4:5], s[0:1]
	s_cbranch_execz .LBB340_3
; %bb.19:                               ;   in Loop: Header=BB340_5 Depth=1
	v_add_u32_e32 v35, v47, v48
	v_add_u32_e32 v25, s30, v35
	v_lshlrev_b64 v[22:23], 4, v[25:26]
	v_mov_b32_e32 v25, s9
	v_add_co_u32_e32 v22, vcc, s8, v22
	v_addc_co_u32_e32 v23, vcc, v25, v23, vcc
	v_add_u32_e32 v25, s31, v35
	v_lshlrev_b64 v[35:36], 4, v[25:26]
	v_mov_b32_e32 v25, s9
	v_add_co_u32_e32 v39, vcc, s8, v35
	global_load_dwordx4 v[31:34], v[22:23], off
	v_addc_co_u32_e32 v40, vcc, v25, v36, vcc
	global_load_dwordx4 v[35:38], v[39:40], off
	s_waitcnt vmcnt(1)
	v_fma_f64 v[31:32], -v[0:1], v[16:17], v[31:32]
	v_fma_f64 v[33:34], -v[2:3], v[16:17], v[33:34]
	s_waitcnt vmcnt(0)
	v_fma_f64 v[35:36], -v[0:1], v[4:5], v[35:36]
	v_fma_f64 v[37:38], -v[2:3], v[4:5], v[37:38]
	v_fma_f64 v[16:17], v[2:3], v[18:19], v[31:32]
	v_fma_f64 v[18:19], -v[0:1], v[18:19], v[33:34]
	v_fma_f64 v[4:5], v[2:3], v[6:7], v[35:36]
	v_fma_f64 v[6:7], -v[0:1], v[6:7], v[37:38]
	global_store_dwordx4 v[22:23], v[16:19], off
	global_store_dwordx4 v[39:40], v[4:7], off
	s_branch .LBB340_3
.LBB340_20:
	s_or_b64 exec, exec, s[20:21]
	s_branch .LBB340_22
.LBB340_21:
	v_mov_b32_e32 v48, 0
.LBB340_22:
	v_subrev_u32_e32 v2, s24, v48
	v_add_u32_e32 v0, v2, v24
	v_ashrrev_i32_e32 v1, 31, v0
	v_lshlrev_b64 v[0:1], 2, v[0:1]
	s_waitcnt lgkmcnt(0)
	v_mov_b32_e32 v3, s17
	v_add_co_u32_e32 v0, vcc, s16, v0
	v_addc_co_u32_e32 v1, vcc, v3, v1, vcc
	s_waitcnt vmcnt(0)
	buffer_wbinvl1_vol
	global_load_dword v0, v[0:1], off
	s_waitcnt vmcnt(0)
	v_mul_lo_u32 v0, v0, s24
	v_sub_u32_e32 v8, v2, v0
	v_cmp_lt_i32_e32 vcc, -1, v8
	s_and_b64 exec, exec, vcc
	s_cbranch_execz .LBB340_29
; %bb.23:
	s_lshl_b32 s4, s26, 1
	s_add_i32 s5, s4, s25
	s_lshl_b32 s6, s24, 1
	s_mov_b64 s[0:1], 0
	v_mov_b32_e32 v9, s17
	v_mov_b32_e32 v10, s11
	;; [unrolled: 1-line block ×3, first 2 shown]
	s_branch .LBB340_25
.LBB340_24:                             ;   in Loop: Header=BB340_25 Depth=1
	s_or_b64 exec, exec, s[2:3]
	v_sub_u32_e32 v8, v8, v4
	v_cmp_gt_i32_e32 vcc, 0, v8
	s_or_b64 s[0:1], vcc, s[0:1]
	s_andn2_b64 exec, exec, s[0:1]
	s_cbranch_execz .LBB340_29
.LBB340_25:                             ; =>This Inner Loop Header: Depth=1
	v_add_u32_e32 v6, v8, v24
	v_ashrrev_i32_e32 v7, 31, v6
	s_waitcnt vmcnt(0)
	v_lshlrev_b64 v[0:1], 2, v[6:7]
	v_add_co_u32_e32 v0, vcc, s16, v0
	v_addc_co_u32_e32 v1, vcc, v9, v1, vcc
	global_load_dword v4, v[0:1], off
	v_lshlrev_b64 v[0:1], 4, v[6:7]
	v_add_co_u32_e32 v0, vcc, s10, v0
	v_addc_co_u32_e32 v1, vcc, v10, v1, vcc
	global_load_dwordx4 v[0:3], v[0:1], off
	s_waitcnt vmcnt(1)
	v_cmp_ne_u32_e32 vcc, 1, v4
	s_and_saveexec_b64 s[2:3], vcc
	s_xor_b64 s[2:3], exec, s[2:3]
	s_cbranch_execz .LBB340_27
; %bb.26:                               ;   in Loop: Header=BB340_25 Depth=1
	v_add_u32_e32 v7, v47, v8
	v_add_u32_e32 v4, s4, v7
	v_lshlrev_b64 v[11:12], 4, v[4:5]
	v_mov_b32_e32 v4, s9
	v_add_co_u32_e32 v11, vcc, s8, v11
	v_addc_co_u32_e32 v12, vcc, v4, v12, vcc
	v_add_u32_e32 v4, s5, v7
	v_lshlrev_b64 v[19:20], 4, v[4:5]
	v_add_u32_e32 v4, s4, v6
	v_lshlrev_b64 v[15:16], 4, v[4:5]
	v_mov_b32_e32 v4, s9
	v_add_co_u32_e32 v25, vcc, s8, v15
	v_addc_co_u32_e32 v26, vcc, v4, v16, vcc
	global_load_dwordx4 v[11:14], v[11:12], off
	v_add_co_u32_e32 v19, vcc, s8, v19
	global_load_dwordx4 v[15:18], v[25:26], off
	v_addc_co_u32_e32 v20, vcc, v4, v20, vcc
	global_load_dwordx4 v[19:22], v[19:20], off
	v_add_u32_e32 v4, s5, v6
	v_lshlrev_b64 v[6:7], 4, v[4:5]
	v_mov_b32_e32 v23, s9
	v_add_co_u32_e32 v6, vcc, s8, v6
	v_addc_co_u32_e32 v7, vcc, v23, v7, vcc
	v_subrev_u32_e32 v4, s24, v8
	v_mov_b32_e32 v23, s11
	v_mov_b32_e32 v28, s9
	s_waitcnt vmcnt(1)
	v_fma_f64 v[15:16], -v[0:1], v[11:12], v[15:16]
	v_fma_f64 v[17:18], -v[2:3], v[11:12], v[17:18]
	v_fma_f64 v[15:16], v[2:3], v[13:14], v[15:16]
	v_fma_f64 v[17:18], -v[0:1], v[13:14], v[17:18]
	global_store_dwordx4 v[25:26], v[15:18], off
	global_load_dwordx4 v[15:18], v[6:7], off
	v_add_u32_e32 v25, v4, v24
	v_ashrrev_i32_e32 v26, 31, v25
	v_lshlrev_b64 v[26:27], 4, v[25:26]
	v_add_u32_e32 v4, s4, v25
	v_add_co_u32_e32 v26, vcc, s10, v26
	v_addc_co_u32_e32 v27, vcc, v23, v27, vcc
	s_waitcnt vmcnt(0)
	v_fma_f64 v[15:16], -v[0:1], v[19:20], v[15:16]
	v_fma_f64 v[17:18], -v[2:3], v[19:20], v[17:18]
	v_fma_f64 v[15:16], v[2:3], v[21:22], v[15:16]
	v_fma_f64 v[17:18], -v[0:1], v[21:22], v[17:18]
	global_load_dwordx4 v[0:3], v[26:27], off
	v_lshlrev_b64 v[26:27], 4, v[4:5]
	v_add_u32_e32 v4, s5, v25
	v_add_co_u32_e32 v26, vcc, s8, v26
	v_addc_co_u32_e32 v27, vcc, v28, v27, vcc
	global_store_dwordx4 v[6:7], v[15:18], off
	global_load_dwordx4 v[15:18], v[26:27], off
	s_waitcnt vmcnt(0)
	v_fma_f64 v[6:7], -v[0:1], v[11:12], v[15:16]
	v_fma_f64 v[15:16], -v[2:3], v[11:12], v[17:18]
	v_fma_f64 v[11:12], v[2:3], v[13:14], v[6:7]
	v_fma_f64 v[13:14], -v[0:1], v[13:14], v[15:16]
	v_lshlrev_b64 v[6:7], 4, v[4:5]
	v_mov_b32_e32 v15, s9
	v_add_co_u32_e32 v6, vcc, s8, v6
	v_addc_co_u32_e32 v7, vcc, v15, v7, vcc
	global_store_dwordx4 v[26:27], v[11:14], off
	global_load_dwordx4 v[11:14], v[6:7], off
	s_waitcnt vmcnt(0)
	v_fma_f64 v[11:12], -v[0:1], v[19:20], v[11:12]
	v_fma_f64 v[13:14], -v[2:3], v[19:20], v[13:14]
	v_fma_f64 v[11:12], v[2:3], v[21:22], v[11:12]
	v_fma_f64 v[13:14], -v[0:1], v[21:22], v[13:14]
                                        ; implicit-def: $vgpr0_vgpr1
	global_store_dwordx4 v[6:7], v[11:14], off
                                        ; implicit-def: $vgpr6
.LBB340_27:                             ;   in Loop: Header=BB340_25 Depth=1
	s_or_saveexec_b64 s[2:3], s[2:3]
	v_mov_b32_e32 v4, s6
	s_xor_b64 exec, exec, s[2:3]
	s_cbranch_execz .LBB340_24
; %bb.28:                               ;   in Loop: Header=BB340_25 Depth=1
	v_add_u32_e32 v7, v47, v8
	v_add_u32_e32 v4, s4, v7
	v_lshlrev_b64 v[11:12], 4, v[4:5]
	v_mov_b32_e32 v4, s9
	v_add_co_u32_e32 v19, vcc, s8, v11
	v_addc_co_u32_e32 v20, vcc, v4, v12, vcc
	v_add_u32_e32 v4, s4, v6
	v_lshlrev_b64 v[11:12], 4, v[4:5]
	v_mov_b32_e32 v4, s9
	v_add_co_u32_e32 v21, vcc, s8, v11
	v_addc_co_u32_e32 v22, vcc, v4, v12, vcc
	global_load_dwordx4 v[11:14], v[19:20], off
	global_load_dwordx4 v[15:18], v[21:22], off
	v_add_u32_e32 v4, s5, v7
	v_lshlrev_b64 v[19:20], 4, v[4:5]
	v_add_u32_e32 v4, s5, v6
	v_mov_b32_e32 v23, s9
	v_lshlrev_b64 v[6:7], 4, v[4:5]
	v_add_co_u32_e32 v19, vcc, s8, v19
	v_addc_co_u32_e32 v20, vcc, v23, v20, vcc
	v_mov_b32_e32 v25, s9
	v_add_co_u32_e32 v6, vcc, s8, v6
	v_addc_co_u32_e32 v7, vcc, v25, v7, vcc
	v_mov_b32_e32 v4, s24
	s_waitcnt vmcnt(0)
	v_fma_f64 v[15:16], -v[0:1], v[11:12], v[15:16]
	v_fma_f64 v[17:18], -v[2:3], v[11:12], v[17:18]
	v_fma_f64 v[11:12], v[2:3], v[13:14], v[15:16]
	v_fma_f64 v[13:14], -v[0:1], v[13:14], v[17:18]
	global_store_dwordx4 v[21:22], v[11:14], off
	global_load_dwordx4 v[11:14], v[19:20], off
	s_nop 0
	global_load_dwordx4 v[15:18], v[6:7], off
	s_waitcnt vmcnt(0)
	v_fma_f64 v[15:16], -v[0:1], v[11:12], v[15:16]
	v_fma_f64 v[17:18], -v[2:3], v[11:12], v[17:18]
	v_fma_f64 v[11:12], v[2:3], v[13:14], v[15:16]
	v_fma_f64 v[13:14], -v[0:1], v[13:14], v[17:18]
	global_store_dwordx4 v[6:7], v[11:14], off
	s_branch .LBB340_24
.LBB340_29:
	s_endpgm
	.section	.rodata,"a",@progbits
	.p2align	6, 0x0
	.amdhsa_kernel _ZN9rocsparseL19gtsv_LBM_rhs_kernelILj256ELj128ELj2E21rocsparse_complex_numIdEEEviiiPKT2_S5_S5_PS3_S5_PKi
		.amdhsa_group_segment_fixed_size 0
		.amdhsa_private_segment_fixed_size 0
		.amdhsa_kernarg_size 64
		.amdhsa_user_sgpr_count 6
		.amdhsa_user_sgpr_private_segment_buffer 1
		.amdhsa_user_sgpr_dispatch_ptr 0
		.amdhsa_user_sgpr_queue_ptr 0
		.amdhsa_user_sgpr_kernarg_segment_ptr 1
		.amdhsa_user_sgpr_dispatch_id 0
		.amdhsa_user_sgpr_flat_scratch_init 0
		.amdhsa_user_sgpr_private_segment_size 0
		.amdhsa_uses_dynamic_stack 0
		.amdhsa_system_sgpr_private_segment_wavefront_offset 0
		.amdhsa_system_sgpr_workgroup_id_x 1
		.amdhsa_system_sgpr_workgroup_id_y 1
		.amdhsa_system_sgpr_workgroup_id_z 0
		.amdhsa_system_sgpr_workgroup_info 0
		.amdhsa_system_vgpr_workitem_id 0
		.amdhsa_next_free_vgpr 71
		.amdhsa_next_free_sgpr 32
		.amdhsa_reserve_vcc 1
		.amdhsa_reserve_flat_scratch 0
		.amdhsa_float_round_mode_32 0
		.amdhsa_float_round_mode_16_64 0
		.amdhsa_float_denorm_mode_32 3
		.amdhsa_float_denorm_mode_16_64 3
		.amdhsa_dx10_clamp 1
		.amdhsa_ieee_mode 1
		.amdhsa_fp16_overflow 0
		.amdhsa_exception_fp_ieee_invalid_op 0
		.amdhsa_exception_fp_denorm_src 0
		.amdhsa_exception_fp_ieee_div_zero 0
		.amdhsa_exception_fp_ieee_overflow 0
		.amdhsa_exception_fp_ieee_underflow 0
		.amdhsa_exception_fp_ieee_inexact 0
		.amdhsa_exception_int_div_zero 0
	.end_amdhsa_kernel
	.section	.text._ZN9rocsparseL19gtsv_LBM_rhs_kernelILj256ELj128ELj2E21rocsparse_complex_numIdEEEviiiPKT2_S5_S5_PS3_S5_PKi,"axG",@progbits,_ZN9rocsparseL19gtsv_LBM_rhs_kernelILj256ELj128ELj2E21rocsparse_complex_numIdEEEviiiPKT2_S5_S5_PS3_S5_PKi,comdat
.Lfunc_end340:
	.size	_ZN9rocsparseL19gtsv_LBM_rhs_kernelILj256ELj128ELj2E21rocsparse_complex_numIdEEEviiiPKT2_S5_S5_PS3_S5_PKi, .Lfunc_end340-_ZN9rocsparseL19gtsv_LBM_rhs_kernelILj256ELj128ELj2E21rocsparse_complex_numIdEEEviiiPKT2_S5_S5_PS3_S5_PKi
                                        ; -- End function
	.set _ZN9rocsparseL19gtsv_LBM_rhs_kernelILj256ELj128ELj2E21rocsparse_complex_numIdEEEviiiPKT2_S5_S5_PS3_S5_PKi.num_vgpr, 71
	.set _ZN9rocsparseL19gtsv_LBM_rhs_kernelILj256ELj128ELj2E21rocsparse_complex_numIdEEEviiiPKT2_S5_S5_PS3_S5_PKi.num_agpr, 0
	.set _ZN9rocsparseL19gtsv_LBM_rhs_kernelILj256ELj128ELj2E21rocsparse_complex_numIdEEEviiiPKT2_S5_S5_PS3_S5_PKi.numbered_sgpr, 32
	.set _ZN9rocsparseL19gtsv_LBM_rhs_kernelILj256ELj128ELj2E21rocsparse_complex_numIdEEEviiiPKT2_S5_S5_PS3_S5_PKi.num_named_barrier, 0
	.set _ZN9rocsparseL19gtsv_LBM_rhs_kernelILj256ELj128ELj2E21rocsparse_complex_numIdEEEviiiPKT2_S5_S5_PS3_S5_PKi.private_seg_size, 0
	.set _ZN9rocsparseL19gtsv_LBM_rhs_kernelILj256ELj128ELj2E21rocsparse_complex_numIdEEEviiiPKT2_S5_S5_PS3_S5_PKi.uses_vcc, 1
	.set _ZN9rocsparseL19gtsv_LBM_rhs_kernelILj256ELj128ELj2E21rocsparse_complex_numIdEEEviiiPKT2_S5_S5_PS3_S5_PKi.uses_flat_scratch, 0
	.set _ZN9rocsparseL19gtsv_LBM_rhs_kernelILj256ELj128ELj2E21rocsparse_complex_numIdEEEviiiPKT2_S5_S5_PS3_S5_PKi.has_dyn_sized_stack, 0
	.set _ZN9rocsparseL19gtsv_LBM_rhs_kernelILj256ELj128ELj2E21rocsparse_complex_numIdEEEviiiPKT2_S5_S5_PS3_S5_PKi.has_recursion, 0
	.set _ZN9rocsparseL19gtsv_LBM_rhs_kernelILj256ELj128ELj2E21rocsparse_complex_numIdEEEviiiPKT2_S5_S5_PS3_S5_PKi.has_indirect_call, 0
	.section	.AMDGPU.csdata,"",@progbits
; Kernel info:
; codeLenInByte = 3404
; TotalNumSgprs: 36
; NumVgprs: 71
; ScratchSize: 0
; MemoryBound: 1
; FloatMode: 240
; IeeeMode: 1
; LDSByteSize: 0 bytes/workgroup (compile time only)
; SGPRBlocks: 4
; VGPRBlocks: 17
; NumSGPRsForWavesPerEU: 36
; NumVGPRsForWavesPerEU: 71
; Occupancy: 3
; WaveLimiterHint : 0
; COMPUTE_PGM_RSRC2:SCRATCH_EN: 0
; COMPUTE_PGM_RSRC2:USER_SGPR: 6
; COMPUTE_PGM_RSRC2:TRAP_HANDLER: 0
; COMPUTE_PGM_RSRC2:TGID_X_EN: 1
; COMPUTE_PGM_RSRC2:TGID_Y_EN: 1
; COMPUTE_PGM_RSRC2:TGID_Z_EN: 0
; COMPUTE_PGM_RSRC2:TIDIG_COMP_CNT: 0
	.section	.text._ZN9rocsparseL19gtsv_LBM_rhs_kernelILj256ELj128ELj1E21rocsparse_complex_numIdEEEviiiPKT2_S5_S5_PS3_S5_PKi,"axG",@progbits,_ZN9rocsparseL19gtsv_LBM_rhs_kernelILj256ELj128ELj1E21rocsparse_complex_numIdEEEviiiPKT2_S5_S5_PS3_S5_PKi,comdat
	.globl	_ZN9rocsparseL19gtsv_LBM_rhs_kernelILj256ELj128ELj1E21rocsparse_complex_numIdEEEviiiPKT2_S5_S5_PS3_S5_PKi ; -- Begin function _ZN9rocsparseL19gtsv_LBM_rhs_kernelILj256ELj128ELj1E21rocsparse_complex_numIdEEEviiiPKT2_S5_S5_PS3_S5_PKi
	.p2align	8
	.type	_ZN9rocsparseL19gtsv_LBM_rhs_kernelILj256ELj128ELj1E21rocsparse_complex_numIdEEEviiiPKT2_S5_S5_PS3_S5_PKi,@function
_ZN9rocsparseL19gtsv_LBM_rhs_kernelILj256ELj128ELj1E21rocsparse_complex_numIdEEEviiiPKT2_S5_S5_PS3_S5_PKi: ; @_ZN9rocsparseL19gtsv_LBM_rhs_kernelILj256ELj128ELj1E21rocsparse_complex_numIdEEEviiiPKT2_S5_S5_PS3_S5_PKi
; %bb.0:
	s_load_dword s24, s[4:5], 0x0
	v_lshl_or_b32 v24, s6, 8, v0
	s_waitcnt lgkmcnt(0)
	s_lshr_b32 s22, s24, 7
	v_cmp_gt_i32_e32 vcc, s22, v24
	s_and_saveexec_b64 s[0:1], vcc
	s_cbranch_execz .LBB341_29
; %bb.1:
	s_load_dwordx4 s[8:11], s[4:5], 0x28
	s_load_dwordx2 s[16:17], s[4:5], 0x38
	s_cmp_lt_i32 s24, 1
	s_mul_i32 s23, s24, s7
	s_cbranch_scc1 .LBB341_21
; %bb.2:
	s_load_dwordx4 s[12:15], s[4:5], 0x10
	s_load_dwordx2 s[6:7], s[4:5], 0x20
	v_ashrrev_i32_e32 v25, 31, v24
	v_lshlrev_b64 v[0:1], 4, v[24:25]
	v_add_u32_e32 v40, s22, v24
	s_waitcnt lgkmcnt(0)
	v_mov_b32_e32 v2, s15
	v_add_co_u32_e32 v0, vcc, s14, v0
	v_addc_co_u32_e32 v1, vcc, v2, v1, vcc
	global_load_dwordx4 v[0:3], v[0:1], off
	s_mul_i32 s25, s22, 0x7f
	s_mul_i32 s26, s22, 0x7e
	s_lshl_b32 s27, s22, 1
	v_add_u32_e32 v41, s22, v40
	v_add_u32_e32 v42, s23, v40
	v_mov_b32_e32 v26, 0
	s_mov_b64 s[18:19], 0
	v_mov_b32_e32 v43, s7
	v_mov_b32_e32 v39, 0
	s_branch .LBB341_5
.LBB341_3:                              ;   in Loop: Header=BB341_5 Depth=1
	s_or_b64 exec, exec, s[4:5]
	v_fma_f64 v[0:1], v[6:7], v[8:9], v[30:31]
	v_fma_f64 v[2:3], v[4:5], v[8:9], v[28:29]
	v_mul_f64 v[4:5], v[16:17], -v[0:1]
	v_mul_f64 v[6:7], v[16:17], v[2:3]
	v_fma_f64 v[2:3], v[2:3], v[10:11], v[4:5]
	v_fma_f64 v[4:5], v[0:1], v[10:11], v[6:7]
	v_mov_b32_e32 v10, s22
	v_add_f64 v[0:1], v[12:13], -v[2:3]
	v_add_f64 v[2:3], v[14:15], -v[4:5]
.LBB341_4:                              ;   in Loop: Header=BB341_5 Depth=1
	s_or_b64 exec, exec, s[2:3]
	v_add_u32_e32 v39, v10, v39
	v_cmp_le_i32_e32 vcc, s24, v39
	s_or_b64 s[18:19], vcc, s[18:19]
	s_andn2_b64 exec, exec, s[18:19]
	s_cbranch_execz .LBB341_20
.LBB341_5:                              ; =>This Inner Loop Header: Depth=1
	v_add_u32_e32 v27, v39, v24
	v_ashrrev_i32_e32 v28, 31, v27
	v_lshlrev_b64 v[4:5], 4, v[27:28]
	v_mov_b32_e32 v12, 0
	v_add_co_u32_e32 v4, vcc, s6, v4
	v_addc_co_u32_e32 v5, vcc, v43, v5, vcc
	global_load_dwordx4 v[8:11], v[4:5], off
	v_mov_b32_e32 v4, 0
	v_mov_b32_e32 v6, 0
	v_cmp_gt_u32_e64 s[0:1], s25, v39
	v_mov_b32_e32 v13, 0
	v_mov_b32_e32 v5, 0
	;; [unrolled: 1-line block ×3, first 2 shown]
	v_add_u32_e32 v22, v40, v39
	s_and_saveexec_b64 s[2:3], s[0:1]
	s_cbranch_execz .LBB341_7
; %bb.6:                                ;   in Loop: Header=BB341_5 Depth=1
	v_ashrrev_i32_e32 v23, 31, v22
	v_lshlrev_b64 v[4:5], 4, v[22:23]
	v_mov_b32_e32 v6, s13
	v_add_co_u32_e32 v4, vcc, s12, v4
	v_addc_co_u32_e32 v5, vcc, v6, v5, vcc
	global_load_dwordx4 v[4:7], v[4:5], off
.LBB341_7:                              ;   in Loop: Header=BB341_5 Depth=1
	s_or_b64 exec, exec, s[2:3]
	v_mov_b32_e32 v14, 0
	v_mov_b32_e32 v15, 0
	s_and_saveexec_b64 s[2:3], s[0:1]
	s_cbranch_execz .LBB341_9
; %bb.8:                                ;   in Loop: Header=BB341_5 Depth=1
	v_ashrrev_i32_e32 v23, 31, v22
	v_lshlrev_b64 v[12:13], 4, v[22:23]
	v_mov_b32_e32 v14, s15
	v_add_co_u32_e32 v12, vcc, s14, v12
	v_addc_co_u32_e32 v13, vcc, v14, v13, vcc
	global_load_dwordx4 v[12:15], v[12:13], off
.LBB341_9:                              ;   in Loop: Header=BB341_5 Depth=1
	s_or_b64 exec, exec, s[2:3]
	v_mov_b32_e32 v20, 0
	v_mov_b32_e32 v16, 0
	;; [unrolled: 1-line block ×6, first 2 shown]
	s_and_saveexec_b64 s[2:3], s[0:1]
	s_cbranch_execz .LBB341_11
; %bb.10:                               ;   in Loop: Header=BB341_5 Depth=1
	v_ashrrev_i32_e32 v23, 31, v22
	v_lshlrev_b64 v[16:17], 4, v[22:23]
	v_mov_b32_e32 v18, s7
	v_add_co_u32_e32 v16, vcc, s6, v16
	v_addc_co_u32_e32 v17, vcc, v18, v17, vcc
	global_load_dwordx4 v[16:19], v[16:17], off
.LBB341_11:                             ;   in Loop: Header=BB341_5 Depth=1
	s_or_b64 exec, exec, s[2:3]
	v_mov_b32_e32 v22, 0
	v_mov_b32_e32 v23, 0
	v_cmp_gt_u32_e64 s[2:3], s26, v39
	s_and_saveexec_b64 s[4:5], s[2:3]
	s_cbranch_execz .LBB341_13
; %bb.12:                               ;   in Loop: Header=BB341_5 Depth=1
	v_add_u32_e32 v20, v41, v39
	v_ashrrev_i32_e32 v21, 31, v20
	v_lshlrev_b64 v[20:21], 4, v[20:21]
	v_mov_b32_e32 v22, s13
	v_add_co_u32_e32 v20, vcc, s12, v20
	v_addc_co_u32_e32 v21, vcc, v22, v21, vcc
	global_load_dwordx4 v[20:23], v[20:21], off
.LBB341_13:                             ;   in Loop: Header=BB341_5 Depth=1
	s_or_b64 exec, exec, s[4:5]
	v_lshlrev_b64 v[28:29], 2, v[27:28]
	v_mov_b32_e32 v25, s17
	v_add_co_u32_e32 v28, vcc, s16, v28
	v_addc_co_u32_e32 v29, vcc, v25, v29, vcc
	global_load_dword v25, v[28:29], off
	s_waitcnt vmcnt(1)
	v_mul_f64 v[28:29], v[10:11], -v[6:7]
	v_mul_f64 v[30:31], v[10:11], v[4:5]
	v_cmp_ne_u32_e32 vcc, s25, v39
	s_waitcnt vmcnt(0)
	v_cmp_ne_u32_e64 s[4:5], 1, v25
	s_and_b64 s[4:5], vcc, s[4:5]
	v_add_u32_e32 v25, s23, v27
	s_and_saveexec_b64 s[20:21], s[4:5]
	s_xor_b64 s[20:21], exec, s[20:21]
	s_cbranch_execz .LBB341_17
; %bb.14:                               ;   in Loop: Header=BB341_5 Depth=1
	v_mul_f64 v[32:33], v[0:1], v[14:15]
	v_mul_f64 v[34:35], v[14:15], -v[2:3]
	v_fma_f64 v[30:31], v[6:7], v[8:9], v[30:31]
	v_fma_f64 v[27:28], v[4:5], v[8:9], v[28:29]
	v_lshlrev_b64 v[46:47], 4, v[25:26]
	v_add_u32_e32 v25, v42, v39
	v_mov_b32_e32 v51, s9
	v_fma_f64 v[32:33], v[2:3], v[12:13], v[32:33]
	v_fma_f64 v[34:35], v[0:1], v[12:13], v[34:35]
	v_add_f64 v[29:30], v[32:33], -v[30:31]
	v_add_f64 v[27:28], v[34:35], -v[27:28]
	v_mul_f64 v[31:32], v[29:30], v[29:30]
	v_fma_f64 v[31:32], v[27:28], v[27:28], v[31:32]
	v_div_scale_f64 v[37:38], s[4:5], v[31:32], v[31:32], 1.0
	v_div_scale_f64 v[44:45], vcc, 1.0, v[31:32], 1.0
	v_add_co_u32_e64 v50, s[4:5], s8, v46
	v_addc_co_u32_e64 v51, s[4:5], v51, v47, s[4:5]
	v_rcp_f64_e32 v[33:34], v[37:38]
	v_fma_f64 v[35:36], -v[37:38], v[33:34], 1.0
	v_fma_f64 v[33:34], v[33:34], v[35:36], v[33:34]
	v_fma_f64 v[35:36], -v[37:38], v[33:34], 1.0
	v_fma_f64 v[48:49], v[33:34], v[35:36], v[33:34]
	v_lshlrev_b64 v[33:34], 4, v[25:26]
	v_mov_b32_e32 v35, s9
	v_add_co_u32_e64 v54, s[4:5], s8, v33
	v_addc_co_u32_e64 v55, s[4:5], v35, v34, s[4:5]
	global_load_dwordx4 v[33:36], v[50:51], off
	v_mul_f64 v[52:53], v[44:45], v[48:49]
	v_fma_f64 v[37:38], -v[37:38], v[52:53], v[44:45]
	global_load_dwordx4 v[44:47], v[54:55], off
	v_div_fmas_f64 v[37:38], v[37:38], v[48:49], v[52:53]
	v_fma_f64 v[48:49], v[27:28], 0, -v[29:30]
	v_fma_f64 v[29:30], v[29:30], 0, v[27:28]
	v_div_fixup_f64 v[31:32], v[37:38], v[31:32], 1.0
	v_mul_f64 v[27:28], v[48:49], v[31:32]
	v_mul_f64 v[29:30], v[29:30], v[31:32]
	s_waitcnt vmcnt(1)
	v_mul_f64 v[31:32], v[27:28], v[33:34]
	v_mul_f64 v[48:49], v[27:28], -v[35:36]
	v_fma_f64 v[31:32], v[35:36], v[29:30], v[31:32]
	v_fma_f64 v[33:34], v[33:34], v[29:30], v[48:49]
	s_waitcnt vmcnt(0)
	v_mul_f64 v[37:38], v[27:28], v[44:45]
	v_mul_f64 v[52:53], v[27:28], -v[46:47]
	v_mul_f64 v[48:49], v[12:13], v[31:32]
	v_fma_f64 v[35:36], v[46:47], v[29:30], v[37:38]
	v_mul_f64 v[46:47], v[31:32], -v[14:15]
	v_fma_f64 v[37:38], v[44:45], v[29:30], v[52:53]
	v_fma_f64 v[14:15], v[14:15], v[33:34], v[48:49]
	v_mul_f64 v[48:49], v[31:32], -v[4:5]
	v_mul_f64 v[44:45], v[35:36], -v[10:11]
	v_mul_f64 v[52:53], v[8:9], v[35:36]
	v_fma_f64 v[12:13], v[12:13], v[33:34], v[46:47]
	v_mul_f64 v[46:47], v[6:7], v[31:32]
	v_fma_f64 v[48:49], -v[6:7], v[33:34], v[48:49]
	v_fma_f64 v[8:9], v[8:9], v[37:38], v[44:45]
	v_fma_f64 v[10:11], v[10:11], v[37:38], v[52:53]
	v_mul_f64 v[44:45], v[35:36], -v[2:3]
	v_mul_f64 v[52:53], v[0:1], v[35:36]
	v_fma_f64 v[46:47], -v[4:5], v[33:34], v[46:47]
	v_add_f64 v[12:13], v[12:13], -v[8:9]
	v_add_f64 v[14:15], v[14:15], -v[10:11]
	v_fma_f64 v[44:45], v[0:1], v[37:38], v[44:45]
	v_fma_f64 v[52:53], v[2:3], v[37:38], v[52:53]
	v_mov_b32_e32 v10, 0
	v_mov_b32_e32 v8, 0
	;; [unrolled: 1-line block ×4, first 2 shown]
	v_add_f64 v[44:45], v[46:47], v[44:45]
	v_add_f64 v[46:47], v[48:49], v[52:53]
	global_store_dwordx4 v[50:51], v[12:15], off
	global_store_dwordx4 v[54:55], v[44:47], off
	s_and_saveexec_b64 s[4:5], s[2:3]
	s_cbranch_execz .LBB341_16
; %bb.15:                               ;   in Loop: Header=BB341_5 Depth=1
	v_add_u32_e32 v12, v41, v39
	v_add_u32_e32 v25, s23, v12
	v_lshlrev_b64 v[8:9], 4, v[25:26]
	v_ashrrev_i32_e32 v13, 31, v12
	v_mov_b32_e32 v10, s9
	v_add_co_u32_e32 v44, vcc, s8, v8
	v_lshlrev_b64 v[12:13], 4, v[12:13]
	v_addc_co_u32_e32 v45, vcc, v10, v9, vcc
	v_mov_b32_e32 v14, s15
	v_add_co_u32_e32 v12, vcc, s14, v12
	v_addc_co_u32_e32 v13, vcc, v14, v13, vcc
	global_load_dwordx4 v[8:11], v[44:45], off
	v_mul_f64 v[46:47], v[2:3], -v[22:23]
	global_load_dwordx4 v[12:15], v[12:13], off
	v_mul_f64 v[48:49], v[2:3], v[20:21]
	v_mul_f64 v[50:51], v[22:23], -v[4:5]
	v_mul_f64 v[52:53], v[6:7], v[22:23]
	v_mul_f64 v[54:55], v[0:1], v[22:23]
	v_mul_f64 v[56:57], v[22:23], -v[2:3]
	v_fma_f64 v[46:47], v[20:21], v[0:1], v[46:47]
	v_fma_f64 v[22:23], v[22:23], v[0:1], v[48:49]
	v_fma_f64 v[6:7], -v[6:7], v[20:21], v[50:51]
	v_fma_f64 v[4:5], -v[4:5], v[20:21], v[52:53]
	v_fma_f64 v[2:3], v[2:3], v[20:21], v[54:55]
	v_fma_f64 v[0:1], v[0:1], v[20:21], v[56:57]
	v_mul_f64 v[20:21], v[18:19], v[46:47]
	v_mul_f64 v[18:19], v[18:19], -v[22:23]
	v_mul_f64 v[48:49], v[6:7], v[31:32]
	v_mul_f64 v[31:32], v[31:32], -v[4:5]
	v_mul_f64 v[50:51], v[35:36], -v[2:3]
	v_mul_f64 v[35:36], v[0:1], v[35:36]
	v_fma_f64 v[20:21], v[22:23], v[16:17], v[20:21]
	v_fma_f64 v[16:17], v[46:47], v[16:17], v[18:19]
	v_fma_f64 v[4:5], -v[4:5], v[33:34], v[48:49]
	v_fma_f64 v[6:7], -v[6:7], v[33:34], v[31:32]
	v_fma_f64 v[0:1], v[0:1], v[37:38], v[50:51]
	v_fma_f64 v[2:3], v[2:3], v[37:38], v[35:36]
	v_mul_f64 v[18:19], v[27:28], -v[20:21]
	v_mul_f64 v[22:23], v[27:28], v[16:17]
	v_add_f64 v[0:1], v[4:5], -v[0:1]
	v_add_f64 v[2:3], v[6:7], -v[2:3]
	v_fma_f64 v[4:5], v[16:17], v[29:30], v[18:19]
	v_fma_f64 v[6:7], v[20:21], v[29:30], v[22:23]
	s_waitcnt vmcnt(1)
	v_add_f64 v[0:1], v[0:1], v[8:9]
	v_add_f64 v[2:3], v[2:3], v[10:11]
	s_waitcnt vmcnt(0)
	v_add_f64 v[8:9], v[12:13], -v[4:5]
	v_add_f64 v[10:11], v[14:15], -v[6:7]
	global_store_dwordx4 v[44:45], v[0:3], off
.LBB341_16:                             ;   in Loop: Header=BB341_5 Depth=1
	s_or_b64 exec, exec, s[4:5]
	v_mov_b32_e32 v2, v10
	v_mov_b32_e32 v0, v8
	v_mov_b32_e32 v3, v11
	v_mov_b32_e32 v1, v9
                                        ; implicit-def: $vgpr4_vgpr5
                                        ; implicit-def: $vgpr12_vgpr13
                                        ; implicit-def: $vgpr8_vgpr9
                                        ; implicit-def: $vgpr28_vgpr29
                                        ; implicit-def: $vgpr30_vgpr31
.LBB341_17:                             ;   in Loop: Header=BB341_5 Depth=1
	s_or_saveexec_b64 s[2:3], s[20:21]
	v_mov_b32_e32 v10, s27
	s_xor_b64 exec, exec, s[2:3]
	s_cbranch_execz .LBB341_4
; %bb.18:                               ;   in Loop: Header=BB341_5 Depth=1
	v_mul_f64 v[10:11], v[2:3], v[2:3]
	v_lshlrev_b64 v[18:19], 4, v[25:26]
	v_mov_b32_e32 v20, s9
	v_add_co_u32_e32 v32, vcc, s8, v18
	v_addc_co_u32_e32 v33, vcc, v20, v19, vcc
	global_load_dwordx4 v[18:21], v[32:33], off
	v_fma_f64 v[10:11], v[0:1], v[0:1], v[10:11]
	v_div_scale_f64 v[16:17], s[4:5], v[10:11], v[10:11], 1.0
	v_rcp_f64_e32 v[22:23], v[16:17]
	v_fma_f64 v[34:35], -v[16:17], v[22:23], 1.0
	v_fma_f64 v[22:23], v[22:23], v[34:35], v[22:23]
	v_div_scale_f64 v[34:35], vcc, 1.0, v[10:11], 1.0
	v_fma_f64 v[36:37], -v[16:17], v[22:23], 1.0
	v_fma_f64 v[22:23], v[22:23], v[36:37], v[22:23]
	v_mul_f64 v[36:37], v[34:35], v[22:23]
	v_fma_f64 v[16:17], -v[16:17], v[36:37], v[34:35]
	v_div_fmas_f64 v[16:17], v[16:17], v[22:23], v[36:37]
	v_fma_f64 v[22:23], v[0:1], 0, -v[2:3]
	v_fma_f64 v[0:1], v[2:3], 0, v[0:1]
	v_div_fixup_f64 v[10:11], v[16:17], v[10:11], 1.0
	v_mul_f64 v[16:17], v[22:23], v[10:11]
	v_mul_f64 v[10:11], v[0:1], v[10:11]
	s_waitcnt vmcnt(0)
	v_mul_f64 v[0:1], v[16:17], -v[20:21]
	v_mul_f64 v[2:3], v[16:17], v[18:19]
	v_fma_f64 v[0:1], v[18:19], v[10:11], v[0:1]
	v_fma_f64 v[2:3], v[20:21], v[10:11], v[2:3]
	global_store_dwordx4 v[32:33], v[0:3], off
	s_and_saveexec_b64 s[4:5], s[0:1]
	s_cbranch_execz .LBB341_3
; %bb.19:                               ;   in Loop: Header=BB341_5 Depth=1
	v_add_u32_e32 v25, v42, v39
	v_lshlrev_b64 v[18:19], 4, v[25:26]
	v_mov_b32_e32 v20, s9
	v_add_co_u32_e32 v22, vcc, s8, v18
	v_addc_co_u32_e32 v23, vcc, v20, v19, vcc
	global_load_dwordx4 v[18:21], v[22:23], off
	s_waitcnt vmcnt(0)
	v_fma_f64 v[18:19], -v[4:5], v[0:1], v[18:19]
	v_fma_f64 v[20:21], -v[6:7], v[0:1], v[20:21]
	v_fma_f64 v[0:1], v[6:7], v[2:3], v[18:19]
	v_fma_f64 v[2:3], -v[4:5], v[2:3], v[20:21]
	global_store_dwordx4 v[22:23], v[0:3], off
	s_branch .LBB341_3
.LBB341_20:
	s_or_b64 exec, exec, s[18:19]
	s_branch .LBB341_22
.LBB341_21:
	v_mov_b32_e32 v39, 0
.LBB341_22:
	v_subrev_u32_e32 v2, s22, v39
	v_add_u32_e32 v0, v2, v24
	v_ashrrev_i32_e32 v1, 31, v0
	v_lshlrev_b64 v[0:1], 2, v[0:1]
	s_waitcnt lgkmcnt(0)
	v_mov_b32_e32 v3, s17
	v_add_co_u32_e32 v0, vcc, s16, v0
	v_addc_co_u32_e32 v1, vcc, v3, v1, vcc
	s_waitcnt vmcnt(0)
	buffer_wbinvl1_vol
	global_load_dword v0, v[0:1], off
	s_waitcnt vmcnt(0)
	v_mul_lo_u32 v0, v0, s22
	v_sub_u32_e32 v8, v2, v0
	v_cmp_lt_i32_e32 vcc, -1, v8
	s_and_b64 exec, exec, vcc
	s_cbranch_execz .LBB341_29
; %bb.23:
	s_add_i32 s0, s23, s22
	v_add_u32_e32 v9, s0, v24
	s_lshl_b32 s4, s22, 1
	s_mov_b64 s[0:1], 0
	v_mov_b32_e32 v10, s17
	v_mov_b32_e32 v11, s11
	;; [unrolled: 1-line block ×3, first 2 shown]
	s_branch .LBB341_25
.LBB341_24:                             ;   in Loop: Header=BB341_25 Depth=1
	s_or_b64 exec, exec, s[2:3]
	v_sub_u32_e32 v8, v8, v4
	v_cmp_gt_i32_e32 vcc, 0, v8
	s_or_b64 s[0:1], vcc, s[0:1]
	s_andn2_b64 exec, exec, s[0:1]
	s_cbranch_execz .LBB341_29
.LBB341_25:                             ; =>This Inner Loop Header: Depth=1
	v_add_u32_e32 v6, v8, v24
	v_ashrrev_i32_e32 v7, 31, v6
	s_waitcnt vmcnt(0)
	v_lshlrev_b64 v[0:1], 2, v[6:7]
	v_add_co_u32_e32 v0, vcc, s16, v0
	v_addc_co_u32_e32 v1, vcc, v10, v1, vcc
	global_load_dword v4, v[0:1], off
	v_lshlrev_b64 v[0:1], 4, v[6:7]
	v_add_co_u32_e32 v0, vcc, s10, v0
	v_addc_co_u32_e32 v1, vcc, v11, v1, vcc
	global_load_dwordx4 v[0:3], v[0:1], off
	s_waitcnt vmcnt(1)
	v_cmp_ne_u32_e32 vcc, 1, v4
	s_and_saveexec_b64 s[2:3], vcc
	s_xor_b64 s[2:3], exec, s[2:3]
	s_cbranch_execz .LBB341_27
; %bb.26:                               ;   in Loop: Header=BB341_25 Depth=1
	v_add_u32_e32 v4, v9, v8
	v_lshlrev_b64 v[12:13], 4, v[4:5]
	v_mov_b32_e32 v4, s9
	v_add_co_u32_e32 v20, vcc, s8, v12
	v_addc_co_u32_e32 v21, vcc, v4, v13, vcc
	v_add_u32_e32 v4, s23, v6
	v_lshlrev_b64 v[6:7], 4, v[4:5]
	v_mov_b32_e32 v4, s9
	v_add_co_u32_e32 v6, vcc, s8, v6
	v_addc_co_u32_e32 v7, vcc, v4, v7, vcc
	global_load_dwordx4 v[12:15], v[20:21], off
	global_load_dwordx4 v[16:19], v[6:7], off
	v_subrev_u32_e32 v4, s22, v8
	v_add_u32_e32 v20, v4, v24
	v_ashrrev_i32_e32 v21, 31, v20
	v_add_u32_e32 v4, s23, v20
	v_lshlrev_b64 v[20:21], 4, v[20:21]
	v_mov_b32_e32 v25, s11
	v_lshlrev_b64 v[22:23], 4, v[4:5]
	v_mov_b32_e32 v26, s9
	s_waitcnt vmcnt(0)
	v_fma_f64 v[16:17], -v[0:1], v[12:13], v[16:17]
	v_fma_f64 v[18:19], -v[2:3], v[12:13], v[18:19]
	v_fma_f64 v[16:17], v[2:3], v[14:15], v[16:17]
	v_fma_f64 v[18:19], -v[0:1], v[14:15], v[18:19]
	v_add_co_u32_e32 v0, vcc, s10, v20
	v_addc_co_u32_e32 v1, vcc, v25, v21, vcc
	v_add_co_u32_e32 v20, vcc, s8, v22
	v_addc_co_u32_e32 v21, vcc, v26, v23, vcc
	global_store_dwordx4 v[6:7], v[16:19], off
	global_load_dwordx4 v[0:3], v[0:1], off
	s_nop 0
	global_load_dwordx4 v[16:19], v[20:21], off
	s_waitcnt vmcnt(0)
	v_fma_f64 v[6:7], -v[0:1], v[12:13], v[16:17]
	v_fma_f64 v[16:17], -v[2:3], v[12:13], v[18:19]
	v_fma_f64 v[12:13], v[2:3], v[14:15], v[6:7]
	v_fma_f64 v[14:15], -v[0:1], v[14:15], v[16:17]
                                        ; implicit-def: $vgpr6
                                        ; implicit-def: $vgpr0_vgpr1
	global_store_dwordx4 v[20:21], v[12:15], off
.LBB341_27:                             ;   in Loop: Header=BB341_25 Depth=1
	s_or_saveexec_b64 s[2:3], s[2:3]
	v_mov_b32_e32 v4, s4
	s_xor_b64 exec, exec, s[2:3]
	s_cbranch_execz .LBB341_24
; %bb.28:                               ;   in Loop: Header=BB341_25 Depth=1
	v_add_u32_e32 v4, v9, v8
	v_lshlrev_b64 v[12:13], 4, v[4:5]
	v_mov_b32_e32 v4, s9
	v_add_co_u32_e32 v20, vcc, s8, v12
	v_addc_co_u32_e32 v21, vcc, v4, v13, vcc
	v_add_u32_e32 v4, s23, v6
	v_lshlrev_b64 v[6:7], 4, v[4:5]
	v_mov_b32_e32 v4, s9
	v_add_co_u32_e32 v6, vcc, s8, v6
	v_addc_co_u32_e32 v7, vcc, v4, v7, vcc
	global_load_dwordx4 v[12:15], v[20:21], off
	global_load_dwordx4 v[16:19], v[6:7], off
	v_mov_b32_e32 v4, s22
	s_waitcnt vmcnt(0)
	v_fma_f64 v[16:17], -v[0:1], v[12:13], v[16:17]
	v_fma_f64 v[18:19], -v[2:3], v[12:13], v[18:19]
	v_fma_f64 v[12:13], v[2:3], v[14:15], v[16:17]
	v_fma_f64 v[14:15], -v[0:1], v[14:15], v[18:19]
	global_store_dwordx4 v[6:7], v[12:15], off
	s_branch .LBB341_24
.LBB341_29:
	s_endpgm
	.section	.rodata,"a",@progbits
	.p2align	6, 0x0
	.amdhsa_kernel _ZN9rocsparseL19gtsv_LBM_rhs_kernelILj256ELj128ELj1E21rocsparse_complex_numIdEEEviiiPKT2_S5_S5_PS3_S5_PKi
		.amdhsa_group_segment_fixed_size 0
		.amdhsa_private_segment_fixed_size 0
		.amdhsa_kernarg_size 64
		.amdhsa_user_sgpr_count 6
		.amdhsa_user_sgpr_private_segment_buffer 1
		.amdhsa_user_sgpr_dispatch_ptr 0
		.amdhsa_user_sgpr_queue_ptr 0
		.amdhsa_user_sgpr_kernarg_segment_ptr 1
		.amdhsa_user_sgpr_dispatch_id 0
		.amdhsa_user_sgpr_flat_scratch_init 0
		.amdhsa_user_sgpr_private_segment_size 0
		.amdhsa_uses_dynamic_stack 0
		.amdhsa_system_sgpr_private_segment_wavefront_offset 0
		.amdhsa_system_sgpr_workgroup_id_x 1
		.amdhsa_system_sgpr_workgroup_id_y 1
		.amdhsa_system_sgpr_workgroup_id_z 0
		.amdhsa_system_sgpr_workgroup_info 0
		.amdhsa_system_vgpr_workitem_id 0
		.amdhsa_next_free_vgpr 58
		.amdhsa_next_free_sgpr 28
		.amdhsa_reserve_vcc 1
		.amdhsa_reserve_flat_scratch 0
		.amdhsa_float_round_mode_32 0
		.amdhsa_float_round_mode_16_64 0
		.amdhsa_float_denorm_mode_32 3
		.amdhsa_float_denorm_mode_16_64 3
		.amdhsa_dx10_clamp 1
		.amdhsa_ieee_mode 1
		.amdhsa_fp16_overflow 0
		.amdhsa_exception_fp_ieee_invalid_op 0
		.amdhsa_exception_fp_denorm_src 0
		.amdhsa_exception_fp_ieee_div_zero 0
		.amdhsa_exception_fp_ieee_overflow 0
		.amdhsa_exception_fp_ieee_underflow 0
		.amdhsa_exception_fp_ieee_inexact 0
		.amdhsa_exception_int_div_zero 0
	.end_amdhsa_kernel
	.section	.text._ZN9rocsparseL19gtsv_LBM_rhs_kernelILj256ELj128ELj1E21rocsparse_complex_numIdEEEviiiPKT2_S5_S5_PS3_S5_PKi,"axG",@progbits,_ZN9rocsparseL19gtsv_LBM_rhs_kernelILj256ELj128ELj1E21rocsparse_complex_numIdEEEviiiPKT2_S5_S5_PS3_S5_PKi,comdat
.Lfunc_end341:
	.size	_ZN9rocsparseL19gtsv_LBM_rhs_kernelILj256ELj128ELj1E21rocsparse_complex_numIdEEEviiiPKT2_S5_S5_PS3_S5_PKi, .Lfunc_end341-_ZN9rocsparseL19gtsv_LBM_rhs_kernelILj256ELj128ELj1E21rocsparse_complex_numIdEEEviiiPKT2_S5_S5_PS3_S5_PKi
                                        ; -- End function
	.set _ZN9rocsparseL19gtsv_LBM_rhs_kernelILj256ELj128ELj1E21rocsparse_complex_numIdEEEviiiPKT2_S5_S5_PS3_S5_PKi.num_vgpr, 58
	.set _ZN9rocsparseL19gtsv_LBM_rhs_kernelILj256ELj128ELj1E21rocsparse_complex_numIdEEEviiiPKT2_S5_S5_PS3_S5_PKi.num_agpr, 0
	.set _ZN9rocsparseL19gtsv_LBM_rhs_kernelILj256ELj128ELj1E21rocsparse_complex_numIdEEEviiiPKT2_S5_S5_PS3_S5_PKi.numbered_sgpr, 28
	.set _ZN9rocsparseL19gtsv_LBM_rhs_kernelILj256ELj128ELj1E21rocsparse_complex_numIdEEEviiiPKT2_S5_S5_PS3_S5_PKi.num_named_barrier, 0
	.set _ZN9rocsparseL19gtsv_LBM_rhs_kernelILj256ELj128ELj1E21rocsparse_complex_numIdEEEviiiPKT2_S5_S5_PS3_S5_PKi.private_seg_size, 0
	.set _ZN9rocsparseL19gtsv_LBM_rhs_kernelILj256ELj128ELj1E21rocsparse_complex_numIdEEEviiiPKT2_S5_S5_PS3_S5_PKi.uses_vcc, 1
	.set _ZN9rocsparseL19gtsv_LBM_rhs_kernelILj256ELj128ELj1E21rocsparse_complex_numIdEEEviiiPKT2_S5_S5_PS3_S5_PKi.uses_flat_scratch, 0
	.set _ZN9rocsparseL19gtsv_LBM_rhs_kernelILj256ELj128ELj1E21rocsparse_complex_numIdEEEviiiPKT2_S5_S5_PS3_S5_PKi.has_dyn_sized_stack, 0
	.set _ZN9rocsparseL19gtsv_LBM_rhs_kernelILj256ELj128ELj1E21rocsparse_complex_numIdEEEviiiPKT2_S5_S5_PS3_S5_PKi.has_recursion, 0
	.set _ZN9rocsparseL19gtsv_LBM_rhs_kernelILj256ELj128ELj1E21rocsparse_complex_numIdEEEviiiPKT2_S5_S5_PS3_S5_PKi.has_indirect_call, 0
	.section	.AMDGPU.csdata,"",@progbits
; Kernel info:
; codeLenInByte = 2468
; TotalNumSgprs: 32
; NumVgprs: 58
; ScratchSize: 0
; MemoryBound: 1
; FloatMode: 240
; IeeeMode: 1
; LDSByteSize: 0 bytes/workgroup (compile time only)
; SGPRBlocks: 3
; VGPRBlocks: 14
; NumSGPRsForWavesPerEU: 32
; NumVGPRsForWavesPerEU: 58
; Occupancy: 4
; WaveLimiterHint : 0
; COMPUTE_PGM_RSRC2:SCRATCH_EN: 0
; COMPUTE_PGM_RSRC2:USER_SGPR: 6
; COMPUTE_PGM_RSRC2:TRAP_HANDLER: 0
; COMPUTE_PGM_RSRC2:TGID_X_EN: 1
; COMPUTE_PGM_RSRC2:TGID_Y_EN: 1
; COMPUTE_PGM_RSRC2:TGID_Z_EN: 0
; COMPUTE_PGM_RSRC2:TIDIG_COMP_CNT: 0
	.section	.text._ZN9rocsparseL29gtsv_spike_block_level_kernelILj256ELj128E21rocsparse_complex_numIdEEEviiiPT1_PKS3_S6_S4_S4_S4_S4_S4_,"axG",@progbits,_ZN9rocsparseL29gtsv_spike_block_level_kernelILj256ELj128E21rocsparse_complex_numIdEEEviiiPT1_PKS3_S6_S4_S4_S4_S4_S4_,comdat
	.globl	_ZN9rocsparseL29gtsv_spike_block_level_kernelILj256ELj128E21rocsparse_complex_numIdEEEviiiPT1_PKS3_S6_S4_S4_S4_S4_S4_ ; -- Begin function _ZN9rocsparseL29gtsv_spike_block_level_kernelILj256ELj128E21rocsparse_complex_numIdEEEviiiPT1_PKS3_S6_S4_S4_S4_S4_S4_
	.p2align	8
	.type	_ZN9rocsparseL29gtsv_spike_block_level_kernelILj256ELj128E21rocsparse_complex_numIdEEEviiiPT1_PKS3_S6_S4_S4_S4_S4_S4_,@function
_ZN9rocsparseL29gtsv_spike_block_level_kernelILj256ELj128E21rocsparse_complex_numIdEEEviiiPT1_PKS3_S6_S4_S4_S4_S4_S4_: ; @_ZN9rocsparseL29gtsv_spike_block_level_kernelILj256ELj128E21rocsparse_complex_numIdEEEviiiPT1_PKS3_S6_S4_S4_S4_S4_S4_
; %bb.0:
	s_load_dword s12, s[4:5], 0x0
	s_load_dwordx2 s[8:9], s[4:5], 0x18
	v_lshl_or_b32 v13, s6, 8, v0
	v_mov_b32_e32 v1, 0
	v_mov_b32_e32 v3, 0
	s_waitcnt lgkmcnt(0)
	s_lshr_b32 s21, s12, 7
	v_mov_b32_e32 v5, 0
	v_mov_b32_e32 v2, 0
	;; [unrolled: 1-line block ×4, first 2 shown]
	v_cmp_gt_i32_e64 s[0:1], s21, v13
	s_and_saveexec_b64 s[2:3], s[0:1]
	s_cbranch_execz .LBB342_2
; %bb.1:
	v_ashrrev_i32_e32 v14, 31, v13
	v_lshlrev_b64 v[3:4], 4, v[13:14]
	v_mov_b32_e32 v5, s9
	v_add_co_u32_e32 v3, vcc, s8, v3
	v_addc_co_u32_e32 v4, vcc, v5, v4, vcc
	global_load_dwordx4 v[3:6], v[3:4], off
.LBB342_2:
	s_or_b64 exec, exec, s[2:3]
	s_load_dwordx2 s[2:3], s[4:5], 0x20
	v_lshlrev_b32_e32 v15, 4, v0
	s_waitcnt vmcnt(0)
	ds_write_b128 v15, v[3:6] offset:8192
	v_mov_b32_e32 v3, 0
	v_or_b32_e32 v16, 0x2000, v15
	v_mov_b32_e32 v4, 0
	s_mul_i32 s20, s21, 0x7f
	s_and_saveexec_b64 s[10:11], s[0:1]
	s_cbranch_execz .LBB342_4
; %bb.3:
	s_mul_i32 s13, s21, 0x7f
	v_add_u32_e32 v1, s13, v13
	v_mov_b32_e32 v2, 0
	v_lshlrev_b64 v[1:2], 4, v[1:2]
	v_mov_b32_e32 v3, s9
	v_add_co_u32_e32 v1, vcc, s8, v1
	v_addc_co_u32_e32 v2, vcc, v3, v2, vcc
	global_load_dwordx4 v[1:4], v[1:2], off
.LBB342_4:
	s_or_b64 exec, exec, s[10:11]
	v_mov_b32_e32 v5, 0
	v_mov_b32_e32 v9, 0
	;; [unrolled: 1-line block ×6, first 2 shown]
	s_waitcnt vmcnt(0)
	ds_write_b128 v16, v[1:4] offset:4096
	s_and_saveexec_b64 s[8:9], s[0:1]
	s_cbranch_execz .LBB342_6
; %bb.5:
	v_ashrrev_i32_e32 v14, 31, v13
	v_lshlrev_b64 v[1:2], 4, v[13:14]
	s_waitcnt lgkmcnt(0)
	v_mov_b32_e32 v3, s3
	v_add_co_u32_e32 v1, vcc, s2, v1
	v_addc_co_u32_e32 v2, vcc, v3, v2, vcc
	global_load_dwordx4 v[9:12], v[1:2], off
.LBB342_6:
	s_or_b64 exec, exec, s[8:9]
	s_load_dwordx2 s[16:17], s[4:5], 0x10
	v_mov_b32_e32 v7, 0
	v_mov_b32_e32 v8, 0
	s_waitcnt vmcnt(0)
	ds_write_b128 v15, v[9:12]
	s_and_saveexec_b64 s[8:9], s[0:1]
	s_cbranch_execz .LBB342_8
; %bb.7:
	s_mul_i32 s10, s21, 0x7f
	v_add_u32_e32 v1, s10, v13
	v_mov_b32_e32 v2, 0
	v_lshlrev_b64 v[1:2], 4, v[1:2]
	s_waitcnt lgkmcnt(0)
	v_mov_b32_e32 v3, s3
	v_add_co_u32_e32 v1, vcc, s2, v1
	v_addc_co_u32_e32 v2, vcc, v3, v2, vcc
	global_load_dwordx4 v[5:8], v[1:2], off
.LBB342_8:
	s_or_b64 exec, exec, s[8:9]
	s_waitcnt vmcnt(0)
	ds_write_b128 v15, v[5:8] offset:4096
	v_mov_b32_e32 v1, 0
	s_mul_i32 s22, s12, s7
	v_mov_b32_e32 v5, 0
	v_mov_b32_e32 v7, 0
	;; [unrolled: 1-line block ×5, first 2 shown]
	v_add_u32_e32 v9, s22, v13
	s_waitcnt lgkmcnt(0)
	s_and_saveexec_b64 s[2:3], s[0:1]
	s_cbranch_execz .LBB342_10
; %bb.9:
	v_ashrrev_i32_e32 v10, 31, v9
	v_lshlrev_b64 v[3:4], 4, v[9:10]
	v_mov_b32_e32 v5, s17
	v_add_co_u32_e32 v3, vcc, s16, v3
	v_addc_co_u32_e32 v4, vcc, v5, v4, vcc
	global_load_dwordx4 v[5:8], v[3:4], off
.LBB342_10:
	s_or_b64 exec, exec, s[2:3]
	s_load_dwordx2 s[2:3], s[4:5], 0x48
	s_load_dwordx8 s[8:15], s[4:5], 0x28
	v_mov_b32_e32 v3, 0
	v_or_b32_e32 v11, 0x4000, v15
	v_mov_b32_e32 v4, 0
	s_waitcnt vmcnt(0)
	ds_write_b128 v15, v[5:8] offset:16384
	s_and_saveexec_b64 s[18:19], s[0:1]
	s_cbranch_execz .LBB342_12
; %bb.11:
	s_mul_i32 s23, s21, 0x7f
	s_add_i32 s23, s23, s22
	v_add_u32_e32 v1, s23, v13
	v_mov_b32_e32 v2, 0
	v_lshlrev_b64 v[1:2], 4, v[1:2]
	v_mov_b32_e32 v3, s17
	v_add_co_u32_e32 v1, vcc, s16, v1
	v_addc_co_u32_e32 v2, vcc, v3, v2, vcc
	global_load_dwordx4 v[1:4], v[1:2], off
.LBB342_12:
	s_or_b64 exec, exec, s[18:19]
	v_add_u32_e32 v7, 0x1000, v16
	v_or_b32_e32 v6, 0x1000, v15
	v_add_u32_e32 v5, 0x1000, v11
	s_mov_b32 s22, 2
	s_waitcnt vmcnt(0)
	ds_write_b128 v11, v[1:4] offset:4096
	s_waitcnt lgkmcnt(0)
	s_barrier
	s_branch .LBB342_14
.LBB342_13:                             ;   in Loop: Header=BB342_14 Depth=1
	s_or_b64 exec, exec, s[18:19]
	s_lshl_b32 s18, s22, 1
	s_cmpk_lt_u32 s22, 0x81
	s_mov_b32 s22, s18
	s_waitcnt lgkmcnt(0)
	s_barrier
	s_cbranch_scc0 .LBB342_16
.LBB342_14:                             ; =>This Inner Loop Header: Depth=1
	s_ff1_i32_b32 s18, s22
	s_lshr_b32 s18, 0x100, s18
	v_cmp_gt_u32_e32 vcc, s18, v0
	s_and_saveexec_b64 s[18:19], vcc
	s_cbranch_execz .LBB342_13
; %bb.15:                               ;   in Loop: Header=BB342_14 Depth=1
	v_mul_lo_u32 v8, s22, v0
	s_lshr_b32 s23, s22, 1
	v_add_u32_e32 v10, s23, v8
	v_lshlrev_b32_e32 v12, 4, v10
	ds_read_b128 v[1:4], v12 offset:8192
	ds_read_b128 v[17:20], v12 offset:4080
	ds_read_b128 v[21:24], v12
	ds_read_b128 v[25:28], v12 offset:12272
	v_add_lshl_u32 v10, v10, s23, 4
	v_lshlrev_b32_e32 v8, 4, v8
	s_waitcnt lgkmcnt(2)
	v_mul_f64 v[29:30], v[19:20], v[1:2]
	v_mul_f64 v[31:32], v[19:20], -v[3:4]
	s_waitcnt lgkmcnt(1)
	v_mul_f64 v[57:58], v[23:24], -v[19:20]
	v_mul_f64 v[59:60], v[17:18], v[23:24]
	s_waitcnt lgkmcnt(0)
	v_mul_f64 v[61:62], v[3:4], -v[27:28]
	v_fma_f64 v[29:30], v[3:4], v[17:18], v[29:30]
	v_fma_f64 v[31:32], v[1:2], v[17:18], v[31:32]
	v_add_f64 v[41:42], -v[29:30], 0
	v_add_f64 v[43:44], -v[31:32], 1.0
	v_mul_f64 v[29:30], v[41:42], v[41:42]
	v_fma_f64 v[63:64], v[43:44], 0, -v[41:42]
	v_fma_f64 v[41:42], v[41:42], 0, v[43:44]
	v_fma_f64 v[45:46], v[43:44], v[43:44], v[29:30]
	;; [unrolled: 1-line block ×3, first 2 shown]
	v_div_scale_f64 v[29:30], s[24:25], v[45:46], v[45:46], 1.0
	v_rcp_f64_e32 v[31:32], v[29:30]
	v_fma_f64 v[33:34], -v[29:30], v[31:32], 1.0
	v_fma_f64 v[31:32], v[31:32], v[33:34], v[31:32]
	v_div_scale_f64 v[33:34], vcc, 1.0, v[45:46], 1.0
	v_fma_f64 v[35:36], -v[29:30], v[31:32], 1.0
	v_fma_f64 v[31:32], v[31:32], v[35:36], v[31:32]
	v_mul_f64 v[35:36], v[33:34], v[31:32]
	v_fma_f64 v[29:30], -v[29:30], v[35:36], v[33:34]
	v_div_fmas_f64 v[47:48], v[29:30], v[31:32], v[35:36]
	ds_read_b128 v[29:32], v12 offset:16384
	ds_read_b128 v[33:36], v12 offset:20464
	;; [unrolled: 1-line block ×3, first 2 shown]
	s_waitcnt lgkmcnt(2)
	v_mul_f64 v[49:50], v[17:18], v[31:32]
	v_mul_f64 v[51:52], v[31:32], -v[19:20]
	s_waitcnt lgkmcnt(1)
	v_mul_f64 v[53:54], v[3:4], -v[35:36]
	v_mul_f64 v[55:56], v[3:4], v[33:34]
	v_mul_f64 v[3:4], v[3:4], v[25:26]
	v_fma_f64 v[49:50], v[19:20], v[29:30], v[49:50]
	v_fma_f64 v[19:20], v[19:20], v[21:22], v[59:60]
	;; [unrolled: 1-line block ×3, first 2 shown]
	v_div_fixup_f64 v[45:46], v[47:48], v[45:46], 1.0
	v_fma_f64 v[47:48], v[17:18], v[29:30], v[51:52]
	v_fma_f64 v[51:52], v[35:36], v[1:2], v[55:56]
	;; [unrolled: 1-line block ×3, first 2 shown]
	v_add_f64 v[17:18], v[35:36], -v[49:50]
	v_add_f64 v[49:50], v[29:30], -v[53:54]
	v_mul_f64 v[35:36], v[63:64], v[45:46]
	v_add_f64 v[33:34], v[33:34], -v[47:48]
	v_mul_f64 v[45:46], v[41:42], v[45:46]
	v_add_f64 v[47:48], v[31:32], -v[51:52]
	v_fma_f64 v[29:30], v[25:26], v[1:2], v[61:62]
	v_mul_f64 v[53:54], v[35:36], v[19:20]
	v_mul_f64 v[31:32], v[35:36], v[33:34]
	v_mul_f64 v[55:56], v[19:20], -v[45:46]
	v_mul_f64 v[19:20], v[35:36], v[3:4]
	v_mul_f64 v[57:58], v[3:4], -v[45:46]
	v_mul_f64 v[59:60], v[27:28], -v[35:36]
	v_mul_f64 v[27:28], v[45:46], v[27:28]
	v_mul_f64 v[1:2], v[35:36], -v[17:18]
	;; [unrolled: 3-line block ×3, first 2 shown]
	v_mul_f64 v[51:52], v[49:50], v[35:36]
	v_fma_f64 v[3:4], v[17:18], v[45:46], v[31:32]
	v_fma_f64 v[17:18], -v[45:46], v[29:30], v[19:20]
	v_fma_f64 v[19:20], -v[35:36], v[29:30], v[57:58]
	v_fma_f64 v[23:24], v[45:46], v[25:26], v[59:60]
	v_fma_f64 v[25:26], v[35:36], v[25:26], v[27:28]
	v_fma_f64 v[27:28], -v[45:46], v[43:44], v[53:54]
	v_fma_f64 v[29:30], -v[35:36], v[43:44], v[55:56]
	v_fma_f64 v[1:2], v[33:34], v[45:46], v[1:2]
	v_fma_f64 v[31:32], v[45:46], v[21:22], v[61:62]
	v_fma_f64 v[33:34], v[35:36], v[21:22], v[63:64]
	v_fma_f64 v[41:42], v[49:50], v[45:46], v[41:42]
	v_fma_f64 v[43:44], v[47:48], v[45:46], v[51:52]
	ds_write_b128 v12, v[17:20] offset:8192
	ds_write_b128 v12, v[23:26] offset:12272
	ds_read_b128 v[21:24], v8
	ds_read_b128 v[45:48], v8 offset:8192
	ds_write_b128 v12, v[27:30] offset:4080
	ds_write_b128 v12, v[31:34]
	ds_read_b128 v[25:28], v8
	ds_write_b128 v12, v[1:4] offset:20464
	ds_write_b128 v12, v[41:44] offset:16384
	s_waitcnt lgkmcnt(6)
	v_mul_f64 v[29:30], v[43:44], -v[23:24]
	v_mul_f64 v[35:36], v[43:44], v[21:22]
	ds_read_b128 v[1:4], v8 offset:16384
	s_waitcnt lgkmcnt(3)
	v_mul_f64 v[49:50], v[19:20], -v[27:28]
	v_mul_f64 v[19:20], v[19:20], v[25:26]
	v_mul_f64 v[43:44], v[33:34], v[27:28]
	v_mul_f64 v[33:34], v[33:34], -v[25:26]
	v_fma_f64 v[21:22], v[21:22], v[41:42], v[29:30]
	v_fma_f64 v[23:24], v[23:24], v[41:42], v[35:36]
	;; [unrolled: 1-line block ×4, first 2 shown]
	v_fma_f64 v[17:18], -v[25:26], v[31:32], v[43:44]
	v_fma_f64 v[19:20], -v[27:28], v[31:32], v[33:34]
	s_waitcnt lgkmcnt(0)
	v_add_f64 v[1:2], v[1:2], -v[21:22]
	v_add_f64 v[3:4], v[3:4], -v[23:24]
	ds_write_b128 v8, v[17:20]
	ds_write_b128 v8, v[1:4] offset:16384
	v_add_f64 v[21:22], v[45:46], -v[29:30]
	v_add_f64 v[23:24], v[47:48], -v[35:36]
	ds_read_b128 v[1:4], v12 offset:20464
	ds_read_b128 v[17:20], v12 offset:4080
	s_waitcnt lgkmcnt(1)
	v_mul_f64 v[41:42], v[3:4], -v[39:40]
	v_mul_f64 v[3:4], v[3:4], v[37:38]
	ds_write_b128 v8, v[21:24] offset:8192
	ds_read_b128 v[21:24], v10 offset:12272
	ds_read_b128 v[25:28], v10 offset:4080
	;; [unrolled: 1-line block ×4, first 2 shown]
	s_waitcnt lgkmcnt(3)
	v_mul_f64 v[43:44], v[23:24], -v[19:20]
	v_mul_f64 v[45:46], v[23:24], v[17:18]
	v_fma_f64 v[37:38], v[37:38], v[1:2], v[41:42]
	v_fma_f64 v[3:4], v[39:40], v[1:2], v[3:4]
	s_waitcnt lgkmcnt(1)
	v_mul_f64 v[47:48], v[23:24], v[31:32]
	v_mul_f64 v[31:32], v[31:32], -v[21:22]
	v_fma_f64 v[39:40], v[17:18], v[21:22], v[43:44]
	v_fma_f64 v[41:42], v[19:20], v[21:22], v[45:46]
	s_waitcnt lgkmcnt(0)
	v_add_f64 v[17:18], v[33:34], -v[37:38]
	v_add_f64 v[19:20], v[35:36], -v[3:4]
	v_fma_f64 v[1:2], -v[21:22], v[29:30], v[47:48]
	v_fma_f64 v[3:4], -v[23:24], v[29:30], v[31:32]
	v_add_f64 v[25:26], v[25:26], -v[39:40]
	v_add_f64 v[27:28], v[27:28], -v[41:42]
	ds_write_b128 v10, v[17:20] offset:20464
	ds_write_b128 v10, v[25:28] offset:4080
	;; [unrolled: 1-line block ×3, first 2 shown]
	s_branch .LBB342_13
.LBB342_16:
	s_and_saveexec_b64 s[18:19], s[0:1]
	s_cbranch_execnz .LBB342_19
; %bb.17:
	s_or_b64 exec, exec, s[18:19]
	v_cmp_eq_u32_e32 vcc, 0, v0
	s_and_saveexec_b64 s[0:1], vcc
	s_cbranch_execnz .LBB342_23
.LBB342_18:
	s_endpgm
.LBB342_19:
	s_cmp_eq_u32 s7, 0
	s_cbranch_scc1 .LBB342_27
; %bb.20:
	s_mulk_i32 s21, 0x7f
	s_cbranch_execnz .LBB342_22
.LBB342_21:
	v_ashrrev_i32_e32 v14, 31, v13
	ds_read2_b64 v[1:4], v16 offset1:1
	v_lshlrev_b64 v[20:21], 4, v[13:14]
	v_mov_b32_e32 v8, s9
	v_add_co_u32_e32 v22, vcc, s8, v20
	v_addc_co_u32_e32 v23, vcc, v8, v21, vcc
	ds_read2_b64 v[16:19], v7 offset1:1
	s_waitcnt lgkmcnt(1)
	global_store_dwordx4 v[22:23], v[1:4], off
	v_mov_b32_e32 v10, s11
	v_add_u32_e32 v1, s20, v13
	v_mov_b32_e32 v2, 0
	v_lshlrev_b64 v[7:8], 4, v[1:2]
	v_mov_b32_e32 v2, s9
	v_add_co_u32_e32 v1, vcc, s8, v7
	v_addc_co_u32_e32 v2, vcc, v2, v8, vcc
	s_waitcnt lgkmcnt(0)
	global_store_dwordx4 v[1:2], v[16:19], off
	ds_read2_b64 v[1:4], v15 offset1:1
	ds_read2_b64 v[12:15], v6 offset1:1
	v_add_co_u32_e32 v16, vcc, s10, v20
	v_addc_co_u32_e32 v17, vcc, v10, v21, vcc
	s_waitcnt lgkmcnt(1)
	global_store_dwordx4 v[16:17], v[1:4], off
	s_mov_b32 s21, s20
	v_mov_b32_e32 v2, s11
	v_add_co_u32_e32 v1, vcc, s10, v7
	v_addc_co_u32_e32 v2, vcc, v2, v8, vcc
	s_waitcnt lgkmcnt(0)
	global_store_dwordx4 v[1:2], v[12:15], off
.LBB342_22:
	v_ashrrev_i32_e32 v10, 31, v9
	ds_read2_b64 v[1:4], v11 offset1:1
	v_lshlrev_b64 v[6:7], 4, v[9:10]
	v_mov_b32_e32 v8, s17
	v_add_co_u32_e32 v10, vcc, s16, v6
	v_addc_co_u32_e32 v11, vcc, v8, v7, vcc
	ds_read2_b64 v[5:8], v5 offset1:1
	s_waitcnt lgkmcnt(1)
	global_store_dwordx4 v[10:11], v[1:4], off
	s_nop 0
	v_add_u32_e32 v1, s21, v9
	v_mov_b32_e32 v2, 0
	v_lshlrev_b64 v[1:2], 4, v[1:2]
	v_mov_b32_e32 v3, s17
	v_add_co_u32_e32 v1, vcc, s16, v1
	v_addc_co_u32_e32 v2, vcc, v3, v2, vcc
	s_waitcnt lgkmcnt(0)
	global_store_dwordx4 v[1:2], v[5:8], off
	s_or_b64 exec, exec, s[18:19]
	v_cmp_eq_u32_e32 vcc, 0, v0
	s_and_saveexec_b64 s[0:1], vcc
	s_cbranch_execz .LBB342_18
.LBB342_23:
	s_cmp_eq_u32 s7, 0
	s_cbranch_scc1 .LBB342_28
; %bb.24:
	s_load_dword s8, s[4:5], 0x50
	s_cbranch_execnz .LBB342_26
.LBB342_25:
	v_mov_b32_e32 v8, 0
	ds_read_b128 v[0:3], v8 offset:8192
	ds_read_b128 v[4:7], v8 offset:16368
	s_waitcnt lgkmcnt(0)
	s_load_dword s8, s[4:5], 0x50
	s_mov_b32 s0, s7
	s_ashr_i32 s7, s6, 31
	s_lshl_b64 s[10:11], s[6:7], 4
	s_mov_b32 s7, s0
	s_add_u32 s0, s14, s10
	s_addc_u32 s1, s15, s11
	global_store_dwordx4 v8, v[0:3], s[0:1]
	s_waitcnt lgkmcnt(0)
	s_add_i32 s0, s8, s6
	s_mov_b32 s1, 0
	s_lshl_b64 s[0:1], s[0:1], 4
	s_add_u32 s4, s14, s0
	s_addc_u32 s5, s15, s1
	ds_read_b128 v[0:3], v8
	global_store_dwordx4 v8, v[4:7], s[4:5]
	ds_read_b128 v[4:7], v8 offset:8176
	s_add_u32 s4, s2, s10
	s_addc_u32 s5, s3, s11
	s_add_u32 s0, s2, s0
	s_addc_u32 s1, s3, s1
	s_waitcnt lgkmcnt(1)
	global_store_dwordx4 v8, v[0:3], s[4:5]
	s_waitcnt lgkmcnt(0)
	global_store_dwordx4 v8, v[4:7], s[0:1]
.LBB342_26:
	s_waitcnt lgkmcnt(0)
	s_mul_i32 s0, s8, s7
	s_lshl_b32 s0, s0, 1
	s_add_i32 s0, s0, s6
	s_mov_b32 s1, 0
	v_mov_b32_e32 v8, 0
	s_lshl_b64 s[2:3], s[0:1], 4
	ds_read_b128 v[0:3], v8 offset:16384
	ds_read_b128 v[4:7], v8 offset:24560
	s_add_u32 s2, s12, s2
	s_addc_u32 s3, s13, s3
	s_add_i32 s0, s0, s8
	s_lshl_b64 s[0:1], s[0:1], 4
	s_add_u32 s0, s12, s0
	s_addc_u32 s1, s13, s1
	s_waitcnt lgkmcnt(1)
	global_store_dwordx4 v8, v[0:3], s[2:3]
	s_waitcnt lgkmcnt(0)
	global_store_dwordx4 v8, v[4:7], s[0:1]
	s_endpgm
.LBB342_27:
                                        ; implicit-def: $sgpr21
	s_branch .LBB342_21
.LBB342_28:
                                        ; implicit-def: $sgpr8
	s_branch .LBB342_25
	.section	.rodata,"a",@progbits
	.p2align	6, 0x0
	.amdhsa_kernel _ZN9rocsparseL29gtsv_spike_block_level_kernelILj256ELj128E21rocsparse_complex_numIdEEEviiiPT1_PKS3_S6_S4_S4_S4_S4_S4_
		.amdhsa_group_segment_fixed_size 24576
		.amdhsa_private_segment_fixed_size 0
		.amdhsa_kernarg_size 336
		.amdhsa_user_sgpr_count 6
		.amdhsa_user_sgpr_private_segment_buffer 1
		.amdhsa_user_sgpr_dispatch_ptr 0
		.amdhsa_user_sgpr_queue_ptr 0
		.amdhsa_user_sgpr_kernarg_segment_ptr 1
		.amdhsa_user_sgpr_dispatch_id 0
		.amdhsa_user_sgpr_flat_scratch_init 0
		.amdhsa_user_sgpr_private_segment_size 0
		.amdhsa_uses_dynamic_stack 0
		.amdhsa_system_sgpr_private_segment_wavefront_offset 0
		.amdhsa_system_sgpr_workgroup_id_x 1
		.amdhsa_system_sgpr_workgroup_id_y 1
		.amdhsa_system_sgpr_workgroup_id_z 0
		.amdhsa_system_sgpr_workgroup_info 0
		.amdhsa_system_vgpr_workitem_id 0
		.amdhsa_next_free_vgpr 85
		.amdhsa_next_free_sgpr 98
		.amdhsa_reserve_vcc 1
		.amdhsa_reserve_flat_scratch 0
		.amdhsa_float_round_mode_32 0
		.amdhsa_float_round_mode_16_64 0
		.amdhsa_float_denorm_mode_32 3
		.amdhsa_float_denorm_mode_16_64 3
		.amdhsa_dx10_clamp 1
		.amdhsa_ieee_mode 1
		.amdhsa_fp16_overflow 0
		.amdhsa_exception_fp_ieee_invalid_op 0
		.amdhsa_exception_fp_denorm_src 0
		.amdhsa_exception_fp_ieee_div_zero 0
		.amdhsa_exception_fp_ieee_overflow 0
		.amdhsa_exception_fp_ieee_underflow 0
		.amdhsa_exception_fp_ieee_inexact 0
		.amdhsa_exception_int_div_zero 0
	.end_amdhsa_kernel
	.section	.text._ZN9rocsparseL29gtsv_spike_block_level_kernelILj256ELj128E21rocsparse_complex_numIdEEEviiiPT1_PKS3_S6_S4_S4_S4_S4_S4_,"axG",@progbits,_ZN9rocsparseL29gtsv_spike_block_level_kernelILj256ELj128E21rocsparse_complex_numIdEEEviiiPT1_PKS3_S6_S4_S4_S4_S4_S4_,comdat
.Lfunc_end342:
	.size	_ZN9rocsparseL29gtsv_spike_block_level_kernelILj256ELj128E21rocsparse_complex_numIdEEEviiiPT1_PKS3_S6_S4_S4_S4_S4_S4_, .Lfunc_end342-_ZN9rocsparseL29gtsv_spike_block_level_kernelILj256ELj128E21rocsparse_complex_numIdEEEviiiPT1_PKS3_S6_S4_S4_S4_S4_S4_
                                        ; -- End function
	.set _ZN9rocsparseL29gtsv_spike_block_level_kernelILj256ELj128E21rocsparse_complex_numIdEEEviiiPT1_PKS3_S6_S4_S4_S4_S4_S4_.num_vgpr, 65
	.set _ZN9rocsparseL29gtsv_spike_block_level_kernelILj256ELj128E21rocsparse_complex_numIdEEEviiiPT1_PKS3_S6_S4_S4_S4_S4_S4_.num_agpr, 0
	.set _ZN9rocsparseL29gtsv_spike_block_level_kernelILj256ELj128E21rocsparse_complex_numIdEEEviiiPT1_PKS3_S6_S4_S4_S4_S4_S4_.numbered_sgpr, 26
	.set _ZN9rocsparseL29gtsv_spike_block_level_kernelILj256ELj128E21rocsparse_complex_numIdEEEviiiPT1_PKS3_S6_S4_S4_S4_S4_S4_.num_named_barrier, 0
	.set _ZN9rocsparseL29gtsv_spike_block_level_kernelILj256ELj128E21rocsparse_complex_numIdEEEviiiPT1_PKS3_S6_S4_S4_S4_S4_S4_.private_seg_size, 0
	.set _ZN9rocsparseL29gtsv_spike_block_level_kernelILj256ELj128E21rocsparse_complex_numIdEEEviiiPT1_PKS3_S6_S4_S4_S4_S4_S4_.uses_vcc, 1
	.set _ZN9rocsparseL29gtsv_spike_block_level_kernelILj256ELj128E21rocsparse_complex_numIdEEEviiiPT1_PKS3_S6_S4_S4_S4_S4_S4_.uses_flat_scratch, 0
	.set _ZN9rocsparseL29gtsv_spike_block_level_kernelILj256ELj128E21rocsparse_complex_numIdEEEviiiPT1_PKS3_S6_S4_S4_S4_S4_S4_.has_dyn_sized_stack, 0
	.set _ZN9rocsparseL29gtsv_spike_block_level_kernelILj256ELj128E21rocsparse_complex_numIdEEEviiiPT1_PKS3_S6_S4_S4_S4_S4_S4_.has_recursion, 0
	.set _ZN9rocsparseL29gtsv_spike_block_level_kernelILj256ELj128E21rocsparse_complex_numIdEEEviiiPT1_PKS3_S6_S4_S4_S4_S4_S4_.has_indirect_call, 0
	.section	.AMDGPU.csdata,"",@progbits
; Kernel info:
; codeLenInByte = 2380
; TotalNumSgprs: 30
; NumVgprs: 65
; ScratchSize: 0
; MemoryBound: 1
; FloatMode: 240
; IeeeMode: 1
; LDSByteSize: 24576 bytes/workgroup (compile time only)
; SGPRBlocks: 12
; VGPRBlocks: 21
; NumSGPRsForWavesPerEU: 102
; NumVGPRsForWavesPerEU: 85
; Occupancy: 2
; WaveLimiterHint : 0
; COMPUTE_PGM_RSRC2:SCRATCH_EN: 0
; COMPUTE_PGM_RSRC2:USER_SGPR: 6
; COMPUTE_PGM_RSRC2:TRAP_HANDLER: 0
; COMPUTE_PGM_RSRC2:TGID_X_EN: 1
; COMPUTE_PGM_RSRC2:TGID_Y_EN: 1
; COMPUTE_PGM_RSRC2:TGID_Z_EN: 0
; COMPUTE_PGM_RSRC2:TIDIG_COMP_CNT: 0
	.section	.text._ZN9rocsparseL33gtsv_solve_spike_propagate_kernelILj256ELj128E21rocsparse_complex_numIdEEEviiiPT1_PKS3_S6_S6_,"axG",@progbits,_ZN9rocsparseL33gtsv_solve_spike_propagate_kernelILj256ELj128E21rocsparse_complex_numIdEEEviiiPT1_PKS3_S6_S6_,comdat
	.globl	_ZN9rocsparseL33gtsv_solve_spike_propagate_kernelILj256ELj128E21rocsparse_complex_numIdEEEviiiPT1_PKS3_S6_S6_ ; -- Begin function _ZN9rocsparseL33gtsv_solve_spike_propagate_kernelILj256ELj128E21rocsparse_complex_numIdEEEviiiPT1_PKS3_S6_S6_
	.p2align	8
	.type	_ZN9rocsparseL33gtsv_solve_spike_propagate_kernelILj256ELj128E21rocsparse_complex_numIdEEEviiiPT1_PKS3_S6_S6_,@function
_ZN9rocsparseL33gtsv_solve_spike_propagate_kernelILj256ELj128E21rocsparse_complex_numIdEEEviiiPT1_PKS3_S6_S6_: ; @_ZN9rocsparseL33gtsv_solve_spike_propagate_kernelILj256ELj128E21rocsparse_complex_numIdEEEviiiPT1_PKS3_S6_S6_
; %bb.0:
	s_load_dword s10, s[4:5], 0x0
	v_lshl_or_b32 v9, s6, 8, v0
	v_lshlrev_b32_e32 v11, 4, v0
	s_waitcnt lgkmcnt(0)
	s_lshr_b32 s20, s10, 7
	v_cmp_gt_i32_e32 vcc, s20, v9
	v_cmp_le_i32_e64 s[0:1], s20, v9
	s_and_saveexec_b64 s[2:3], s[0:1]
	s_xor_b64 s[2:3], exec, s[2:3]
; %bb.1:
	v_mov_b32_e32 v1, 0
	v_mov_b32_e32 v2, v1
	;; [unrolled: 1-line block ×4, first 2 shown]
	ds_write_b128 v11, v[1:4] offset:16416
; %bb.2:
	s_or_saveexec_b64 s[8:9], s[2:3]
	v_mov_b32_e32 v1, 0
	v_mov_b32_e32 v3, 0
	;; [unrolled: 1-line block ×3, first 2 shown]
	v_ashrrev_i32_e32 v10, 31, v9
	v_mov_b32_e32 v4, 0
	s_mulk_i32 s20, 0x7f
	s_xor_b64 exec, exec, s[8:9]
	s_cbranch_execz .LBB343_4
; %bb.3:
	s_load_dwordx2 s[12:13], s[4:5], 0x18
	v_lshlrev_b64 v[1:2], 4, v[9:10]
	s_waitcnt lgkmcnt(0)
	v_mov_b32_e32 v3, s13
	v_add_co_u32_e64 v12, s[2:3], s12, v1
	v_addc_co_u32_e64 v13, s[2:3], v3, v2, s[2:3]
	v_add_u32_e32 v1, s20, v9
	v_mov_b32_e32 v2, 0
	v_lshlrev_b64 v[1:2], 4, v[1:2]
	v_add_co_u32_e64 v14, s[2:3], s12, v1
	v_addc_co_u32_e64 v15, s[2:3], v3, v2, s[2:3]
	global_load_dwordx4 v[5:8], v[12:13], off
	global_load_dwordx4 v[1:4], v[14:15], off
	s_waitcnt vmcnt(1)
	ds_write_b128 v11, v[5:8] offset:16416
.LBB343_4:
	s_or_b64 exec, exec, s[8:9]
	s_waitcnt vmcnt(0)
	ds_write_b128 v11, v[1:4] offset:20512
	s_and_saveexec_b64 s[2:3], s[0:1]
	s_xor_b64 s[0:1], exec, s[2:3]
; %bb.5:
	v_mov_b32_e32 v1, 0
	v_mov_b32_e32 v2, v1
	;; [unrolled: 1-line block ×4, first 2 shown]
	ds_write_b128 v11, v[1:4] offset:8224
; %bb.6:
	s_or_saveexec_b64 s[8:9], s[0:1]
	s_load_dwordx2 s[2:3], s[4:5], 0x10
	v_mov_b32_e32 v3, 0
	v_mov_b32_e32 v5, 0
	;; [unrolled: 1-line block ×6, first 2 shown]
	s_xor_b64 exec, exec, s[8:9]
	s_cbranch_execz .LBB343_8
; %bb.7:
	s_load_dwordx2 s[12:13], s[4:5], 0x20
	v_lshlrev_b64 v[1:2], 4, v[9:10]
	v_mov_b32_e32 v6, 0
	s_waitcnt lgkmcnt(0)
	v_mov_b32_e32 v5, s13
	v_add_co_u32_e64 v1, s[0:1], s12, v1
	v_addc_co_u32_e64 v2, s[0:1], v5, v2, s[0:1]
	v_add_u32_e32 v5, s20, v9
	v_lshlrev_b64 v[5:6], 4, v[5:6]
	v_mov_b32_e32 v7, s13
	v_add_co_u32_e64 v16, s[0:1], s12, v5
	v_addc_co_u32_e64 v17, s[0:1], v7, v6, s[0:1]
	global_load_dwordx4 v[12:15], v[1:2], off
	global_load_dwordx4 v[5:8], v[16:17], off
	s_waitcnt vmcnt(1)
	ds_write_b128 v11, v[12:15] offset:8224
.LBB343_8:
	s_or_b64 exec, exec, s[8:9]
	v_mov_b32_e32 v1, 0
	v_mov_b32_e32 v2, 0
	s_mul_i32 s10, s10, s7
	s_waitcnt vmcnt(0)
	ds_write_b128 v11, v[5:8] offset:12320
	s_and_saveexec_b64 s[8:9], vcc
	s_cbranch_execz .LBB343_10
; %bb.9:
	s_add_i32 s0, s20, s10
	v_add_u32_e32 v1, s0, v9
	v_mov_b32_e32 v2, 0
	v_lshlrev_b64 v[1:2], 4, v[1:2]
	s_waitcnt lgkmcnt(0)
	v_mov_b32_e32 v3, s3
	v_add_co_u32_e64 v1, s[0:1], s2, v1
	v_addc_co_u32_e64 v2, s[0:1], v3, v2, s[0:1]
	global_load_dwordx4 v[1:4], v[1:2], off
.LBB343_10:
	s_or_b64 exec, exec, s[8:9]
	s_waitcnt vmcnt(0)
	ds_write_b128 v11, v[1:4] offset:16
	v_mov_b32_e32 v3, 0
	v_mov_b32_e32 v1, 0
	;; [unrolled: 1-line block ×4, first 2 shown]
	v_add_u32_e32 v5, s10, v9
	s_and_saveexec_b64 s[8:9], vcc
	s_cbranch_execz .LBB343_12
; %bb.11:
	v_ashrrev_i32_e32 v6, 31, v5
	v_lshlrev_b64 v[1:2], 4, v[5:6]
	s_waitcnt lgkmcnt(0)
	v_mov_b32_e32 v3, s3
	v_add_co_u32_e64 v1, s[0:1], s2, v1
	v_addc_co_u32_e64 v2, s[0:1], v3, v2, s[0:1]
	global_load_dwordx4 v[1:4], v[1:2], off
.LBB343_12:
	s_or_b64 exec, exec, s[8:9]
	v_cmp_eq_u32_e64 s[0:1], 0, v0
	s_waitcnt vmcnt(0)
	ds_write_b128 v11, v[1:4] offset:4112
	s_waitcnt lgkmcnt(0)
	s_barrier
	s_and_saveexec_b64 s[16:17], s[0:1]
	s_cbranch_execz .LBB343_18
; %bb.13:
	s_load_dword s21, s[4:5], 0x30
	s_load_dwordx2 s[18:19], s[4:5], 0x28
	s_cmp_lt_i32 s6, 1
	s_mov_b64 s[10:11], 0
	s_mov_b64 s[14:15], 0
	s_waitcnt lgkmcnt(0)
	s_mul_i32 s7, s7, s21
	s_mov_b64 s[12:13], 0
	s_cbranch_scc1 .LBB343_15
; %bb.14:
	s_lshl_b32 s4, s7, 1
	s_add_i32 s5, s6, s21
	s_add_i32 s4, s5, s4
	s_add_i32 s4, s4, -1
	s_mov_b32 s5, 0
	s_lshl_b64 s[4:5], s[4:5], 4
	s_add_u32 s4, s18, s4
	s_addc_u32 s5, s19, s5
	s_load_dwordx4 s[12:15], s[4:5], 0x0
.LBB343_15:
	s_add_i32 s4, s21, -1
	s_waitcnt lgkmcnt(0)
	v_mov_b32_e32 v6, s12
	v_mov_b32_e32 v7, s13
	v_mov_b32_e32 v8, s14
	v_mov_b32_e32 v9, s15
	v_mov_b32_e32 v1, 0
	s_cmp_ge_u32 s6, s4
	s_mov_b64 s[8:9], 0
	ds_write_b128 v1, v[6:9]
	s_cbranch_scc1 .LBB343_17
; %bb.16:
	s_lshl_b32 s4, s7, 1
	s_add_i32 s4, s6, s4
	s_add_i32 s4, s4, 1
	s_mov_b32 s5, 0
	s_lshl_b64 s[4:5], s[4:5], 4
	s_add_u32 s4, s18, s4
	s_addc_u32 s5, s19, s5
	s_load_dwordx4 s[8:11], s[4:5], 0x0
.LBB343_17:
	s_lshl_b32 s4, s7, 1
	s_add_i32 s4, s4, s6
	s_mov_b32 s5, 0
	s_lshl_b64 s[6:7], s[4:5], 4
	s_add_u32 s6, s18, s6
	s_addc_u32 s7, s19, s7
	s_add_i32 s4, s4, s21
	s_lshl_b64 s[4:5], s[4:5], 4
	s_add_u32 s4, s18, s4
	s_addc_u32 s5, s19, s5
	global_load_dwordx4 v[6:9], v1, s[6:7]
	global_load_dwordx4 v[12:15], v1, s[4:5]
	s_waitcnt lgkmcnt(0)
	v_mov_b32_e32 v16, s8
	v_mov_b32_e32 v17, s9
	;; [unrolled: 1-line block ×4, first 2 shown]
	ds_write_b128 v1, v[16:19] offset:8208
	s_waitcnt vmcnt(1)
	ds_write_b128 v1, v[6:9] offset:4112
	s_waitcnt vmcnt(0)
	ds_write_b128 v1, v[12:15] offset:4096
.LBB343_18:
	s_or_b64 exec, exec, s[16:17]
	v_add_u32_e32 v1, 16, v11
	v_add_u32_e32 v2, 0x1010, v11
	s_waitcnt lgkmcnt(0)
	s_barrier
	s_and_saveexec_b64 s[4:5], s[0:1]
	s_cbranch_execz .LBB343_20
; %bb.19:
	v_mov_b32_e32 v42, 0
	ds_read_b128 v[6:9], v42 offset:8208
	ds_read_b128 v[10:13], v42 offset:14352
	;; [unrolled: 1-line block ×5, first 2 shown]
	ds_read_b128 v[26:29], v42
	ds_read_b128 v[30:33], v42 offset:22544
	ds_read_b128 v[34:37], v42 offset:18464
	s_waitcnt lgkmcnt(6)
	v_mul_f64 v[3:4], v[8:9], -v[12:13]
	v_mul_f64 v[38:39], v[8:9], v[10:11]
	s_waitcnt lgkmcnt(5)
	v_mul_f64 v[40:41], v[8:9], -v[16:17]
	v_mul_f64 v[8:9], v[8:9], v[14:15]
	v_fma_f64 v[3:4], v[10:11], v[6:7], v[3:4]
	v_fma_f64 v[10:11], v[12:13], v[6:7], v[38:39]
	s_waitcnt lgkmcnt(1)
	v_mul_f64 v[12:13], v[28:29], -v[32:33]
	v_mul_f64 v[38:39], v[28:29], v[30:31]
	v_fma_f64 v[14:15], v[14:15], v[6:7], v[40:41]
	s_waitcnt lgkmcnt(0)
	v_mul_f64 v[40:41], v[28:29], -v[36:37]
	v_mul_f64 v[28:29], v[28:29], v[34:35]
	v_fma_f64 v[6:7], v[16:17], v[6:7], v[8:9]
	v_add_f64 v[3:4], v[22:23], -v[3:4]
	v_add_f64 v[8:9], v[24:25], -v[10:11]
	v_fma_f64 v[10:11], v[30:31], v[26:27], v[12:13]
	v_fma_f64 v[12:13], v[32:33], v[26:27], v[38:39]
	v_add_f64 v[14:15], v[18:19], -v[14:15]
	v_fma_f64 v[16:17], v[34:35], v[26:27], v[40:41]
	v_fma_f64 v[18:19], v[36:37], v[26:27], v[28:29]
	v_add_f64 v[20:21], v[20:21], -v[6:7]
	v_add_f64 v[6:7], v[3:4], -v[10:11]
	;; [unrolled: 1-line block ×5, first 2 shown]
	ds_write_b128 v42, v[6:9] offset:2048
	ds_write_b128 v42, v[10:13] offset:6160
.LBB343_20:
	s_or_b64 exec, exec, s[4:5]
	v_cmp_gt_u32_e64 s[0:1], 2, v0
	s_waitcnt lgkmcnt(0)
	s_barrier
	s_and_saveexec_b64 s[4:5], s[0:1]
	s_cbranch_execz .LBB343_22
; %bb.21:
	v_lshlrev_b32_e32 v42, 11, v0
	ds_read_b128 v[6:9], v42 offset:6160
	ds_read_b128 v[10:13], v42 offset:13328
	ds_read_b128 v[14:17], v42 offset:9248
	ds_read_b128 v[18:21], v42 offset:5136
	ds_read_b128 v[22:25], v42 offset:1024
	ds_read_b128 v[26:29], v42
	ds_read_b128 v[30:33], v42 offset:21520
	ds_read_b128 v[34:37], v42 offset:17440
	s_waitcnt lgkmcnt(6)
	v_mul_f64 v[3:4], v[8:9], -v[12:13]
	v_mul_f64 v[38:39], v[8:9], v[10:11]
	s_waitcnt lgkmcnt(5)
	v_mul_f64 v[40:41], v[8:9], -v[16:17]
	v_mul_f64 v[8:9], v[8:9], v[14:15]
	v_fma_f64 v[3:4], v[10:11], v[6:7], v[3:4]
	v_fma_f64 v[10:11], v[12:13], v[6:7], v[38:39]
	s_waitcnt lgkmcnt(1)
	v_mul_f64 v[12:13], v[28:29], -v[32:33]
	v_mul_f64 v[38:39], v[28:29], v[30:31]
	v_fma_f64 v[14:15], v[14:15], v[6:7], v[40:41]
	s_waitcnt lgkmcnt(0)
	v_mul_f64 v[40:41], v[28:29], -v[36:37]
	v_mul_f64 v[28:29], v[28:29], v[34:35]
	v_fma_f64 v[6:7], v[16:17], v[6:7], v[8:9]
	v_add_f64 v[3:4], v[22:23], -v[3:4]
	v_add_f64 v[8:9], v[24:25], -v[10:11]
	v_fma_f64 v[10:11], v[30:31], v[26:27], v[12:13]
	v_fma_f64 v[12:13], v[32:33], v[26:27], v[38:39]
	v_add_f64 v[14:15], v[18:19], -v[14:15]
	v_fma_f64 v[16:17], v[34:35], v[26:27], v[40:41]
	v_fma_f64 v[18:19], v[36:37], v[26:27], v[28:29]
	v_add_f64 v[20:21], v[20:21], -v[6:7]
	v_add_f64 v[6:7], v[3:4], -v[10:11]
	v_add_f64 v[8:9], v[8:9], -v[12:13]
	v_add_f64 v[10:11], v[14:15], -v[16:17]
	v_add_f64 v[12:13], v[20:21], -v[18:19]
	ds_write_b128 v42, v[6:9] offset:1024
	ds_write_b128 v42, v[10:13] offset:5136
.LBB343_22:
	s_or_b64 exec, exec, s[4:5]
	v_cmp_gt_u32_e64 s[0:1], 4, v0
	s_waitcnt lgkmcnt(0)
	s_barrier
	s_and_saveexec_b64 s[4:5], s[0:1]
	s_cbranch_execz .LBB343_24
; %bb.23:
	v_lshlrev_b32_e32 v42, 10, v0
	ds_read_b128 v[6:9], v42 offset:5136
	ds_read_b128 v[10:13], v42 offset:12816
	ds_read_b128 v[14:17], v42 offset:8736
	ds_read_b128 v[18:21], v42 offset:4624
	ds_read_b128 v[22:25], v42 offset:512
	ds_read_b128 v[26:29], v42
	ds_read_b128 v[30:33], v42 offset:21008
	ds_read_b128 v[34:37], v42 offset:16928
	s_waitcnt lgkmcnt(6)
	v_mul_f64 v[3:4], v[8:9], -v[12:13]
	v_mul_f64 v[38:39], v[8:9], v[10:11]
	s_waitcnt lgkmcnt(5)
	v_mul_f64 v[40:41], v[8:9], -v[16:17]
	v_mul_f64 v[8:9], v[8:9], v[14:15]
	v_fma_f64 v[3:4], v[10:11], v[6:7], v[3:4]
	v_fma_f64 v[10:11], v[12:13], v[6:7], v[38:39]
	s_waitcnt lgkmcnt(1)
	v_mul_f64 v[12:13], v[28:29], -v[32:33]
	v_mul_f64 v[38:39], v[28:29], v[30:31]
	v_fma_f64 v[14:15], v[14:15], v[6:7], v[40:41]
	s_waitcnt lgkmcnt(0)
	v_mul_f64 v[40:41], v[28:29], -v[36:37]
	v_mul_f64 v[28:29], v[28:29], v[34:35]
	v_fma_f64 v[6:7], v[16:17], v[6:7], v[8:9]
	v_add_f64 v[3:4], v[22:23], -v[3:4]
	v_add_f64 v[8:9], v[24:25], -v[10:11]
	v_fma_f64 v[10:11], v[30:31], v[26:27], v[12:13]
	v_fma_f64 v[12:13], v[32:33], v[26:27], v[38:39]
	v_add_f64 v[14:15], v[18:19], -v[14:15]
	v_fma_f64 v[16:17], v[34:35], v[26:27], v[40:41]
	v_fma_f64 v[18:19], v[36:37], v[26:27], v[28:29]
	v_add_f64 v[20:21], v[20:21], -v[6:7]
	v_add_f64 v[6:7], v[3:4], -v[10:11]
	v_add_f64 v[8:9], v[8:9], -v[12:13]
	v_add_f64 v[10:11], v[14:15], -v[16:17]
	v_add_f64 v[12:13], v[20:21], -v[18:19]
	ds_write_b128 v42, v[6:9] offset:512
	ds_write_b128 v42, v[10:13] offset:4624
.LBB343_24:
	;; [unrolled: 47-line block ×5, first 2 shown]
	s_or_b64 exec, exec, s[4:5]
	v_cmp_gt_u32_e64 s[0:1], 64, v0
	s_waitcnt lgkmcnt(0)
	s_barrier
	s_and_saveexec_b64 s[4:5], s[0:1]
	s_cbranch_execz .LBB343_32
; %bb.31:
	v_lshlrev_b32_e32 v42, 6, v0
	ds_read_b128 v[6:9], v42 offset:4176
	ds_read_b128 v[10:13], v42 offset:12336
	;; [unrolled: 1-line block ×4, first 2 shown]
	ds_read_b128 v[22:25], v42
	ds_read_b128 v[26:29], v42 offset:32
	ds_read_b128 v[30:33], v42 offset:20528
	;; [unrolled: 1-line block ×3, first 2 shown]
	s_waitcnt lgkmcnt(6)
	v_mul_f64 v[3:4], v[8:9], -v[12:13]
	v_mul_f64 v[38:39], v[8:9], v[10:11]
	s_waitcnt lgkmcnt(5)
	v_mul_f64 v[40:41], v[8:9], -v[16:17]
	v_mul_f64 v[8:9], v[8:9], v[14:15]
	v_fma_f64 v[3:4], v[10:11], v[6:7], v[3:4]
	v_fma_f64 v[10:11], v[12:13], v[6:7], v[38:39]
	s_waitcnt lgkmcnt(1)
	v_mul_f64 v[12:13], v[24:25], -v[32:33]
	v_mul_f64 v[38:39], v[24:25], v[30:31]
	v_fma_f64 v[14:15], v[14:15], v[6:7], v[40:41]
	s_waitcnt lgkmcnt(0)
	v_mul_f64 v[40:41], v[24:25], -v[36:37]
	v_mul_f64 v[24:25], v[24:25], v[34:35]
	v_fma_f64 v[6:7], v[16:17], v[6:7], v[8:9]
	v_add_f64 v[3:4], v[26:27], -v[3:4]
	v_add_f64 v[8:9], v[28:29], -v[10:11]
	v_fma_f64 v[10:11], v[30:31], v[22:23], v[12:13]
	v_fma_f64 v[12:13], v[32:33], v[22:23], v[38:39]
	v_add_f64 v[14:15], v[18:19], -v[14:15]
	v_fma_f64 v[16:17], v[34:35], v[22:23], v[40:41]
	v_fma_f64 v[18:19], v[36:37], v[22:23], v[24:25]
	v_add_f64 v[20:21], v[20:21], -v[6:7]
	v_add_f64 v[6:7], v[3:4], -v[10:11]
	;; [unrolled: 1-line block ×5, first 2 shown]
	ds_write_b128 v42, v[6:9] offset:32
	ds_write_b128 v42, v[10:13] offset:4144
.LBB343_32:
	s_or_b64 exec, exec, s[4:5]
	s_movk_i32 s0, 0x80
	v_cmp_gt_u32_e64 s[0:1], s0, v0
	s_waitcnt lgkmcnt(0)
	s_barrier
	s_and_saveexec_b64 s[4:5], s[0:1]
	s_cbranch_execz .LBB343_34
; %bb.33:
	v_lshlrev_b32_e32 v0, 5, v0
	ds_read_b128 v[6:9], v0 offset:4144
	ds_read_b128 v[10:13], v0 offset:12320
	;; [unrolled: 1-line block ×4, first 2 shown]
	ds_read_b128 v[22:25], v0
	ds_read_b128 v[26:29], v0 offset:16
	ds_read_b128 v[30:33], v0 offset:20512
	;; [unrolled: 1-line block ×3, first 2 shown]
	s_waitcnt lgkmcnt(6)
	v_mul_f64 v[3:4], v[8:9], -v[12:13]
	v_mul_f64 v[38:39], v[8:9], v[10:11]
	s_waitcnt lgkmcnt(5)
	v_mul_f64 v[40:41], v[8:9], -v[16:17]
	v_mul_f64 v[8:9], v[8:9], v[14:15]
	v_fma_f64 v[3:4], v[10:11], v[6:7], v[3:4]
	v_fma_f64 v[10:11], v[12:13], v[6:7], v[38:39]
	s_waitcnt lgkmcnt(1)
	v_mul_f64 v[12:13], v[24:25], -v[32:33]
	v_mul_f64 v[38:39], v[24:25], v[30:31]
	v_fma_f64 v[14:15], v[14:15], v[6:7], v[40:41]
	s_waitcnt lgkmcnt(0)
	v_mul_f64 v[40:41], v[24:25], -v[36:37]
	v_mul_f64 v[24:25], v[24:25], v[34:35]
	v_fma_f64 v[6:7], v[16:17], v[6:7], v[8:9]
	v_add_f64 v[3:4], v[26:27], -v[3:4]
	v_add_f64 v[8:9], v[28:29], -v[10:11]
	v_fma_f64 v[10:11], v[30:31], v[22:23], v[12:13]
	v_fma_f64 v[12:13], v[32:33], v[22:23], v[38:39]
	v_add_f64 v[14:15], v[18:19], -v[14:15]
	v_fma_f64 v[16:17], v[34:35], v[22:23], v[40:41]
	v_fma_f64 v[18:19], v[36:37], v[22:23], v[24:25]
	v_add_f64 v[20:21], v[20:21], -v[6:7]
	v_add_f64 v[6:7], v[3:4], -v[10:11]
	;; [unrolled: 1-line block ×5, first 2 shown]
	ds_write_b128 v0, v[6:9] offset:16
	ds_write_b128 v0, v[10:13] offset:4128
.LBB343_34:
	s_or_b64 exec, exec, s[4:5]
	s_waitcnt lgkmcnt(0)
	s_barrier
	s_and_saveexec_b64 s[0:1], vcc
	s_cbranch_execz .LBB343_36
; %bb.35:
	v_ashrrev_i32_e32 v6, 31, v5
	v_lshlrev_b64 v[3:4], 4, v[5:6]
	ds_read2_b64 v[6:9], v2 offset1:1
	v_mov_b32_e32 v0, s3
	v_add_co_u32_e32 v10, vcc, s2, v3
	v_addc_co_u32_e32 v11, vcc, v0, v4, vcc
	ds_read2_b64 v[0:3], v1 offset1:1
	v_add_u32_e32 v4, s20, v5
	v_mov_b32_e32 v5, 0
	v_lshlrev_b64 v[4:5], 4, v[4:5]
	s_waitcnt lgkmcnt(1)
	global_store_dwordx4 v[10:11], v[6:9], off
	v_add_co_u32_e32 v4, vcc, s2, v4
	v_mov_b32_e32 v6, s3
	v_addc_co_u32_e32 v5, vcc, v6, v5, vcc
	s_waitcnt lgkmcnt(0)
	global_store_dwordx4 v[4:5], v[0:3], off
.LBB343_36:
	s_endpgm
	.section	.rodata,"a",@progbits
	.p2align	6, 0x0
	.amdhsa_kernel _ZN9rocsparseL33gtsv_solve_spike_propagate_kernelILj256ELj128E21rocsparse_complex_numIdEEEviiiPT1_PKS3_S6_S6_
		.amdhsa_group_segment_fixed_size 24608
		.amdhsa_private_segment_fixed_size 0
		.amdhsa_kernarg_size 304
		.amdhsa_user_sgpr_count 6
		.amdhsa_user_sgpr_private_segment_buffer 1
		.amdhsa_user_sgpr_dispatch_ptr 0
		.amdhsa_user_sgpr_queue_ptr 0
		.amdhsa_user_sgpr_kernarg_segment_ptr 1
		.amdhsa_user_sgpr_dispatch_id 0
		.amdhsa_user_sgpr_flat_scratch_init 0
		.amdhsa_user_sgpr_private_segment_size 0
		.amdhsa_uses_dynamic_stack 0
		.amdhsa_system_sgpr_private_segment_wavefront_offset 0
		.amdhsa_system_sgpr_workgroup_id_x 1
		.amdhsa_system_sgpr_workgroup_id_y 1
		.amdhsa_system_sgpr_workgroup_id_z 0
		.amdhsa_system_sgpr_workgroup_info 0
		.amdhsa_system_vgpr_workitem_id 0
		.amdhsa_next_free_vgpr 85
		.amdhsa_next_free_sgpr 98
		.amdhsa_reserve_vcc 1
		.amdhsa_reserve_flat_scratch 0
		.amdhsa_float_round_mode_32 0
		.amdhsa_float_round_mode_16_64 0
		.amdhsa_float_denorm_mode_32 3
		.amdhsa_float_denorm_mode_16_64 3
		.amdhsa_dx10_clamp 1
		.amdhsa_ieee_mode 1
		.amdhsa_fp16_overflow 0
		.amdhsa_exception_fp_ieee_invalid_op 0
		.amdhsa_exception_fp_denorm_src 0
		.amdhsa_exception_fp_ieee_div_zero 0
		.amdhsa_exception_fp_ieee_overflow 0
		.amdhsa_exception_fp_ieee_underflow 0
		.amdhsa_exception_fp_ieee_inexact 0
		.amdhsa_exception_int_div_zero 0
	.end_amdhsa_kernel
	.section	.text._ZN9rocsparseL33gtsv_solve_spike_propagate_kernelILj256ELj128E21rocsparse_complex_numIdEEEviiiPT1_PKS3_S6_S6_,"axG",@progbits,_ZN9rocsparseL33gtsv_solve_spike_propagate_kernelILj256ELj128E21rocsparse_complex_numIdEEEviiiPT1_PKS3_S6_S6_,comdat
.Lfunc_end343:
	.size	_ZN9rocsparseL33gtsv_solve_spike_propagate_kernelILj256ELj128E21rocsparse_complex_numIdEEEviiiPT1_PKS3_S6_S6_, .Lfunc_end343-_ZN9rocsparseL33gtsv_solve_spike_propagate_kernelILj256ELj128E21rocsparse_complex_numIdEEEviiiPT1_PKS3_S6_S6_
                                        ; -- End function
	.set _ZN9rocsparseL33gtsv_solve_spike_propagate_kernelILj256ELj128E21rocsparse_complex_numIdEEEviiiPT1_PKS3_S6_S6_.num_vgpr, 43
	.set _ZN9rocsparseL33gtsv_solve_spike_propagate_kernelILj256ELj128E21rocsparse_complex_numIdEEEviiiPT1_PKS3_S6_S6_.num_agpr, 0
	.set _ZN9rocsparseL33gtsv_solve_spike_propagate_kernelILj256ELj128E21rocsparse_complex_numIdEEEviiiPT1_PKS3_S6_S6_.numbered_sgpr, 22
	.set _ZN9rocsparseL33gtsv_solve_spike_propagate_kernelILj256ELj128E21rocsparse_complex_numIdEEEviiiPT1_PKS3_S6_S6_.num_named_barrier, 0
	.set _ZN9rocsparseL33gtsv_solve_spike_propagate_kernelILj256ELj128E21rocsparse_complex_numIdEEEviiiPT1_PKS3_S6_S6_.private_seg_size, 0
	.set _ZN9rocsparseL33gtsv_solve_spike_propagate_kernelILj256ELj128E21rocsparse_complex_numIdEEEviiiPT1_PKS3_S6_S6_.uses_vcc, 1
	.set _ZN9rocsparseL33gtsv_solve_spike_propagate_kernelILj256ELj128E21rocsparse_complex_numIdEEEviiiPT1_PKS3_S6_S6_.uses_flat_scratch, 0
	.set _ZN9rocsparseL33gtsv_solve_spike_propagate_kernelILj256ELj128E21rocsparse_complex_numIdEEEviiiPT1_PKS3_S6_S6_.has_dyn_sized_stack, 0
	.set _ZN9rocsparseL33gtsv_solve_spike_propagate_kernelILj256ELj128E21rocsparse_complex_numIdEEEviiiPT1_PKS3_S6_S6_.has_recursion, 0
	.set _ZN9rocsparseL33gtsv_solve_spike_propagate_kernelILj256ELj128E21rocsparse_complex_numIdEEEviiiPT1_PKS3_S6_S6_.has_indirect_call, 0
	.section	.AMDGPU.csdata,"",@progbits
; Kernel info:
; codeLenInByte = 3580
; TotalNumSgprs: 26
; NumVgprs: 43
; ScratchSize: 0
; MemoryBound: 0
; FloatMode: 240
; IeeeMode: 1
; LDSByteSize: 24608 bytes/workgroup (compile time only)
; SGPRBlocks: 12
; VGPRBlocks: 21
; NumSGPRsForWavesPerEU: 102
; NumVGPRsForWavesPerEU: 85
; Occupancy: 2
; WaveLimiterHint : 0
; COMPUTE_PGM_RSRC2:SCRATCH_EN: 0
; COMPUTE_PGM_RSRC2:USER_SGPR: 6
; COMPUTE_PGM_RSRC2:TRAP_HANDLER: 0
; COMPUTE_PGM_RSRC2:TGID_X_EN: 1
; COMPUTE_PGM_RSRC2:TGID_Y_EN: 1
; COMPUTE_PGM_RSRC2:TGID_Z_EN: 0
; COMPUTE_PGM_RSRC2:TIDIG_COMP_CNT: 0
	.section	.text._ZN9rocsparseL39gtsv_spike_backward_substitution_kernelILj256ELj128E21rocsparse_complex_numIdEEEviiiPT1_PKS3_S6_,"axG",@progbits,_ZN9rocsparseL39gtsv_spike_backward_substitution_kernelILj256ELj128E21rocsparse_complex_numIdEEEviiiPT1_PKS3_S6_,comdat
	.globl	_ZN9rocsparseL39gtsv_spike_backward_substitution_kernelILj256ELj128E21rocsparse_complex_numIdEEEviiiPT1_PKS3_S6_ ; -- Begin function _ZN9rocsparseL39gtsv_spike_backward_substitution_kernelILj256ELj128E21rocsparse_complex_numIdEEEviiiPT1_PKS3_S6_
	.p2align	8
	.type	_ZN9rocsparseL39gtsv_spike_backward_substitution_kernelILj256ELj128E21rocsparse_complex_numIdEEEviiiPT1_PKS3_S6_,@function
_ZN9rocsparseL39gtsv_spike_backward_substitution_kernelILj256ELj128E21rocsparse_complex_numIdEEEviiiPT1_PKS3_S6_: ; @_ZN9rocsparseL39gtsv_spike_backward_substitution_kernelILj256ELj128E21rocsparse_complex_numIdEEEviiiPT1_PKS3_S6_
; %bb.0:
	s_load_dword s12, s[4:5], 0x0
	s_lshl_b32 s6, s6, 8
	v_or_b32_e32 v9, s6, v0
	s_waitcnt lgkmcnt(0)
	s_lshr_b32 s10, s12, 7
	v_cmp_gt_i32_e32 vcc, s10, v9
	s_and_saveexec_b64 s[0:1], vcc
	s_cbranch_execz .LBB344_9
; %bb.1:
	s_load_dwordx2 s[8:9], s[4:5], 0x10
	v_mov_b32_e32 v1, 0
	v_mov_b32_e32 v3, 0
	v_cmp_lt_i32_e32 vcc, 0, v9
	v_mov_b32_e32 v2, 0
	v_mov_b32_e32 v4, 0
	s_mul_i32 s11, s12, s7
	s_and_saveexec_b64 s[0:1], vcc
	s_cbranch_execz .LBB344_3
; %bb.2:
	s_mul_i32 s2, s10, 0x7f
	s_mul_i32 s3, s12, s7
	s_add_i32 s2, s2, s3
	v_add3_u32 v1, v9, s2, -1
	v_mov_b32_e32 v2, 0
	v_lshlrev_b64 v[1:2], 4, v[1:2]
	s_waitcnt lgkmcnt(0)
	v_mov_b32_e32 v3, s9
	v_add_co_u32_e32 v1, vcc, s8, v1
	v_addc_co_u32_e32 v2, vcc, v3, v2, vcc
	global_load_dwordx4 v[1:4], v[1:2], off
.LBB344_3:
	s_or_b64 exec, exec, s[0:1]
	s_load_dwordx4 s[0:3], s[4:5], 0x18
	v_add_u32_e32 v5, 0x80, v9
	v_cmp_le_u32_e32 vcc, s12, v5
	s_and_saveexec_b64 s[4:5], vcc
	s_xor_b64 s[4:5], exec, s[4:5]
; %bb.4:
                                        ; implicit-def: $vgpr9
; %bb.5:
	s_or_saveexec_b64 s[4:5], s[4:5]
	v_mov_b32_e32 v5, 0
	v_mov_b32_e32 v7, 0
	;; [unrolled: 1-line block ×5, first 2 shown]
	s_xor_b64 exec, exec, s[4:5]
	s_cbranch_execz .LBB344_7
; %bb.6:
	s_ashr_i32 s7, s11, 31
	v_ashrrev_i32_e32 v6, 31, v9
	v_mov_b32_e32 v7, s7
	v_add_co_u32_e32 v5, vcc, s11, v9
	v_addc_co_u32_e32 v6, vcc, v6, v7, vcc
	v_lshlrev_b64 v[5:6], 4, v[5:6]
	s_waitcnt lgkmcnt(0)
	v_mov_b32_e32 v7, s9
	v_add_co_u32_e32 v5, vcc, s8, v5
	v_addc_co_u32_e32 v6, vcc, v7, v6, vcc
	global_load_dwordx4 v[5:8], v[5:6], off offset:16
	v_mov_b32_e32 v13, s11
.LBB344_7:
	s_or_b64 exec, exec, s[4:5]
	s_lshl_b32 s5, s10, 1
	s_mul_i32 s4, s10, 3
	v_add_u32_e32 v11, v0, v13
	v_add_u32_e32 v10, s5, v0
	;; [unrolled: 1-line block ×7, first 2 shown]
	s_movk_i32 s5, 0x7e
	s_waitcnt lgkmcnt(0)
	v_mov_b32_e32 v14, s9
	v_mov_b32_e32 v15, s1
	;; [unrolled: 1-line block ×3, first 2 shown]
.LBB344_8:                              ; =>This Inner Loop Header: Depth=1
	v_add_u32_e32 v18, s6, v13
	v_ashrrev_i32_e32 v19, 31, v18
	v_lshlrev_b64 v[18:19], 4, v[18:19]
	v_add_u32_e32 v17, s6, v0
	v_add_co_u32_e32 v21, vcc, s8, v18
	v_ashrrev_i32_e32 v18, 31, v17
	v_lshlrev_b64 v[23:24], 4, v[17:18]
	v_addc_co_u32_e32 v22, vcc, v14, v19, vcc
	v_add_co_u32_e32 v17, vcc, s0, v23
	v_addc_co_u32_e32 v18, vcc, v15, v24, vcc
	global_load_dwordx4 v[17:20], v[17:18], off
	s_add_i32 s5, s5, -3
	v_add_u32_e32 v0, s4, v0
	v_add_u32_e32 v13, s4, v13
	s_cmp_lg_u32 s5, 0
	s_waitcnt vmcnt(0)
	v_mul_f64 v[25:26], v[3:4], -v[19:20]
	v_fma_f64 v[25:26], v[17:18], v[1:2], v[25:26]
	v_mul_f64 v[17:18], v[3:4], v[17:18]
	v_fma_f64 v[27:28], v[19:20], v[1:2], v[17:18]
	global_load_dwordx4 v[17:20], v[21:22], off
	s_waitcnt vmcnt(0)
	v_add_f64 v[25:26], v[17:18], -v[25:26]
	v_add_co_u32_e32 v17, vcc, s2, v23
	v_addc_co_u32_e32 v18, vcc, v16, v24, vcc
	v_add_f64 v[27:28], v[19:20], -v[27:28]
	global_load_dwordx4 v[17:20], v[17:18], off
	s_waitcnt vmcnt(0)
	v_mul_f64 v[23:24], v[7:8], -v[19:20]
	v_fma_f64 v[23:24], v[17:18], v[5:6], v[23:24]
	v_mul_f64 v[17:18], v[7:8], v[17:18]
	v_fma_f64 v[19:20], v[19:20], v[5:6], v[17:18]
	v_add_f64 v[17:18], v[25:26], -v[23:24]
	v_add_f64 v[19:20], v[27:28], -v[19:20]
	global_store_dwordx4 v[21:22], v[17:20], off
	s_nop 0
	v_add_u32_e32 v18, s6, v9
	v_ashrrev_i32_e32 v19, 31, v18
	v_lshlrev_b64 v[18:19], 4, v[18:19]
	v_add_u32_e32 v17, s6, v10
	v_add_co_u32_e32 v21, vcc, s8, v18
	v_ashrrev_i32_e32 v18, 31, v17
	v_lshlrev_b64 v[23:24], 4, v[17:18]
	v_addc_co_u32_e32 v22, vcc, v14, v19, vcc
	v_add_co_u32_e32 v17, vcc, s0, v23
	v_addc_co_u32_e32 v18, vcc, v15, v24, vcc
	global_load_dwordx4 v[17:20], v[17:18], off
	v_add_u32_e32 v9, s4, v9
	v_add_u32_e32 v10, s4, v10
	s_waitcnt vmcnt(0)
	v_mul_f64 v[25:26], v[3:4], -v[19:20]
	v_fma_f64 v[25:26], v[17:18], v[1:2], v[25:26]
	v_mul_f64 v[17:18], v[3:4], v[17:18]
	v_fma_f64 v[27:28], v[19:20], v[1:2], v[17:18]
	global_load_dwordx4 v[17:20], v[21:22], off
	s_waitcnt vmcnt(0)
	v_add_f64 v[25:26], v[17:18], -v[25:26]
	v_add_co_u32_e32 v17, vcc, s2, v23
	v_addc_co_u32_e32 v18, vcc, v16, v24, vcc
	v_add_f64 v[27:28], v[19:20], -v[27:28]
	global_load_dwordx4 v[17:20], v[17:18], off
	s_waitcnt vmcnt(0)
	v_mul_f64 v[23:24], v[7:8], -v[19:20]
	v_fma_f64 v[23:24], v[17:18], v[5:6], v[23:24]
	v_mul_f64 v[17:18], v[7:8], v[17:18]
	v_fma_f64 v[19:20], v[19:20], v[5:6], v[17:18]
	v_add_f64 v[17:18], v[25:26], -v[23:24]
	v_add_f64 v[19:20], v[27:28], -v[19:20]
	global_store_dwordx4 v[21:22], v[17:20], off
	s_nop 0
	v_add_u32_e32 v18, s6, v11
	v_ashrrev_i32_e32 v19, 31, v18
	v_lshlrev_b64 v[18:19], 4, v[18:19]
	v_add_u32_e32 v17, s6, v12
	v_add_co_u32_e32 v21, vcc, s8, v18
	v_ashrrev_i32_e32 v18, 31, v17
	v_lshlrev_b64 v[23:24], 4, v[17:18]
	v_addc_co_u32_e32 v22, vcc, v14, v19, vcc
	v_add_co_u32_e32 v17, vcc, s0, v23
	v_addc_co_u32_e32 v18, vcc, v15, v24, vcc
	global_load_dwordx4 v[17:20], v[17:18], off
	v_add_u32_e32 v11, s4, v11
	v_add_u32_e32 v12, s4, v12
	s_waitcnt vmcnt(0)
	v_mul_f64 v[25:26], v[3:4], -v[19:20]
	v_fma_f64 v[25:26], v[17:18], v[1:2], v[25:26]
	v_mul_f64 v[17:18], v[3:4], v[17:18]
	v_fma_f64 v[27:28], v[19:20], v[1:2], v[17:18]
	global_load_dwordx4 v[17:20], v[21:22], off
	s_waitcnt vmcnt(0)
	v_add_f64 v[25:26], v[17:18], -v[25:26]
	v_add_co_u32_e32 v17, vcc, s2, v23
	v_addc_co_u32_e32 v18, vcc, v16, v24, vcc
	v_add_f64 v[27:28], v[19:20], -v[27:28]
	global_load_dwordx4 v[17:20], v[17:18], off
	s_waitcnt vmcnt(0)
	v_mul_f64 v[23:24], v[7:8], -v[19:20]
	v_fma_f64 v[23:24], v[17:18], v[5:6], v[23:24]
	v_mul_f64 v[17:18], v[7:8], v[17:18]
	v_fma_f64 v[19:20], v[19:20], v[5:6], v[17:18]
	v_add_f64 v[17:18], v[25:26], -v[23:24]
	v_add_f64 v[19:20], v[27:28], -v[19:20]
	global_store_dwordx4 v[21:22], v[17:20], off
	s_cbranch_scc1 .LBB344_8
.LBB344_9:
	s_endpgm
	.section	.rodata,"a",@progbits
	.p2align	6, 0x0
	.amdhsa_kernel _ZN9rocsparseL39gtsv_spike_backward_substitution_kernelILj256ELj128E21rocsparse_complex_numIdEEEviiiPT1_PKS3_S6_
		.amdhsa_group_segment_fixed_size 0
		.amdhsa_private_segment_fixed_size 0
		.amdhsa_kernarg_size 40
		.amdhsa_user_sgpr_count 6
		.amdhsa_user_sgpr_private_segment_buffer 1
		.amdhsa_user_sgpr_dispatch_ptr 0
		.amdhsa_user_sgpr_queue_ptr 0
		.amdhsa_user_sgpr_kernarg_segment_ptr 1
		.amdhsa_user_sgpr_dispatch_id 0
		.amdhsa_user_sgpr_flat_scratch_init 0
		.amdhsa_user_sgpr_private_segment_size 0
		.amdhsa_uses_dynamic_stack 0
		.amdhsa_system_sgpr_private_segment_wavefront_offset 0
		.amdhsa_system_sgpr_workgroup_id_x 1
		.amdhsa_system_sgpr_workgroup_id_y 1
		.amdhsa_system_sgpr_workgroup_id_z 0
		.amdhsa_system_sgpr_workgroup_info 0
		.amdhsa_system_vgpr_workitem_id 0
		.amdhsa_next_free_vgpr 29
		.amdhsa_next_free_sgpr 13
		.amdhsa_reserve_vcc 1
		.amdhsa_reserve_flat_scratch 0
		.amdhsa_float_round_mode_32 0
		.amdhsa_float_round_mode_16_64 0
		.amdhsa_float_denorm_mode_32 3
		.amdhsa_float_denorm_mode_16_64 3
		.amdhsa_dx10_clamp 1
		.amdhsa_ieee_mode 1
		.amdhsa_fp16_overflow 0
		.amdhsa_exception_fp_ieee_invalid_op 0
		.amdhsa_exception_fp_denorm_src 0
		.amdhsa_exception_fp_ieee_div_zero 0
		.amdhsa_exception_fp_ieee_overflow 0
		.amdhsa_exception_fp_ieee_underflow 0
		.amdhsa_exception_fp_ieee_inexact 0
		.amdhsa_exception_int_div_zero 0
	.end_amdhsa_kernel
	.section	.text._ZN9rocsparseL39gtsv_spike_backward_substitution_kernelILj256ELj128E21rocsparse_complex_numIdEEEviiiPT1_PKS3_S6_,"axG",@progbits,_ZN9rocsparseL39gtsv_spike_backward_substitution_kernelILj256ELj128E21rocsparse_complex_numIdEEEviiiPT1_PKS3_S6_,comdat
.Lfunc_end344:
	.size	_ZN9rocsparseL39gtsv_spike_backward_substitution_kernelILj256ELj128E21rocsparse_complex_numIdEEEviiiPT1_PKS3_S6_, .Lfunc_end344-_ZN9rocsparseL39gtsv_spike_backward_substitution_kernelILj256ELj128E21rocsparse_complex_numIdEEEviiiPT1_PKS3_S6_
                                        ; -- End function
	.set _ZN9rocsparseL39gtsv_spike_backward_substitution_kernelILj256ELj128E21rocsparse_complex_numIdEEEviiiPT1_PKS3_S6_.num_vgpr, 29
	.set _ZN9rocsparseL39gtsv_spike_backward_substitution_kernelILj256ELj128E21rocsparse_complex_numIdEEEviiiPT1_PKS3_S6_.num_agpr, 0
	.set _ZN9rocsparseL39gtsv_spike_backward_substitution_kernelILj256ELj128E21rocsparse_complex_numIdEEEviiiPT1_PKS3_S6_.numbered_sgpr, 13
	.set _ZN9rocsparseL39gtsv_spike_backward_substitution_kernelILj256ELj128E21rocsparse_complex_numIdEEEviiiPT1_PKS3_S6_.num_named_barrier, 0
	.set _ZN9rocsparseL39gtsv_spike_backward_substitution_kernelILj256ELj128E21rocsparse_complex_numIdEEEviiiPT1_PKS3_S6_.private_seg_size, 0
	.set _ZN9rocsparseL39gtsv_spike_backward_substitution_kernelILj256ELj128E21rocsparse_complex_numIdEEEviiiPT1_PKS3_S6_.uses_vcc, 1
	.set _ZN9rocsparseL39gtsv_spike_backward_substitution_kernelILj256ELj128E21rocsparse_complex_numIdEEEviiiPT1_PKS3_S6_.uses_flat_scratch, 0
	.set _ZN9rocsparseL39gtsv_spike_backward_substitution_kernelILj256ELj128E21rocsparse_complex_numIdEEEviiiPT1_PKS3_S6_.has_dyn_sized_stack, 0
	.set _ZN9rocsparseL39gtsv_spike_backward_substitution_kernelILj256ELj128E21rocsparse_complex_numIdEEEviiiPT1_PKS3_S6_.has_recursion, 0
	.set _ZN9rocsparseL39gtsv_spike_backward_substitution_kernelILj256ELj128E21rocsparse_complex_numIdEEEviiiPT1_PKS3_S6_.has_indirect_call, 0
	.section	.AMDGPU.csdata,"",@progbits
; Kernel info:
; codeLenInByte = 952
; TotalNumSgprs: 17
; NumVgprs: 29
; ScratchSize: 0
; MemoryBound: 0
; FloatMode: 240
; IeeeMode: 1
; LDSByteSize: 0 bytes/workgroup (compile time only)
; SGPRBlocks: 2
; VGPRBlocks: 7
; NumSGPRsForWavesPerEU: 17
; NumVGPRsForWavesPerEU: 29
; Occupancy: 8
; WaveLimiterHint : 0
; COMPUTE_PGM_RSRC2:SCRATCH_EN: 0
; COMPUTE_PGM_RSRC2:USER_SGPR: 6
; COMPUTE_PGM_RSRC2:TRAP_HANDLER: 0
; COMPUTE_PGM_RSRC2:TGID_X_EN: 1
; COMPUTE_PGM_RSRC2:TGID_Y_EN: 1
; COMPUTE_PGM_RSRC2:TGID_Z_EN: 0
; COMPUTE_PGM_RSRC2:TIDIG_COMP_CNT: 0
	.section	.text._ZN9rocsparseL32gtsv_transpose_back_array_kernelILj256ELj128E21rocsparse_complex_numIdEEEviiiPKT1_PS3_,"axG",@progbits,_ZN9rocsparseL32gtsv_transpose_back_array_kernelILj256ELj128E21rocsparse_complex_numIdEEEviiiPKT1_PS3_,comdat
	.globl	_ZN9rocsparseL32gtsv_transpose_back_array_kernelILj256ELj128E21rocsparse_complex_numIdEEEviiiPKT1_PS3_ ; -- Begin function _ZN9rocsparseL32gtsv_transpose_back_array_kernelILj256ELj128E21rocsparse_complex_numIdEEEviiiPKT1_PS3_
	.p2align	8
	.type	_ZN9rocsparseL32gtsv_transpose_back_array_kernelILj256ELj128E21rocsparse_complex_numIdEEEviiiPKT1_PS3_,@function
_ZN9rocsparseL32gtsv_transpose_back_array_kernelILj256ELj128E21rocsparse_complex_numIdEEEviiiPKT1_PS3_: ; @_ZN9rocsparseL32gtsv_transpose_back_array_kernelILj256ELj128E21rocsparse_complex_numIdEEEviiiPKT1_PS3_
; %bb.0:
	s_load_dwordx4 s[0:3], s[4:5], 0x0
	s_waitcnt lgkmcnt(0)
	v_cvt_f32_u32_e32 v1, s1
	s_sub_i32 s3, 0, s1
	v_rcp_iflag_f32_e32 v1, v1
	v_mul_f32_e32 v1, 0x4f7ffffe, v1
	v_cvt_u32_f32_e32 v2, v1
	v_mul_lo_u32 v1, s3, v2
	v_mul_hi_u32 v3, v2, v1
	v_lshl_or_b32 v1, s6, 8, v0
	v_lshlrev_b32_e32 v0, 7, v1
	v_add_u32_e32 v2, v2, v3
	v_mul_hi_u32 v2, v0, v2
	v_mul_lo_u32 v3, v2, s1
	v_add_u32_e32 v4, 1, v2
	v_sub_u32_e32 v3, v0, v3
	v_cmp_le_u32_e32 vcc, s1, v3
	v_cndmask_b32_e32 v2, v2, v4, vcc
	v_subrev_u32_e32 v4, s1, v3
	v_cndmask_b32_e32 v3, v3, v4, vcc
	v_add_u32_e32 v4, 1, v2
	v_cmp_le_u32_e32 vcc, s1, v3
	v_cndmask_b32_e32 v2, v2, v4, vcc
	v_mul_lo_u32 v3, v2, s1
	v_sub_u32_e32 v0, v0, v3
	v_add_u32_e32 v0, v2, v0
	v_cmp_gt_i32_e32 vcc, s0, v0
	s_and_saveexec_b64 s[8:9], vcc
	s_cbranch_execz .LBB345_2
; %bb.1:
	s_load_dwordx4 s[8:11], s[4:5], 0x10
	s_mul_i32 s0, s1, s7
	v_add_u32_e32 v1, s0, v1
	v_ashrrev_i32_e32 v2, 31, v1
	v_lshlrev_b64 v[1:2], 4, v[1:2]
	s_waitcnt lgkmcnt(0)
	v_mov_b32_e32 v3, s9
	v_add_co_u32_e32 v1, vcc, s8, v1
	v_addc_co_u32_e32 v2, vcc, v3, v2, vcc
	global_load_dwordx4 v[1:4], v[1:2], off
	s_mul_i32 s0, s2, s7
	v_add_u32_e32 v5, s0, v0
	v_ashrrev_i32_e32 v6, 31, v5
	v_lshlrev_b64 v[5:6], 4, v[5:6]
	v_mov_b32_e32 v0, s11
	v_add_co_u32_e32 v5, vcc, s10, v5
	v_addc_co_u32_e32 v6, vcc, v0, v6, vcc
	s_waitcnt vmcnt(0)
	global_store_dwordx4 v[5:6], v[1:4], off
.LBB345_2:
	s_endpgm
	.section	.rodata,"a",@progbits
	.p2align	6, 0x0
	.amdhsa_kernel _ZN9rocsparseL32gtsv_transpose_back_array_kernelILj256ELj128E21rocsparse_complex_numIdEEEviiiPKT1_PS3_
		.amdhsa_group_segment_fixed_size 0
		.amdhsa_private_segment_fixed_size 0
		.amdhsa_kernarg_size 32
		.amdhsa_user_sgpr_count 6
		.amdhsa_user_sgpr_private_segment_buffer 1
		.amdhsa_user_sgpr_dispatch_ptr 0
		.amdhsa_user_sgpr_queue_ptr 0
		.amdhsa_user_sgpr_kernarg_segment_ptr 1
		.amdhsa_user_sgpr_dispatch_id 0
		.amdhsa_user_sgpr_flat_scratch_init 0
		.amdhsa_user_sgpr_private_segment_size 0
		.amdhsa_uses_dynamic_stack 0
		.amdhsa_system_sgpr_private_segment_wavefront_offset 0
		.amdhsa_system_sgpr_workgroup_id_x 1
		.amdhsa_system_sgpr_workgroup_id_y 1
		.amdhsa_system_sgpr_workgroup_id_z 0
		.amdhsa_system_sgpr_workgroup_info 0
		.amdhsa_system_vgpr_workitem_id 0
		.amdhsa_next_free_vgpr 7
		.amdhsa_next_free_sgpr 12
		.amdhsa_reserve_vcc 1
		.amdhsa_reserve_flat_scratch 0
		.amdhsa_float_round_mode_32 0
		.amdhsa_float_round_mode_16_64 0
		.amdhsa_float_denorm_mode_32 3
		.amdhsa_float_denorm_mode_16_64 3
		.amdhsa_dx10_clamp 1
		.amdhsa_ieee_mode 1
		.amdhsa_fp16_overflow 0
		.amdhsa_exception_fp_ieee_invalid_op 0
		.amdhsa_exception_fp_denorm_src 0
		.amdhsa_exception_fp_ieee_div_zero 0
		.amdhsa_exception_fp_ieee_overflow 0
		.amdhsa_exception_fp_ieee_underflow 0
		.amdhsa_exception_fp_ieee_inexact 0
		.amdhsa_exception_int_div_zero 0
	.end_amdhsa_kernel
	.section	.text._ZN9rocsparseL32gtsv_transpose_back_array_kernelILj256ELj128E21rocsparse_complex_numIdEEEviiiPKT1_PS3_,"axG",@progbits,_ZN9rocsparseL32gtsv_transpose_back_array_kernelILj256ELj128E21rocsparse_complex_numIdEEEviiiPKT1_PS3_,comdat
.Lfunc_end345:
	.size	_ZN9rocsparseL32gtsv_transpose_back_array_kernelILj256ELj128E21rocsparse_complex_numIdEEEviiiPKT1_PS3_, .Lfunc_end345-_ZN9rocsparseL32gtsv_transpose_back_array_kernelILj256ELj128E21rocsparse_complex_numIdEEEviiiPKT1_PS3_
                                        ; -- End function
	.set _ZN9rocsparseL32gtsv_transpose_back_array_kernelILj256ELj128E21rocsparse_complex_numIdEEEviiiPKT1_PS3_.num_vgpr, 7
	.set _ZN9rocsparseL32gtsv_transpose_back_array_kernelILj256ELj128E21rocsparse_complex_numIdEEEviiiPKT1_PS3_.num_agpr, 0
	.set _ZN9rocsparseL32gtsv_transpose_back_array_kernelILj256ELj128E21rocsparse_complex_numIdEEEviiiPKT1_PS3_.numbered_sgpr, 12
	.set _ZN9rocsparseL32gtsv_transpose_back_array_kernelILj256ELj128E21rocsparse_complex_numIdEEEviiiPKT1_PS3_.num_named_barrier, 0
	.set _ZN9rocsparseL32gtsv_transpose_back_array_kernelILj256ELj128E21rocsparse_complex_numIdEEEviiiPKT1_PS3_.private_seg_size, 0
	.set _ZN9rocsparseL32gtsv_transpose_back_array_kernelILj256ELj128E21rocsparse_complex_numIdEEEviiiPKT1_PS3_.uses_vcc, 1
	.set _ZN9rocsparseL32gtsv_transpose_back_array_kernelILj256ELj128E21rocsparse_complex_numIdEEEviiiPKT1_PS3_.uses_flat_scratch, 0
	.set _ZN9rocsparseL32gtsv_transpose_back_array_kernelILj256ELj128E21rocsparse_complex_numIdEEEviiiPKT1_PS3_.has_dyn_sized_stack, 0
	.set _ZN9rocsparseL32gtsv_transpose_back_array_kernelILj256ELj128E21rocsparse_complex_numIdEEEviiiPKT1_PS3_.has_recursion, 0
	.set _ZN9rocsparseL32gtsv_transpose_back_array_kernelILj256ELj128E21rocsparse_complex_numIdEEEviiiPKT1_PS3_.has_indirect_call, 0
	.section	.AMDGPU.csdata,"",@progbits
; Kernel info:
; codeLenInByte = 248
; TotalNumSgprs: 16
; NumVgprs: 7
; ScratchSize: 0
; MemoryBound: 0
; FloatMode: 240
; IeeeMode: 1
; LDSByteSize: 0 bytes/workgroup (compile time only)
; SGPRBlocks: 1
; VGPRBlocks: 1
; NumSGPRsForWavesPerEU: 16
; NumVGPRsForWavesPerEU: 7
; Occupancy: 10
; WaveLimiterHint : 0
; COMPUTE_PGM_RSRC2:SCRATCH_EN: 0
; COMPUTE_PGM_RSRC2:USER_SGPR: 6
; COMPUTE_PGM_RSRC2:TRAP_HANDLER: 0
; COMPUTE_PGM_RSRC2:TGID_X_EN: 1
; COMPUTE_PGM_RSRC2:TGID_Y_EN: 1
; COMPUTE_PGM_RSRC2:TGID_Z_EN: 0
; COMPUTE_PGM_RSRC2:TIDIG_COMP_CNT: 0
	.section	.text._ZN9rocsparseL42gtsv_transpose_and_pad_array_shared_kernelILj256ELj256E21rocsparse_complex_numIdEEEviiiPKT1_PS3_S3_,"axG",@progbits,_ZN9rocsparseL42gtsv_transpose_and_pad_array_shared_kernelILj256ELj256E21rocsparse_complex_numIdEEEviiiPKT1_PS3_S3_,comdat
	.globl	_ZN9rocsparseL42gtsv_transpose_and_pad_array_shared_kernelILj256ELj256E21rocsparse_complex_numIdEEEviiiPKT1_PS3_S3_ ; -- Begin function _ZN9rocsparseL42gtsv_transpose_and_pad_array_shared_kernelILj256ELj256E21rocsparse_complex_numIdEEEviiiPKT1_PS3_S3_
	.p2align	8
	.type	_ZN9rocsparseL42gtsv_transpose_and_pad_array_shared_kernelILj256ELj256E21rocsparse_complex_numIdEEEviiiPKT1_PS3_S3_,@function
_ZN9rocsparseL42gtsv_transpose_and_pad_array_shared_kernelILj256ELj256E21rocsparse_complex_numIdEEEviiiPKT1_PS3_S3_: ; @_ZN9rocsparseL42gtsv_transpose_and_pad_array_shared_kernelILj256ELj256E21rocsparse_complex_numIdEEEviiiPKT1_PS3_S3_
; %bb.0:
	s_load_dwordx4 s[0:3], s[4:5], 0x0
	v_lshl_or_b32 v2, s6, 8, v0
	v_lshlrev_b32_e32 v1, 4, v0
	s_waitcnt lgkmcnt(0)
	v_cmp_le_i32_e32 vcc, s0, v2
	s_and_saveexec_b64 s[8:9], vcc
	s_xor_b64 s[8:9], exec, s[8:9]
	s_cbranch_execz .LBB346_2
; %bb.1:
	s_load_dwordx4 s[12:15], s[4:5], 0x20
	s_waitcnt lgkmcnt(0)
	v_mov_b32_e32 v2, s12
	v_mov_b32_e32 v3, s13
	;; [unrolled: 1-line block ×4, first 2 shown]
	ds_write_b128 v1, v[2:5]
                                        ; implicit-def: $vgpr2
.LBB346_2:
	s_andn2_saveexec_b64 s[8:9], s[8:9]
	s_cbranch_execz .LBB346_4
; %bb.3:
	s_load_dwordx2 s[10:11], s[4:5], 0x10
	s_mul_i32 s0, s2, s7
	v_add_u32_e32 v2, s0, v2
	v_ashrrev_i32_e32 v3, 31, v2
	v_lshlrev_b64 v[2:3], 4, v[2:3]
	s_waitcnt lgkmcnt(0)
	v_mov_b32_e32 v4, s11
	v_add_co_u32_e32 v2, vcc, s10, v2
	v_addc_co_u32_e32 v3, vcc, v4, v3, vcc
	global_load_dwordx4 v[2:5], v[2:3], off
	s_waitcnt vmcnt(0)
	ds_write2_b64 v1, v[2:3], v[4:5] offset1:1
.LBB346_4:
	s_or_b64 exec, exec, s[8:9]
	s_lshr_b32 s0, s1, 8
	v_mov_b32_e32 v2, s6
	v_mad_u32_u24 v0, s0, v0, v2
	v_cmp_gt_i32_e32 vcc, s1, v0
	s_waitcnt lgkmcnt(0)
	s_barrier
	s_and_saveexec_b64 s[2:3], vcc
	s_cbranch_execz .LBB346_6
; %bb.5:
	s_mul_i32 s0, s1, s7
	s_load_dwordx2 s[2:3], s[4:5], 0x18
	v_add_u32_e32 v2, s0, v0
	v_ashrrev_i32_e32 v3, 31, v2
	v_lshlrev_b64 v[4:5], 4, v[2:3]
	ds_read2_b64 v[0:3], v1 offset1:1
	s_waitcnt lgkmcnt(0)
	v_mov_b32_e32 v6, s3
	v_add_co_u32_e32 v4, vcc, s2, v4
	v_addc_co_u32_e32 v5, vcc, v6, v5, vcc
	global_store_dwordx4 v[4:5], v[0:3], off
.LBB346_6:
	s_endpgm
	.section	.rodata,"a",@progbits
	.p2align	6, 0x0
	.amdhsa_kernel _ZN9rocsparseL42gtsv_transpose_and_pad_array_shared_kernelILj256ELj256E21rocsparse_complex_numIdEEEviiiPKT1_PS3_S3_
		.amdhsa_group_segment_fixed_size 4096
		.amdhsa_private_segment_fixed_size 0
		.amdhsa_kernarg_size 48
		.amdhsa_user_sgpr_count 6
		.amdhsa_user_sgpr_private_segment_buffer 1
		.amdhsa_user_sgpr_dispatch_ptr 0
		.amdhsa_user_sgpr_queue_ptr 0
		.amdhsa_user_sgpr_kernarg_segment_ptr 1
		.amdhsa_user_sgpr_dispatch_id 0
		.amdhsa_user_sgpr_flat_scratch_init 0
		.amdhsa_user_sgpr_private_segment_size 0
		.amdhsa_uses_dynamic_stack 0
		.amdhsa_system_sgpr_private_segment_wavefront_offset 0
		.amdhsa_system_sgpr_workgroup_id_x 1
		.amdhsa_system_sgpr_workgroup_id_y 1
		.amdhsa_system_sgpr_workgroup_id_z 0
		.amdhsa_system_sgpr_workgroup_info 0
		.amdhsa_system_vgpr_workitem_id 0
		.amdhsa_next_free_vgpr 7
		.amdhsa_next_free_sgpr 16
		.amdhsa_reserve_vcc 1
		.amdhsa_reserve_flat_scratch 0
		.amdhsa_float_round_mode_32 0
		.amdhsa_float_round_mode_16_64 0
		.amdhsa_float_denorm_mode_32 3
		.amdhsa_float_denorm_mode_16_64 3
		.amdhsa_dx10_clamp 1
		.amdhsa_ieee_mode 1
		.amdhsa_fp16_overflow 0
		.amdhsa_exception_fp_ieee_invalid_op 0
		.amdhsa_exception_fp_denorm_src 0
		.amdhsa_exception_fp_ieee_div_zero 0
		.amdhsa_exception_fp_ieee_overflow 0
		.amdhsa_exception_fp_ieee_underflow 0
		.amdhsa_exception_fp_ieee_inexact 0
		.amdhsa_exception_int_div_zero 0
	.end_amdhsa_kernel
	.section	.text._ZN9rocsparseL42gtsv_transpose_and_pad_array_shared_kernelILj256ELj256E21rocsparse_complex_numIdEEEviiiPKT1_PS3_S3_,"axG",@progbits,_ZN9rocsparseL42gtsv_transpose_and_pad_array_shared_kernelILj256ELj256E21rocsparse_complex_numIdEEEviiiPKT1_PS3_S3_,comdat
.Lfunc_end346:
	.size	_ZN9rocsparseL42gtsv_transpose_and_pad_array_shared_kernelILj256ELj256E21rocsparse_complex_numIdEEEviiiPKT1_PS3_S3_, .Lfunc_end346-_ZN9rocsparseL42gtsv_transpose_and_pad_array_shared_kernelILj256ELj256E21rocsparse_complex_numIdEEEviiiPKT1_PS3_S3_
                                        ; -- End function
	.set _ZN9rocsparseL42gtsv_transpose_and_pad_array_shared_kernelILj256ELj256E21rocsparse_complex_numIdEEEviiiPKT1_PS3_S3_.num_vgpr, 7
	.set _ZN9rocsparseL42gtsv_transpose_and_pad_array_shared_kernelILj256ELj256E21rocsparse_complex_numIdEEEviiiPKT1_PS3_S3_.num_agpr, 0
	.set _ZN9rocsparseL42gtsv_transpose_and_pad_array_shared_kernelILj256ELj256E21rocsparse_complex_numIdEEEviiiPKT1_PS3_S3_.numbered_sgpr, 16
	.set _ZN9rocsparseL42gtsv_transpose_and_pad_array_shared_kernelILj256ELj256E21rocsparse_complex_numIdEEEviiiPKT1_PS3_S3_.num_named_barrier, 0
	.set _ZN9rocsparseL42gtsv_transpose_and_pad_array_shared_kernelILj256ELj256E21rocsparse_complex_numIdEEEviiiPKT1_PS3_S3_.private_seg_size, 0
	.set _ZN9rocsparseL42gtsv_transpose_and_pad_array_shared_kernelILj256ELj256E21rocsparse_complex_numIdEEEviiiPKT1_PS3_S3_.uses_vcc, 1
	.set _ZN9rocsparseL42gtsv_transpose_and_pad_array_shared_kernelILj256ELj256E21rocsparse_complex_numIdEEEviiiPKT1_PS3_S3_.uses_flat_scratch, 0
	.set _ZN9rocsparseL42gtsv_transpose_and_pad_array_shared_kernelILj256ELj256E21rocsparse_complex_numIdEEEviiiPKT1_PS3_S3_.has_dyn_sized_stack, 0
	.set _ZN9rocsparseL42gtsv_transpose_and_pad_array_shared_kernelILj256ELj256E21rocsparse_complex_numIdEEEviiiPKT1_PS3_S3_.has_recursion, 0
	.set _ZN9rocsparseL42gtsv_transpose_and_pad_array_shared_kernelILj256ELj256E21rocsparse_complex_numIdEEEviiiPKT1_PS3_S3_.has_indirect_call, 0
	.section	.AMDGPU.csdata,"",@progbits
; Kernel info:
; codeLenInByte = 252
; TotalNumSgprs: 20
; NumVgprs: 7
; ScratchSize: 0
; MemoryBound: 0
; FloatMode: 240
; IeeeMode: 1
; LDSByteSize: 4096 bytes/workgroup (compile time only)
; SGPRBlocks: 2
; VGPRBlocks: 1
; NumSGPRsForWavesPerEU: 20
; NumVGPRsForWavesPerEU: 7
; Occupancy: 10
; WaveLimiterHint : 0
; COMPUTE_PGM_RSRC2:SCRATCH_EN: 0
; COMPUTE_PGM_RSRC2:USER_SGPR: 6
; COMPUTE_PGM_RSRC2:TRAP_HANDLER: 0
; COMPUTE_PGM_RSRC2:TGID_X_EN: 1
; COMPUTE_PGM_RSRC2:TGID_Y_EN: 1
; COMPUTE_PGM_RSRC2:TGID_Z_EN: 0
; COMPUTE_PGM_RSRC2:TIDIG_COMP_CNT: 0
	.section	.text._ZN9rocsparseL18gtsv_LBM_wv_kernelILj256ELj256E21rocsparse_complex_numIdEEEviiiPKT1_S5_S5_PS3_S6_S6_Pi,"axG",@progbits,_ZN9rocsparseL18gtsv_LBM_wv_kernelILj256ELj256E21rocsparse_complex_numIdEEEviiiPKT1_S5_S5_PS3_S6_S6_Pi,comdat
	.globl	_ZN9rocsparseL18gtsv_LBM_wv_kernelILj256ELj256E21rocsparse_complex_numIdEEEviiiPKT1_S5_S5_PS3_S6_S6_Pi ; -- Begin function _ZN9rocsparseL18gtsv_LBM_wv_kernelILj256ELj256E21rocsparse_complex_numIdEEEviiiPKT1_S5_S5_PS3_S6_S6_Pi
	.p2align	8
	.type	_ZN9rocsparseL18gtsv_LBM_wv_kernelILj256ELj256E21rocsparse_complex_numIdEEEviiiPKT1_S5_S5_PS3_S6_S6_Pi,@function
_ZN9rocsparseL18gtsv_LBM_wv_kernelILj256ELj256E21rocsparse_complex_numIdEEEviiiPKT1_S5_S5_PS3_S6_S6_Pi: ; @_ZN9rocsparseL18gtsv_LBM_wv_kernelILj256ELj256E21rocsparse_complex_numIdEEEviiiPKT1_S5_S5_PS3_S6_S6_Pi
; %bb.0:
	s_load_dword s29, s[4:5], 0x0
	v_lshl_or_b32 v40, s6, 8, v0
	s_waitcnt lgkmcnt(0)
	s_lshr_b32 s28, s29, 8
	v_cmp_gt_i32_e32 vcc, s28, v40
	s_and_saveexec_b64 s[0:1], vcc
	s_cbranch_execz .LBB347_72
; %bb.1:
	s_load_dwordx2 s[16:17], s[4:5], 0x10
	s_load_dwordx8 s[8:15], s[4:5], 0x20
	v_ashrrev_i32_e32 v41, 31, v40
	v_lshlrev_b64 v[0:1], 4, v[40:41]
	s_mul_i32 s30, s28, 0xff
	v_add_u32_e32 v9, s30, v40
	v_mov_b32_e32 v10, 0
	s_waitcnt lgkmcnt(0)
	v_mov_b32_e32 v3, s17
	v_add_co_u32_e32 v2, vcc, s16, v0
	v_lshlrev_b64 v[11:12], 4, v[9:10]
	v_addc_co_u32_e32 v3, vcc, v3, v1, vcc
	v_mov_b32_e32 v7, s9
	v_add_co_u32_e32 v6, vcc, s8, v11
	global_load_dwordx4 v[2:5], v[2:3], off
	v_addc_co_u32_e32 v7, vcc, v7, v12, vcc
	global_load_dwordx4 v[6:9], v[6:7], off
	s_load_dwordx2 s[6:7], s[4:5], 0x40
	v_mov_b32_e32 v13, s13
	v_add_co_u32_e32 v11, vcc, s12, v11
	v_addc_co_u32_e32 v12, vcc, v13, v12, vcc
	v_mov_b32_e32 v14, s11
	v_add_co_u32_e32 v41, vcc, s10, v0
	s_cmp_lt_i32 s29, 1
	v_add_u32_e32 v61, s28, v40
	v_addc_co_u32_e32 v42, vcc, v14, v1, vcc
	v_mov_b32_e32 v43, v10
	s_waitcnt vmcnt(1)
	global_store_dwordx4 v[41:42], v[2:5], off
	s_waitcnt vmcnt(1)
	global_store_dwordx4 v[11:12], v[6:9], off
	s_cbranch_scc1 .LBB347_65
; %bb.2:
	s_load_dwordx2 s[18:19], s[4:5], 0x18
	s_mov_b32 s22, 0
	s_mov_b32 s24, 0x372fe950
	s_mul_i32 s31, s28, 0xfe
	s_lshl_b32 s33, s28, 1
	s_waitcnt lgkmcnt(0)
	v_mov_b32_e32 v2, s19
	v_add_co_u32_e32 v0, vcc, s18, v0
	v_addc_co_u32_e32 v1, vcc, v2, v1, vcc
	global_load_dwordx4 v[0:3], v[0:1], off
	v_add_u32_e32 v62, s28, v61
	v_mov_b32_e32 v43, 0
	s_mov_b64 s[20:21], 0
	s_brev_b32 s23, 8
	v_mov_b32_e32 v63, 0x260
	s_mov_b32 s25, 0x3fe3c6ef
	v_mov_b32_e32 v64, 2
	v_mov_b32_e32 v65, 1
	;; [unrolled: 1-line block ×4, first 2 shown]
	s_branch .LBB347_5
.LBB347_3:                              ;   in Loop: Header=BB347_5 Depth=1
	s_or_b64 exec, exec, s[4:5]
	v_mul_f64 v[4:5], v[0:1], -v[32:33]
	v_mul_f64 v[0:1], v[0:1], v[34:35]
	v_mov_b32_e32 v8, s28
	v_fma_f64 v[4:5], v[34:35], v[2:3], v[4:5]
	v_fma_f64 v[2:3], v[32:33], v[2:3], v[0:1]
	v_add_f64 v[0:1], v[20:21], -v[4:5]
	v_add_f64 v[2:3], v[22:23], -v[2:3]
.LBB347_4:                              ;   in Loop: Header=BB347_5 Depth=1
	s_or_b64 exec, exec, s[2:3]
	v_add_u32_e32 v43, v8, v43
	v_cmp_le_i32_e32 vcc, s29, v43
	s_or_b64 s[20:21], vcc, s[20:21]
	s_andn2_b64 exec, exec, s[20:21]
	s_cbranch_execz .LBB347_64
.LBB347_5:                              ; =>This Inner Loop Header: Depth=1
	v_add_u32_e32 v45, v43, v40
	v_ashrrev_i32_e32 v46, 31, v45
	v_lshlrev_b64 v[47:48], 4, v[45:46]
	v_mov_b32_e32 v5, s9
	v_add_co_u32_e32 v4, vcc, s8, v47
	v_addc_co_u32_e32 v5, vcc, v5, v48, vcc
	global_load_dwordx4 v[16:19], v[4:5], off
	v_mov_b32_e32 v20, 0
	v_mov_b32_e32 v4, 0
	;; [unrolled: 1-line block ×6, first 2 shown]
	v_cmp_gt_u32_e64 s[0:1], s30, v43
	s_and_saveexec_b64 s[2:3], s[0:1]
	s_cbranch_execz .LBB347_7
; %bb.6:                                ;   in Loop: Header=BB347_5 Depth=1
	v_add_u32_e32 v4, v61, v43
	v_ashrrev_i32_e32 v5, 31, v4
	v_lshlrev_b64 v[4:5], 4, v[4:5]
	v_mov_b32_e32 v6, s17
	v_add_co_u32_e32 v4, vcc, s16, v4
	v_addc_co_u32_e32 v5, vcc, v6, v5, vcc
	global_load_dwordx4 v[4:7], v[4:5], off
.LBB347_7:                              ;   in Loop: Header=BB347_5 Depth=1
	s_or_b64 exec, exec, s[2:3]
	v_mov_b32_e32 v22, 0
	v_mov_b32_e32 v23, 0
	s_and_saveexec_b64 s[2:3], s[0:1]
	s_cbranch_execz .LBB347_9
; %bb.8:                                ;   in Loop: Header=BB347_5 Depth=1
	v_add_u32_e32 v8, v61, v43
	v_ashrrev_i32_e32 v9, 31, v8
	v_lshlrev_b64 v[8:9], 4, v[8:9]
	v_mov_b32_e32 v10, s19
	v_add_co_u32_e32 v8, vcc, s18, v8
	v_addc_co_u32_e32 v9, vcc, v10, v9, vcc
	global_load_dwordx4 v[20:23], v[8:9], off
.LBB347_9:                              ;   in Loop: Header=BB347_5 Depth=1
	s_or_b64 exec, exec, s[2:3]
	v_mov_b32_e32 v12, 0
	v_mov_b32_e32 v8, 0
	;; [unrolled: 1-line block ×6, first 2 shown]
	s_and_saveexec_b64 s[2:3], s[0:1]
	s_cbranch_execz .LBB347_11
; %bb.10:                               ;   in Loop: Header=BB347_5 Depth=1
	v_add_u32_e32 v8, v61, v43
	v_ashrrev_i32_e32 v9, 31, v8
	v_lshlrev_b64 v[8:9], 4, v[8:9]
	v_mov_b32_e32 v10, s9
	v_add_co_u32_e32 v8, vcc, s8, v8
	v_addc_co_u32_e32 v9, vcc, v10, v9, vcc
	global_load_dwordx4 v[8:11], v[8:9], off
.LBB347_11:                             ;   in Loop: Header=BB347_5 Depth=1
	s_or_b64 exec, exec, s[2:3]
	v_mov_b32_e32 v14, 0
	v_mov_b32_e32 v15, 0
	v_cmp_gt_u32_e64 s[2:3], s31, v43
	s_and_saveexec_b64 s[4:5], s[2:3]
	s_cbranch_execz .LBB347_13
; %bb.12:                               ;   in Loop: Header=BB347_5 Depth=1
	v_add_u32_e32 v12, v62, v43
	v_ashrrev_i32_e32 v13, 31, v12
	v_lshlrev_b64 v[12:13], 4, v[12:13]
	v_mov_b32_e32 v14, s17
	v_add_co_u32_e32 v12, vcc, s16, v12
	v_addc_co_u32_e32 v13, vcc, v14, v13, vcc
	global_load_dwordx4 v[12:15], v[12:13], off
.LBB347_13:                             ;   in Loop: Header=BB347_5 Depth=1
	s_or_b64 exec, exec, s[4:5]
	s_waitcnt vmcnt(0)
	v_cmp_gt_f64_e32 vcc, 0, v[4:5]
	v_xor_b32_e32 v24, 0x80000000, v5
	v_mov_b32_e32 v26, v4
	v_mov_b32_e32 v28, v6
	v_cndmask_b32_e32 v27, v5, v24, vcc
	v_cmp_gt_f64_e32 vcc, 0, v[6:7]
	v_xor_b32_e32 v24, 0x80000000, v7
	v_cndmask_b32_e32 v29, v7, v24, vcc
	v_cmp_ngt_f64_e32 vcc, v[26:27], v[28:29]
                                        ; implicit-def: $vgpr24_vgpr25
	s_and_saveexec_b64 s[4:5], vcc
	s_xor_b64 s[4:5], exec, s[4:5]
	s_cbranch_execz .LBB347_17
; %bb.14:                               ;   in Loop: Header=BB347_5 Depth=1
	v_cmp_neq_f64_e32 vcc, 0, v[6:7]
	v_mov_b32_e32 v24, 0
	v_mov_b32_e32 v25, 0
	s_and_saveexec_b64 s[26:27], vcc
	s_cbranch_execz .LBB347_16
; %bb.15:                               ;   in Loop: Header=BB347_5 Depth=1
	v_div_scale_f64 v[24:25], s[34:35], v[28:29], v[28:29], v[26:27]
	v_rcp_f64_e32 v[30:31], v[24:25]
	v_fma_f64 v[32:33], -v[24:25], v[30:31], 1.0
	v_fma_f64 v[30:31], v[30:31], v[32:33], v[30:31]
	v_div_scale_f64 v[32:33], vcc, v[26:27], v[28:29], v[26:27]
	v_fma_f64 v[34:35], -v[24:25], v[30:31], 1.0
	v_fma_f64 v[30:31], v[30:31], v[34:35], v[30:31]
	v_mul_f64 v[34:35], v[32:33], v[30:31]
	v_fma_f64 v[24:25], -v[24:25], v[34:35], v[32:33]
	v_div_fmas_f64 v[24:25], v[24:25], v[30:31], v[34:35]
	v_div_fixup_f64 v[24:25], v[24:25], v[28:29], v[26:27]
	v_fma_f64 v[24:25], v[24:25], v[24:25], 1.0
	v_cmp_gt_f64_e32 vcc, s[22:23], v[24:25]
	v_cndmask_b32_e32 v26, 0, v66, vcc
	v_ldexp_f64 v[24:25], v[24:25], v26
	v_rsq_f64_e32 v[26:27], v[24:25]
	v_mul_f64 v[30:31], v[24:25], v[26:27]
	v_mul_f64 v[26:27], v[26:27], 0.5
	v_fma_f64 v[32:33], -v[26:27], v[30:31], 0.5
	v_fma_f64 v[30:31], v[30:31], v[32:33], v[30:31]
	v_fma_f64 v[26:27], v[26:27], v[32:33], v[26:27]
	v_fma_f64 v[32:33], -v[30:31], v[30:31], v[24:25]
	v_fma_f64 v[30:31], v[32:33], v[26:27], v[30:31]
	v_fma_f64 v[32:33], -v[30:31], v[30:31], v[24:25]
	v_fma_f64 v[26:27], v[32:33], v[26:27], v[30:31]
	v_cndmask_b32_e32 v30, 0, v67, vcc
	v_cmp_class_f64_e32 vcc, v[24:25], v63
	v_ldexp_f64 v[26:27], v[26:27], v30
	v_cndmask_b32_e32 v25, v27, v25, vcc
	v_cndmask_b32_e32 v24, v26, v24, vcc
	v_mul_f64 v[24:25], v[28:29], v[24:25]
.LBB347_16:                             ;   in Loop: Header=BB347_5 Depth=1
	s_or_b64 exec, exec, s[26:27]
                                        ; implicit-def: $vgpr26_vgpr27
                                        ; implicit-def: $vgpr28_vgpr29
.LBB347_17:                             ;   in Loop: Header=BB347_5 Depth=1
	s_andn2_saveexec_b64 s[4:5], s[4:5]
	s_cbranch_execz .LBB347_19
; %bb.18:                               ;   in Loop: Header=BB347_5 Depth=1
	v_div_scale_f64 v[24:25], s[26:27], v[26:27], v[26:27], v[28:29]
	v_rcp_f64_e32 v[30:31], v[24:25]
	v_fma_f64 v[32:33], -v[24:25], v[30:31], 1.0
	v_fma_f64 v[30:31], v[30:31], v[32:33], v[30:31]
	v_div_scale_f64 v[32:33], vcc, v[28:29], v[26:27], v[28:29]
	v_fma_f64 v[34:35], -v[24:25], v[30:31], 1.0
	v_fma_f64 v[30:31], v[30:31], v[34:35], v[30:31]
	v_mul_f64 v[34:35], v[32:33], v[30:31]
	v_fma_f64 v[24:25], -v[24:25], v[34:35], v[32:33]
	v_div_fmas_f64 v[24:25], v[24:25], v[30:31], v[34:35]
	v_div_fixup_f64 v[24:25], v[24:25], v[26:27], v[28:29]
	v_fma_f64 v[24:25], v[24:25], v[24:25], 1.0
	v_cmp_gt_f64_e32 vcc, s[22:23], v[24:25]
	v_cndmask_b32_e32 v28, 0, v66, vcc
	v_ldexp_f64 v[24:25], v[24:25], v28
	v_rsq_f64_e32 v[28:29], v[24:25]
	v_mul_f64 v[30:31], v[24:25], v[28:29]
	v_mul_f64 v[28:29], v[28:29], 0.5
	v_fma_f64 v[32:33], -v[28:29], v[30:31], 0.5
	v_fma_f64 v[30:31], v[30:31], v[32:33], v[30:31]
	v_fma_f64 v[28:29], v[28:29], v[32:33], v[28:29]
	v_fma_f64 v[32:33], -v[30:31], v[30:31], v[24:25]
	v_fma_f64 v[30:31], v[32:33], v[28:29], v[30:31]
	v_fma_f64 v[32:33], -v[30:31], v[30:31], v[24:25]
	v_fma_f64 v[28:29], v[32:33], v[28:29], v[30:31]
	v_cndmask_b32_e32 v30, 0, v67, vcc
	v_cmp_class_f64_e32 vcc, v[24:25], v63
	v_ldexp_f64 v[28:29], v[28:29], v30
	v_cndmask_b32_e32 v25, v29, v25, vcc
	v_cndmask_b32_e32 v24, v28, v24, vcc
	v_mul_f64 v[24:25], v[26:27], v[24:25]
.LBB347_19:                             ;   in Loop: Header=BB347_5 Depth=1
	s_or_b64 exec, exec, s[4:5]
	v_cmp_gt_f64_e32 vcc, 0, v[12:13]
	v_xor_b32_e32 v26, 0x80000000, v13
	v_mov_b32_e32 v28, v12
	v_mov_b32_e32 v30, v14
	v_cndmask_b32_e32 v29, v13, v26, vcc
	v_cmp_gt_f64_e32 vcc, 0, v[14:15]
	v_xor_b32_e32 v26, 0x80000000, v15
	v_cndmask_b32_e32 v31, v15, v26, vcc
	v_cmp_ngt_f64_e32 vcc, v[28:29], v[30:31]
                                        ; implicit-def: $vgpr26_vgpr27
	s_and_saveexec_b64 s[4:5], vcc
	s_xor_b64 s[4:5], exec, s[4:5]
	s_cbranch_execz .LBB347_23
; %bb.20:                               ;   in Loop: Header=BB347_5 Depth=1
	v_cmp_neq_f64_e32 vcc, 0, v[14:15]
	v_mov_b32_e32 v26, 0
	v_mov_b32_e32 v27, 0
	s_and_saveexec_b64 s[26:27], vcc
	s_cbranch_execz .LBB347_22
; %bb.21:                               ;   in Loop: Header=BB347_5 Depth=1
	v_div_scale_f64 v[26:27], s[34:35], v[30:31], v[30:31], v[28:29]
	v_rcp_f64_e32 v[32:33], v[26:27]
	v_fma_f64 v[34:35], -v[26:27], v[32:33], 1.0
	v_fma_f64 v[32:33], v[32:33], v[34:35], v[32:33]
	v_div_scale_f64 v[34:35], vcc, v[28:29], v[30:31], v[28:29]
	v_fma_f64 v[36:37], -v[26:27], v[32:33], 1.0
	v_fma_f64 v[32:33], v[32:33], v[36:37], v[32:33]
	v_mul_f64 v[36:37], v[34:35], v[32:33]
	v_fma_f64 v[26:27], -v[26:27], v[36:37], v[34:35]
	v_div_fmas_f64 v[26:27], v[26:27], v[32:33], v[36:37]
	v_div_fixup_f64 v[26:27], v[26:27], v[30:31], v[28:29]
	v_fma_f64 v[26:27], v[26:27], v[26:27], 1.0
	v_cmp_gt_f64_e32 vcc, s[22:23], v[26:27]
	v_cndmask_b32_e32 v28, 0, v66, vcc
	v_ldexp_f64 v[26:27], v[26:27], v28
	v_rsq_f64_e32 v[28:29], v[26:27]
	v_mul_f64 v[32:33], v[26:27], v[28:29]
	v_mul_f64 v[28:29], v[28:29], 0.5
	v_fma_f64 v[34:35], -v[28:29], v[32:33], 0.5
	v_fma_f64 v[32:33], v[32:33], v[34:35], v[32:33]
	v_fma_f64 v[28:29], v[28:29], v[34:35], v[28:29]
	v_fma_f64 v[34:35], -v[32:33], v[32:33], v[26:27]
	v_fma_f64 v[32:33], v[34:35], v[28:29], v[32:33]
	v_fma_f64 v[34:35], -v[32:33], v[32:33], v[26:27]
	v_fma_f64 v[28:29], v[34:35], v[28:29], v[32:33]
	v_cndmask_b32_e32 v32, 0, v67, vcc
	v_cmp_class_f64_e32 vcc, v[26:27], v63
	v_ldexp_f64 v[28:29], v[28:29], v32
	v_cndmask_b32_e32 v27, v29, v27, vcc
	v_cndmask_b32_e32 v26, v28, v26, vcc
	v_mul_f64 v[26:27], v[30:31], v[26:27]
.LBB347_22:                             ;   in Loop: Header=BB347_5 Depth=1
	s_or_b64 exec, exec, s[26:27]
                                        ; implicit-def: $vgpr28_vgpr29
                                        ; implicit-def: $vgpr30_vgpr31
.LBB347_23:                             ;   in Loop: Header=BB347_5 Depth=1
	s_andn2_saveexec_b64 s[4:5], s[4:5]
	s_cbranch_execz .LBB347_25
; %bb.24:                               ;   in Loop: Header=BB347_5 Depth=1
	v_div_scale_f64 v[26:27], s[26:27], v[28:29], v[28:29], v[30:31]
	v_rcp_f64_e32 v[32:33], v[26:27]
	v_fma_f64 v[34:35], -v[26:27], v[32:33], 1.0
	v_fma_f64 v[32:33], v[32:33], v[34:35], v[32:33]
	v_div_scale_f64 v[34:35], vcc, v[30:31], v[28:29], v[30:31]
	v_fma_f64 v[36:37], -v[26:27], v[32:33], 1.0
	v_fma_f64 v[32:33], v[32:33], v[36:37], v[32:33]
	v_mul_f64 v[36:37], v[34:35], v[32:33]
	v_fma_f64 v[26:27], -v[26:27], v[36:37], v[34:35]
	v_div_fmas_f64 v[26:27], v[26:27], v[32:33], v[36:37]
	v_div_fixup_f64 v[26:27], v[26:27], v[28:29], v[30:31]
	v_fma_f64 v[26:27], v[26:27], v[26:27], 1.0
	v_cmp_gt_f64_e32 vcc, s[22:23], v[26:27]
	v_cndmask_b32_e32 v30, 0, v66, vcc
	v_ldexp_f64 v[26:27], v[26:27], v30
	v_rsq_f64_e32 v[30:31], v[26:27]
	v_mul_f64 v[32:33], v[26:27], v[30:31]
	v_mul_f64 v[30:31], v[30:31], 0.5
	v_fma_f64 v[34:35], -v[30:31], v[32:33], 0.5
	v_fma_f64 v[32:33], v[32:33], v[34:35], v[32:33]
	v_fma_f64 v[30:31], v[30:31], v[34:35], v[30:31]
	v_fma_f64 v[34:35], -v[32:33], v[32:33], v[26:27]
	v_fma_f64 v[32:33], v[34:35], v[30:31], v[32:33]
	v_fma_f64 v[34:35], -v[32:33], v[32:33], v[26:27]
	v_fma_f64 v[30:31], v[34:35], v[30:31], v[32:33]
	v_cndmask_b32_e32 v32, 0, v67, vcc
	v_cmp_class_f64_e32 vcc, v[26:27], v63
	v_ldexp_f64 v[30:31], v[30:31], v32
	v_cndmask_b32_e32 v27, v31, v27, vcc
	v_cndmask_b32_e32 v26, v30, v26, vcc
	v_mul_f64 v[26:27], v[28:29], v[26:27]
.LBB347_25:                             ;   in Loop: Header=BB347_5 Depth=1
	s_or_b64 exec, exec, s[4:5]
	v_cmp_gt_f64_e32 vcc, 0, v[20:21]
	v_xor_b32_e32 v28, 0x80000000, v21
	v_mov_b32_e32 v30, v20
	v_mov_b32_e32 v32, v22
	v_cndmask_b32_e32 v31, v21, v28, vcc
	v_cmp_gt_f64_e32 vcc, 0, v[22:23]
	v_xor_b32_e32 v28, 0x80000000, v23
	v_cndmask_b32_e32 v33, v23, v28, vcc
	v_cmp_ngt_f64_e32 vcc, v[30:31], v[32:33]
                                        ; implicit-def: $vgpr28_vgpr29
	s_and_saveexec_b64 s[4:5], vcc
	s_xor_b64 s[4:5], exec, s[4:5]
	s_cbranch_execz .LBB347_29
; %bb.26:                               ;   in Loop: Header=BB347_5 Depth=1
	v_cmp_neq_f64_e32 vcc, 0, v[22:23]
	v_mov_b32_e32 v28, 0
	v_mov_b32_e32 v29, 0
	s_and_saveexec_b64 s[26:27], vcc
	s_cbranch_execz .LBB347_28
; %bb.27:                               ;   in Loop: Header=BB347_5 Depth=1
	v_div_scale_f64 v[28:29], s[34:35], v[32:33], v[32:33], v[30:31]
	v_rcp_f64_e32 v[34:35], v[28:29]
	v_fma_f64 v[36:37], -v[28:29], v[34:35], 1.0
	v_fma_f64 v[34:35], v[34:35], v[36:37], v[34:35]
	v_div_scale_f64 v[36:37], vcc, v[30:31], v[32:33], v[30:31]
	v_fma_f64 v[38:39], -v[28:29], v[34:35], 1.0
	v_fma_f64 v[34:35], v[34:35], v[38:39], v[34:35]
	v_mul_f64 v[38:39], v[36:37], v[34:35]
	v_fma_f64 v[28:29], -v[28:29], v[38:39], v[36:37]
	v_div_fmas_f64 v[28:29], v[28:29], v[34:35], v[38:39]
	v_div_fixup_f64 v[28:29], v[28:29], v[32:33], v[30:31]
	v_fma_f64 v[28:29], v[28:29], v[28:29], 1.0
	v_cmp_gt_f64_e32 vcc, s[22:23], v[28:29]
	v_cndmask_b32_e32 v30, 0, v66, vcc
	v_ldexp_f64 v[28:29], v[28:29], v30
	v_rsq_f64_e32 v[30:31], v[28:29]
	v_mul_f64 v[34:35], v[28:29], v[30:31]
	v_mul_f64 v[30:31], v[30:31], 0.5
	v_fma_f64 v[36:37], -v[30:31], v[34:35], 0.5
	v_fma_f64 v[34:35], v[34:35], v[36:37], v[34:35]
	v_fma_f64 v[30:31], v[30:31], v[36:37], v[30:31]
	v_fma_f64 v[36:37], -v[34:35], v[34:35], v[28:29]
	v_fma_f64 v[34:35], v[36:37], v[30:31], v[34:35]
	v_fma_f64 v[36:37], -v[34:35], v[34:35], v[28:29]
	v_fma_f64 v[30:31], v[36:37], v[30:31], v[34:35]
	v_cndmask_b32_e32 v34, 0, v67, vcc
	v_cmp_class_f64_e32 vcc, v[28:29], v63
	v_ldexp_f64 v[30:31], v[30:31], v34
	v_cndmask_b32_e32 v29, v31, v29, vcc
	v_cndmask_b32_e32 v28, v30, v28, vcc
	v_mul_f64 v[28:29], v[32:33], v[28:29]
.LBB347_28:                             ;   in Loop: Header=BB347_5 Depth=1
	s_or_b64 exec, exec, s[26:27]
                                        ; implicit-def: $vgpr30_vgpr31
                                        ; implicit-def: $vgpr32_vgpr33
.LBB347_29:                             ;   in Loop: Header=BB347_5 Depth=1
	s_andn2_saveexec_b64 s[4:5], s[4:5]
	s_cbranch_execz .LBB347_31
; %bb.30:                               ;   in Loop: Header=BB347_5 Depth=1
	v_div_scale_f64 v[28:29], s[26:27], v[30:31], v[30:31], v[32:33]
	v_rcp_f64_e32 v[34:35], v[28:29]
	v_fma_f64 v[36:37], -v[28:29], v[34:35], 1.0
	v_fma_f64 v[34:35], v[34:35], v[36:37], v[34:35]
	v_div_scale_f64 v[36:37], vcc, v[32:33], v[30:31], v[32:33]
	v_fma_f64 v[38:39], -v[28:29], v[34:35], 1.0
	v_fma_f64 v[34:35], v[34:35], v[38:39], v[34:35]
	v_mul_f64 v[38:39], v[36:37], v[34:35]
	v_fma_f64 v[28:29], -v[28:29], v[38:39], v[36:37]
	v_div_fmas_f64 v[28:29], v[28:29], v[34:35], v[38:39]
	v_div_fixup_f64 v[28:29], v[28:29], v[30:31], v[32:33]
	v_fma_f64 v[28:29], v[28:29], v[28:29], 1.0
	v_cmp_gt_f64_e32 vcc, s[22:23], v[28:29]
	v_cndmask_b32_e32 v32, 0, v66, vcc
	v_ldexp_f64 v[28:29], v[28:29], v32
	v_rsq_f64_e32 v[32:33], v[28:29]
	v_mul_f64 v[34:35], v[28:29], v[32:33]
	v_mul_f64 v[32:33], v[32:33], 0.5
	v_fma_f64 v[36:37], -v[32:33], v[34:35], 0.5
	v_fma_f64 v[34:35], v[34:35], v[36:37], v[34:35]
	v_fma_f64 v[32:33], v[32:33], v[36:37], v[32:33]
	v_fma_f64 v[36:37], -v[34:35], v[34:35], v[28:29]
	v_fma_f64 v[34:35], v[36:37], v[32:33], v[34:35]
	v_fma_f64 v[36:37], -v[34:35], v[34:35], v[28:29]
	v_fma_f64 v[32:33], v[36:37], v[32:33], v[34:35]
	v_cndmask_b32_e32 v34, 0, v67, vcc
	v_cmp_class_f64_e32 vcc, v[28:29], v63
	v_ldexp_f64 v[32:33], v[32:33], v34
	v_cndmask_b32_e32 v29, v33, v29, vcc
	v_cndmask_b32_e32 v28, v32, v28, vcc
	v_mul_f64 v[28:29], v[30:31], v[28:29]
.LBB347_31:                             ;   in Loop: Header=BB347_5 Depth=1
	s_or_b64 exec, exec, s[4:5]
	v_cmp_gt_f64_e32 vcc, 0, v[16:17]
	v_xor_b32_e32 v30, 0x80000000, v17
	v_mov_b32_e32 v32, v16
	v_mov_b32_e32 v34, v18
	v_cndmask_b32_e32 v33, v17, v30, vcc
	v_cmp_gt_f64_e32 vcc, 0, v[18:19]
	v_xor_b32_e32 v30, 0x80000000, v19
	v_cndmask_b32_e32 v35, v19, v30, vcc
	v_cmp_ngt_f64_e32 vcc, v[32:33], v[34:35]
                                        ; implicit-def: $vgpr30_vgpr31
	s_and_saveexec_b64 s[4:5], vcc
	s_xor_b64 s[4:5], exec, s[4:5]
	s_cbranch_execz .LBB347_35
; %bb.32:                               ;   in Loop: Header=BB347_5 Depth=1
	v_cmp_neq_f64_e32 vcc, 0, v[18:19]
	v_mov_b32_e32 v30, 0
	v_mov_b32_e32 v31, 0
	s_and_saveexec_b64 s[26:27], vcc
	s_cbranch_execz .LBB347_34
; %bb.33:                               ;   in Loop: Header=BB347_5 Depth=1
	v_div_scale_f64 v[30:31], s[34:35], v[34:35], v[34:35], v[32:33]
	v_rcp_f64_e32 v[36:37], v[30:31]
	v_fma_f64 v[38:39], -v[30:31], v[36:37], 1.0
	v_fma_f64 v[36:37], v[36:37], v[38:39], v[36:37]
	v_div_scale_f64 v[38:39], vcc, v[32:33], v[34:35], v[32:33]
	v_fma_f64 v[49:50], -v[30:31], v[36:37], 1.0
	v_fma_f64 v[36:37], v[36:37], v[49:50], v[36:37]
	v_mul_f64 v[49:50], v[38:39], v[36:37]
	v_fma_f64 v[30:31], -v[30:31], v[49:50], v[38:39]
	v_div_fmas_f64 v[30:31], v[30:31], v[36:37], v[49:50]
	v_div_fixup_f64 v[30:31], v[30:31], v[34:35], v[32:33]
	v_fma_f64 v[30:31], v[30:31], v[30:31], 1.0
	v_cmp_gt_f64_e32 vcc, s[22:23], v[30:31]
	v_cndmask_b32_e32 v32, 0, v66, vcc
	v_ldexp_f64 v[30:31], v[30:31], v32
	v_rsq_f64_e32 v[32:33], v[30:31]
	v_mul_f64 v[36:37], v[30:31], v[32:33]
	v_mul_f64 v[32:33], v[32:33], 0.5
	v_fma_f64 v[38:39], -v[32:33], v[36:37], 0.5
	v_fma_f64 v[36:37], v[36:37], v[38:39], v[36:37]
	v_fma_f64 v[32:33], v[32:33], v[38:39], v[32:33]
	v_fma_f64 v[38:39], -v[36:37], v[36:37], v[30:31]
	v_fma_f64 v[36:37], v[38:39], v[32:33], v[36:37]
	v_fma_f64 v[38:39], -v[36:37], v[36:37], v[30:31]
	v_fma_f64 v[32:33], v[38:39], v[32:33], v[36:37]
	v_cndmask_b32_e32 v36, 0, v67, vcc
	v_cmp_class_f64_e32 vcc, v[30:31], v63
	v_ldexp_f64 v[32:33], v[32:33], v36
	v_cndmask_b32_e32 v31, v33, v31, vcc
	v_cndmask_b32_e32 v30, v32, v30, vcc
	v_mul_f64 v[30:31], v[34:35], v[30:31]
.LBB347_34:                             ;   in Loop: Header=BB347_5 Depth=1
	s_or_b64 exec, exec, s[26:27]
                                        ; implicit-def: $vgpr32_vgpr33
                                        ; implicit-def: $vgpr34_vgpr35
.LBB347_35:                             ;   in Loop: Header=BB347_5 Depth=1
	s_andn2_saveexec_b64 s[4:5], s[4:5]
	s_cbranch_execz .LBB347_37
; %bb.36:                               ;   in Loop: Header=BB347_5 Depth=1
	v_div_scale_f64 v[30:31], s[26:27], v[32:33], v[32:33], v[34:35]
	v_rcp_f64_e32 v[36:37], v[30:31]
	v_fma_f64 v[38:39], -v[30:31], v[36:37], 1.0
	v_fma_f64 v[36:37], v[36:37], v[38:39], v[36:37]
	v_div_scale_f64 v[38:39], vcc, v[34:35], v[32:33], v[34:35]
	v_fma_f64 v[49:50], -v[30:31], v[36:37], 1.0
	v_fma_f64 v[36:37], v[36:37], v[49:50], v[36:37]
	v_mul_f64 v[49:50], v[38:39], v[36:37]
	v_fma_f64 v[30:31], -v[30:31], v[49:50], v[38:39]
	v_div_fmas_f64 v[30:31], v[30:31], v[36:37], v[49:50]
	v_div_fixup_f64 v[30:31], v[30:31], v[32:33], v[34:35]
	v_fma_f64 v[30:31], v[30:31], v[30:31], 1.0
	v_cmp_gt_f64_e32 vcc, s[22:23], v[30:31]
	v_cndmask_b32_e32 v34, 0, v66, vcc
	v_ldexp_f64 v[30:31], v[30:31], v34
	v_rsq_f64_e32 v[34:35], v[30:31]
	v_mul_f64 v[36:37], v[30:31], v[34:35]
	v_mul_f64 v[34:35], v[34:35], 0.5
	v_fma_f64 v[38:39], -v[34:35], v[36:37], 0.5
	v_fma_f64 v[36:37], v[36:37], v[38:39], v[36:37]
	v_fma_f64 v[34:35], v[34:35], v[38:39], v[34:35]
	v_fma_f64 v[38:39], -v[36:37], v[36:37], v[30:31]
	v_fma_f64 v[36:37], v[38:39], v[34:35], v[36:37]
	v_fma_f64 v[38:39], -v[36:37], v[36:37], v[30:31]
	v_fma_f64 v[34:35], v[38:39], v[34:35], v[36:37]
	v_cndmask_b32_e32 v36, 0, v67, vcc
	v_cmp_class_f64_e32 vcc, v[30:31], v63
	v_ldexp_f64 v[34:35], v[34:35], v36
	v_cndmask_b32_e32 v31, v35, v31, vcc
	v_cndmask_b32_e32 v30, v34, v30, vcc
	v_mul_f64 v[30:31], v[32:33], v[30:31]
.LBB347_37:                             ;   in Loop: Header=BB347_5 Depth=1
	s_or_b64 exec, exec, s[4:5]
	v_cmp_gt_f64_e32 vcc, 0, v[8:9]
	v_xor_b32_e32 v32, 0x80000000, v9
	v_xor_b32_e32 v34, 0x80000000, v11
                                        ; implicit-def: $vgpr36_vgpr37
	v_cndmask_b32_e32 v33, v9, v32, vcc
	v_cmp_gt_f64_e32 vcc, 0, v[10:11]
	v_mov_b32_e32 v32, v8
	v_cndmask_b32_e32 v35, v11, v34, vcc
	v_mov_b32_e32 v34, v10
	v_cmp_ngt_f64_e32 vcc, v[32:33], v[34:35]
	s_and_saveexec_b64 s[4:5], vcc
	s_xor_b64 s[4:5], exec, s[4:5]
	s_cbranch_execz .LBB347_41
; %bb.38:                               ;   in Loop: Header=BB347_5 Depth=1
	v_cmp_neq_f64_e32 vcc, 0, v[10:11]
	v_mov_b32_e32 v36, 0
	v_mov_b32_e32 v37, 0
	s_and_saveexec_b64 s[26:27], vcc
	s_cbranch_execz .LBB347_40
; %bb.39:                               ;   in Loop: Header=BB347_5 Depth=1
	v_div_scale_f64 v[36:37], s[34:35], v[34:35], v[34:35], v[32:33]
	v_rcp_f64_e32 v[38:39], v[36:37]
	v_fma_f64 v[49:50], -v[36:37], v[38:39], 1.0
	v_fma_f64 v[38:39], v[38:39], v[49:50], v[38:39]
	v_div_scale_f64 v[49:50], vcc, v[32:33], v[34:35], v[32:33]
	v_fma_f64 v[51:52], -v[36:37], v[38:39], 1.0
	v_fma_f64 v[38:39], v[38:39], v[51:52], v[38:39]
	v_mul_f64 v[51:52], v[49:50], v[38:39]
	v_fma_f64 v[36:37], -v[36:37], v[51:52], v[49:50]
	v_div_fmas_f64 v[36:37], v[36:37], v[38:39], v[51:52]
	v_div_fixup_f64 v[32:33], v[36:37], v[34:35], v[32:33]
	v_fma_f64 v[32:33], v[32:33], v[32:33], 1.0
	v_cmp_gt_f64_e32 vcc, s[22:23], v[32:33]
	v_cndmask_b32_e32 v36, 0, v66, vcc
	v_ldexp_f64 v[32:33], v[32:33], v36
	v_rsq_f64_e32 v[36:37], v[32:33]
	v_mul_f64 v[38:39], v[32:33], v[36:37]
	v_mul_f64 v[36:37], v[36:37], 0.5
	v_fma_f64 v[49:50], -v[36:37], v[38:39], 0.5
	v_fma_f64 v[38:39], v[38:39], v[49:50], v[38:39]
	v_fma_f64 v[36:37], v[36:37], v[49:50], v[36:37]
	v_fma_f64 v[49:50], -v[38:39], v[38:39], v[32:33]
	v_fma_f64 v[38:39], v[49:50], v[36:37], v[38:39]
	v_fma_f64 v[49:50], -v[38:39], v[38:39], v[32:33]
	v_fma_f64 v[36:37], v[49:50], v[36:37], v[38:39]
	v_cndmask_b32_e32 v38, 0, v67, vcc
	v_cmp_class_f64_e32 vcc, v[32:33], v63
	v_ldexp_f64 v[36:37], v[36:37], v38
	v_cndmask_b32_e32 v33, v37, v33, vcc
	v_cndmask_b32_e32 v32, v36, v32, vcc
	v_mul_f64 v[36:37], v[34:35], v[32:33]
.LBB347_40:                             ;   in Loop: Header=BB347_5 Depth=1
	s_or_b64 exec, exec, s[26:27]
                                        ; implicit-def: $vgpr32_vgpr33
                                        ; implicit-def: $vgpr34_vgpr35
.LBB347_41:                             ;   in Loop: Header=BB347_5 Depth=1
	s_andn2_saveexec_b64 s[4:5], s[4:5]
	s_cbranch_execz .LBB347_43
; %bb.42:                               ;   in Loop: Header=BB347_5 Depth=1
	v_div_scale_f64 v[36:37], s[26:27], v[32:33], v[32:33], v[34:35]
	v_rcp_f64_e32 v[38:39], v[36:37]
	v_fma_f64 v[49:50], -v[36:37], v[38:39], 1.0
	v_fma_f64 v[38:39], v[38:39], v[49:50], v[38:39]
	v_div_scale_f64 v[49:50], vcc, v[34:35], v[32:33], v[34:35]
	v_fma_f64 v[51:52], -v[36:37], v[38:39], 1.0
	v_fma_f64 v[38:39], v[38:39], v[51:52], v[38:39]
	v_mul_f64 v[51:52], v[49:50], v[38:39]
	v_fma_f64 v[36:37], -v[36:37], v[51:52], v[49:50]
	v_div_fmas_f64 v[36:37], v[36:37], v[38:39], v[51:52]
	v_div_fixup_f64 v[34:35], v[36:37], v[32:33], v[34:35]
	v_fma_f64 v[34:35], v[34:35], v[34:35], 1.0
	v_cmp_gt_f64_e32 vcc, s[22:23], v[34:35]
	v_cndmask_b32_e32 v36, 0, v66, vcc
	v_ldexp_f64 v[34:35], v[34:35], v36
	v_rsq_f64_e32 v[36:37], v[34:35]
	v_mul_f64 v[38:39], v[34:35], v[36:37]
	v_mul_f64 v[36:37], v[36:37], 0.5
	v_fma_f64 v[49:50], -v[36:37], v[38:39], 0.5
	v_fma_f64 v[38:39], v[38:39], v[49:50], v[38:39]
	v_fma_f64 v[36:37], v[36:37], v[49:50], v[36:37]
	v_fma_f64 v[49:50], -v[38:39], v[38:39], v[34:35]
	v_fma_f64 v[38:39], v[49:50], v[36:37], v[38:39]
	v_fma_f64 v[49:50], -v[38:39], v[38:39], v[34:35]
	v_fma_f64 v[36:37], v[49:50], v[36:37], v[38:39]
	v_cndmask_b32_e32 v38, 0, v67, vcc
	v_cmp_class_f64_e32 vcc, v[34:35], v63
	v_ldexp_f64 v[36:37], v[36:37], v38
	v_cndmask_b32_e32 v35, v37, v35, vcc
	v_cndmask_b32_e32 v34, v36, v34, vcc
	v_mul_f64 v[36:37], v[32:33], v[34:35]
.LBB347_43:                             ;   in Loop: Header=BB347_5 Depth=1
	s_or_b64 exec, exec, s[4:5]
	v_cmp_gt_f64_e32 vcc, 0, v[0:1]
	v_xor_b32_e32 v32, 0x80000000, v1
	v_xor_b32_e32 v34, 0x80000000, v3
                                        ; implicit-def: $vgpr38_vgpr39
	v_cndmask_b32_e32 v33, v1, v32, vcc
	v_cmp_gt_f64_e32 vcc, 0, v[2:3]
	v_mov_b32_e32 v32, v0
	v_cndmask_b32_e32 v35, v3, v34, vcc
	v_mov_b32_e32 v34, v2
	v_cmp_ngt_f64_e32 vcc, v[32:33], v[34:35]
	s_and_saveexec_b64 s[4:5], vcc
	s_xor_b64 s[4:5], exec, s[4:5]
	s_cbranch_execz .LBB347_47
; %bb.44:                               ;   in Loop: Header=BB347_5 Depth=1
	v_cmp_neq_f64_e32 vcc, 0, v[2:3]
	v_mov_b32_e32 v38, 0
	v_mov_b32_e32 v39, 0
	s_and_saveexec_b64 s[26:27], vcc
	s_cbranch_execz .LBB347_46
; %bb.45:                               ;   in Loop: Header=BB347_5 Depth=1
	v_div_scale_f64 v[38:39], s[34:35], v[34:35], v[34:35], v[32:33]
	v_rcp_f64_e32 v[49:50], v[38:39]
	v_fma_f64 v[51:52], -v[38:39], v[49:50], 1.0
	v_fma_f64 v[49:50], v[49:50], v[51:52], v[49:50]
	v_div_scale_f64 v[51:52], vcc, v[32:33], v[34:35], v[32:33]
	v_fma_f64 v[53:54], -v[38:39], v[49:50], 1.0
	v_fma_f64 v[49:50], v[49:50], v[53:54], v[49:50]
	v_mul_f64 v[53:54], v[51:52], v[49:50]
	v_fma_f64 v[38:39], -v[38:39], v[53:54], v[51:52]
	v_div_fmas_f64 v[38:39], v[38:39], v[49:50], v[53:54]
	v_div_fixup_f64 v[32:33], v[38:39], v[34:35], v[32:33]
	v_fma_f64 v[32:33], v[32:33], v[32:33], 1.0
	v_cmp_gt_f64_e32 vcc, s[22:23], v[32:33]
	v_cndmask_b32_e32 v38, 0, v66, vcc
	v_ldexp_f64 v[32:33], v[32:33], v38
	v_cndmask_b32_e32 v44, 0, v67, vcc
	v_rsq_f64_e32 v[38:39], v[32:33]
	v_cmp_class_f64_e32 vcc, v[32:33], v63
	v_mul_f64 v[49:50], v[32:33], v[38:39]
	v_mul_f64 v[38:39], v[38:39], 0.5
	v_fma_f64 v[51:52], -v[38:39], v[49:50], 0.5
	v_fma_f64 v[49:50], v[49:50], v[51:52], v[49:50]
	v_fma_f64 v[38:39], v[38:39], v[51:52], v[38:39]
	v_fma_f64 v[51:52], -v[49:50], v[49:50], v[32:33]
	v_fma_f64 v[49:50], v[51:52], v[38:39], v[49:50]
	v_fma_f64 v[51:52], -v[49:50], v[49:50], v[32:33]
	v_fma_f64 v[38:39], v[51:52], v[38:39], v[49:50]
	v_ldexp_f64 v[38:39], v[38:39], v44
	v_cndmask_b32_e32 v33, v39, v33, vcc
	v_cndmask_b32_e32 v32, v38, v32, vcc
	v_mul_f64 v[38:39], v[34:35], v[32:33]
.LBB347_46:                             ;   in Loop: Header=BB347_5 Depth=1
	s_or_b64 exec, exec, s[26:27]
                                        ; implicit-def: $vgpr32_vgpr33
                                        ; implicit-def: $vgpr34_vgpr35
.LBB347_47:                             ;   in Loop: Header=BB347_5 Depth=1
	s_andn2_saveexec_b64 s[4:5], s[4:5]
	s_cbranch_execz .LBB347_49
; %bb.48:                               ;   in Loop: Header=BB347_5 Depth=1
	v_div_scale_f64 v[38:39], s[26:27], v[32:33], v[32:33], v[34:35]
	v_rcp_f64_e32 v[49:50], v[38:39]
	v_fma_f64 v[51:52], -v[38:39], v[49:50], 1.0
	v_fma_f64 v[49:50], v[49:50], v[51:52], v[49:50]
	v_div_scale_f64 v[51:52], vcc, v[34:35], v[32:33], v[34:35]
	v_fma_f64 v[53:54], -v[38:39], v[49:50], 1.0
	v_fma_f64 v[49:50], v[49:50], v[53:54], v[49:50]
	v_mul_f64 v[53:54], v[51:52], v[49:50]
	v_fma_f64 v[38:39], -v[38:39], v[53:54], v[51:52]
	v_div_fmas_f64 v[38:39], v[38:39], v[49:50], v[53:54]
	v_div_fixup_f64 v[34:35], v[38:39], v[32:33], v[34:35]
	v_fma_f64 v[34:35], v[34:35], v[34:35], 1.0
	v_cmp_gt_f64_e32 vcc, s[22:23], v[34:35]
	v_cndmask_b32_e32 v38, 0, v66, vcc
	v_ldexp_f64 v[34:35], v[34:35], v38
	v_cndmask_b32_e32 v44, 0, v67, vcc
	v_rsq_f64_e32 v[38:39], v[34:35]
	v_cmp_class_f64_e32 vcc, v[34:35], v63
	v_mul_f64 v[49:50], v[34:35], v[38:39]
	v_mul_f64 v[38:39], v[38:39], 0.5
	v_fma_f64 v[51:52], -v[38:39], v[49:50], 0.5
	v_fma_f64 v[49:50], v[49:50], v[51:52], v[49:50]
	v_fma_f64 v[38:39], v[38:39], v[51:52], v[38:39]
	v_fma_f64 v[51:52], -v[49:50], v[49:50], v[34:35]
	v_fma_f64 v[49:50], v[51:52], v[38:39], v[49:50]
	v_fma_f64 v[51:52], -v[49:50], v[49:50], v[34:35]
	v_fma_f64 v[38:39], v[51:52], v[38:39], v[49:50]
	v_ldexp_f64 v[38:39], v[38:39], v44
	v_cndmask_b32_e32 v35, v39, v35, vcc
	v_cndmask_b32_e32 v34, v38, v34, vcc
	v_mul_f64 v[38:39], v[32:33], v[34:35]
.LBB347_49:                             ;   in Loop: Header=BB347_5 Depth=1
	s_or_b64 exec, exec, s[4:5]
	v_mul_f64 v[32:33], v[18:19], -v[6:7]
	v_mul_f64 v[49:50], v[18:19], v[4:5]
                                        ; implicit-def: $vgpr53_vgpr54
	v_fma_f64 v[34:35], v[4:5], v[16:17], v[32:33]
	v_fma_f64 v[32:33], v[6:7], v[16:17], v[49:50]
	v_cmp_gt_f64_e32 vcc, 0, v[34:35]
	v_xor_b32_e32 v44, 0x80000000, v35
	v_xor_b32_e32 v51, 0x80000000, v33
	v_mov_b32_e32 v49, v34
	v_cndmask_b32_e32 v50, v35, v44, vcc
	v_cmp_gt_f64_e32 vcc, 0, v[32:33]
	v_cndmask_b32_e32 v52, v33, v51, vcc
	v_mov_b32_e32 v51, v32
	v_cmp_ngt_f64_e32 vcc, v[49:50], v[51:52]
	s_and_saveexec_b64 s[4:5], vcc
	s_xor_b64 s[4:5], exec, s[4:5]
	s_cbranch_execz .LBB347_53
; %bb.50:                               ;   in Loop: Header=BB347_5 Depth=1
	v_cmp_neq_f64_e32 vcc, 0, v[32:33]
	v_mov_b32_e32 v53, 0
	v_mov_b32_e32 v54, 0
	s_and_saveexec_b64 s[26:27], vcc
	s_cbranch_execz .LBB347_52
; %bb.51:                               ;   in Loop: Header=BB347_5 Depth=1
	v_div_scale_f64 v[53:54], s[34:35], v[51:52], v[51:52], v[49:50]
	v_rcp_f64_e32 v[55:56], v[53:54]
	v_fma_f64 v[57:58], -v[53:54], v[55:56], 1.0
	v_fma_f64 v[55:56], v[55:56], v[57:58], v[55:56]
	v_div_scale_f64 v[57:58], vcc, v[49:50], v[51:52], v[49:50]
	v_fma_f64 v[59:60], -v[53:54], v[55:56], 1.0
	v_fma_f64 v[55:56], v[55:56], v[59:60], v[55:56]
	v_mul_f64 v[59:60], v[57:58], v[55:56]
	v_fma_f64 v[53:54], -v[53:54], v[59:60], v[57:58]
	v_div_fmas_f64 v[53:54], v[53:54], v[55:56], v[59:60]
	v_div_fixup_f64 v[49:50], v[53:54], v[51:52], v[49:50]
	v_fma_f64 v[49:50], v[49:50], v[49:50], 1.0
	v_cmp_gt_f64_e32 vcc, s[22:23], v[49:50]
	v_cndmask_b32_e32 v44, 0, v66, vcc
	v_ldexp_f64 v[49:50], v[49:50], v44
	v_cndmask_b32_e32 v44, 0, v67, vcc
	v_rsq_f64_e32 v[53:54], v[49:50]
	v_cmp_class_f64_e32 vcc, v[49:50], v63
	v_mul_f64 v[55:56], v[49:50], v[53:54]
	v_mul_f64 v[53:54], v[53:54], 0.5
	v_fma_f64 v[57:58], -v[53:54], v[55:56], 0.5
	v_fma_f64 v[55:56], v[55:56], v[57:58], v[55:56]
	v_fma_f64 v[53:54], v[53:54], v[57:58], v[53:54]
	v_fma_f64 v[57:58], -v[55:56], v[55:56], v[49:50]
	v_fma_f64 v[55:56], v[57:58], v[53:54], v[55:56]
	v_fma_f64 v[57:58], -v[55:56], v[55:56], v[49:50]
	v_fma_f64 v[53:54], v[57:58], v[53:54], v[55:56]
	v_ldexp_f64 v[53:54], v[53:54], v44
	v_cndmask_b32_e32 v50, v54, v50, vcc
	v_cndmask_b32_e32 v49, v53, v49, vcc
	v_mul_f64 v[53:54], v[51:52], v[49:50]
.LBB347_52:                             ;   in Loop: Header=BB347_5 Depth=1
	s_or_b64 exec, exec, s[26:27]
                                        ; implicit-def: $vgpr49_vgpr50
                                        ; implicit-def: $vgpr51_vgpr52
.LBB347_53:                             ;   in Loop: Header=BB347_5 Depth=1
	s_andn2_saveexec_b64 s[4:5], s[4:5]
	s_cbranch_execz .LBB347_55
; %bb.54:                               ;   in Loop: Header=BB347_5 Depth=1
	v_div_scale_f64 v[53:54], s[26:27], v[49:50], v[49:50], v[51:52]
	v_rcp_f64_e32 v[55:56], v[53:54]
	v_fma_f64 v[57:58], -v[53:54], v[55:56], 1.0
	v_fma_f64 v[55:56], v[55:56], v[57:58], v[55:56]
	v_div_scale_f64 v[57:58], vcc, v[51:52], v[49:50], v[51:52]
	v_fma_f64 v[59:60], -v[53:54], v[55:56], 1.0
	v_fma_f64 v[55:56], v[55:56], v[59:60], v[55:56]
	v_mul_f64 v[59:60], v[57:58], v[55:56]
	v_fma_f64 v[53:54], -v[53:54], v[59:60], v[57:58]
	v_div_fmas_f64 v[53:54], v[53:54], v[55:56], v[59:60]
	v_div_fixup_f64 v[51:52], v[53:54], v[49:50], v[51:52]
	v_fma_f64 v[51:52], v[51:52], v[51:52], 1.0
	v_cmp_gt_f64_e32 vcc, s[22:23], v[51:52]
	v_cndmask_b32_e32 v44, 0, v66, vcc
	v_ldexp_f64 v[51:52], v[51:52], v44
	v_cndmask_b32_e32 v44, 0, v67, vcc
	v_rsq_f64_e32 v[53:54], v[51:52]
	v_cmp_class_f64_e32 vcc, v[51:52], v63
	v_mul_f64 v[55:56], v[51:52], v[53:54]
	v_mul_f64 v[53:54], v[53:54], 0.5
	v_fma_f64 v[57:58], -v[53:54], v[55:56], 0.5
	v_fma_f64 v[55:56], v[55:56], v[57:58], v[55:56]
	v_fma_f64 v[53:54], v[53:54], v[57:58], v[53:54]
	v_fma_f64 v[57:58], -v[55:56], v[55:56], v[51:52]
	v_fma_f64 v[55:56], v[57:58], v[53:54], v[55:56]
	v_fma_f64 v[57:58], -v[55:56], v[55:56], v[51:52]
	v_fma_f64 v[53:54], v[57:58], v[53:54], v[55:56]
	v_ldexp_f64 v[53:54], v[53:54], v44
	v_cndmask_b32_e32 v52, v54, v52, vcc
	v_cndmask_b32_e32 v51, v53, v51, vcc
	v_mul_f64 v[53:54], v[49:50], v[51:52]
.LBB347_55:                             ;   in Loop: Header=BB347_5 Depth=1
	s_or_b64 exec, exec, s[4:5]
	v_cmp_lt_f64_e32 vcc, v[24:25], v[26:27]
	v_cmp_ne_u32_e64 s[4:5], s30, v43
	v_cndmask_b32_e32 v25, v25, v27, vcc
	v_cndmask_b32_e32 v24, v24, v26, vcc
	v_cmp_lt_f64_e32 vcc, v[28:29], v[24:25]
	v_mul_f64 v[26:27], v[53:54], s[24:25]
	v_cndmask_b32_e32 v25, v29, v25, vcc
	v_cndmask_b32_e32 v24, v28, v24, vcc
	v_cmp_lt_f64_e32 vcc, v[30:31], v[24:25]
	v_cndmask_b32_e32 v25, v31, v25, vcc
	v_cndmask_b32_e32 v24, v30, v24, vcc
	v_cmp_lt_f64_e32 vcc, v[36:37], v[24:25]
	v_cndmask_b32_e32 v25, v37, v25, vcc
	v_cndmask_b32_e32 v24, v36, v24, vcc
	v_mul_f64 v[24:25], v[24:25], v[38:39]
	v_cmp_nge_f64_e32 vcc, v[24:25], v[26:27]
	s_and_b64 s[4:5], s[4:5], vcc
	s_and_saveexec_b64 s[26:27], s[4:5]
	s_xor_b64 s[4:5], exec, s[26:27]
	s_cbranch_execz .LBB347_61
; %bb.56:                               ;   in Loop: Header=BB347_5 Depth=1
	v_mul_f64 v[26:27], v[0:1], v[22:23]
	v_mul_f64 v[24:25], v[22:23], -v[2:3]
	v_ashrrev_i32_e32 v44, 31, v43
	v_add_u32_e32 v53, v61, v43
	v_ashrrev_i32_e32 v54, 31, v53
	v_lshlrev_b64 v[55:56], 4, v[53:54]
	v_fma_f64 v[26:27], v[2:3], v[20:21], v[26:27]
	v_fma_f64 v[24:25], v[0:1], v[20:21], v[24:25]
	v_add_f64 v[26:27], v[26:27], -v[32:33]
	v_add_f64 v[24:25], v[24:25], -v[34:35]
	v_mul_f64 v[28:29], v[26:27], v[26:27]
	v_fma_f64 v[28:29], v[24:25], v[24:25], v[28:29]
	v_div_scale_f64 v[30:31], s[26:27], v[28:29], v[28:29], 1.0
	v_rcp_f64_e32 v[32:33], v[30:31]
	v_fma_f64 v[34:35], -v[30:31], v[32:33], 1.0
	v_fma_f64 v[32:33], v[32:33], v[34:35], v[32:33]
	v_fma_f64 v[34:35], -v[30:31], v[32:33], 1.0
	v_fma_f64 v[32:33], v[32:33], v[34:35], v[32:33]
	v_div_scale_f64 v[34:35], vcc, 1.0, v[28:29], 1.0
	v_mul_f64 v[36:37], v[34:35], v[32:33]
	v_fma_f64 v[30:31], -v[30:31], v[36:37], v[34:35]
	s_nop 1
	v_div_fmas_f64 v[30:31], v[30:31], v[32:33], v[36:37]
	v_mov_b32_e32 v32, s13
	v_mov_b32_e32 v36, s13
	v_div_fixup_f64 v[28:29], v[30:31], v[28:29], 1.0
	v_fma_f64 v[30:31], v[26:27], 0, v[24:25]
	v_fma_f64 v[24:25], v[24:25], 0, -v[26:27]
	v_mul_f64 v[49:50], v[30:31], v[28:29]
	v_mul_f64 v[51:52], v[24:25], v[28:29]
	v_lshlrev_b64 v[24:25], 4, v[43:44]
	v_mov_b32_e32 v28, s11
	v_add_co_u32_e32 v72, vcc, v41, v24
	v_addc_co_u32_e32 v73, vcc, v42, v25, vcc
	v_add_co_u32_e32 v57, vcc, s10, v55
	v_addc_co_u32_e32 v58, vcc, v28, v56, vcc
	global_load_dwordx4 v[24:27], v[72:73], off
	global_load_dwordx4 v[28:31], v[57:58], off
	v_add_co_u32_e32 v74, vcc, s12, v47
	v_addc_co_u32_e32 v75, vcc, v32, v48, vcc
	global_load_dwordx4 v[32:35], v[74:75], off
	v_add_co_u32_e32 v59, vcc, s12, v55
	v_addc_co_u32_e32 v60, vcc, v36, v56, vcc
	global_load_dwordx4 v[36:39], v[59:60], off
	s_waitcnt vmcnt(3)
	v_mul_f64 v[70:71], v[20:21], v[26:27]
	s_waitcnt vmcnt(2)
	v_mul_f64 v[78:79], v[16:17], v[30:31]
	v_mul_f64 v[68:69], v[26:27], -v[22:23]
	v_mul_f64 v[76:77], v[30:31], -v[18:19]
	v_fma_f64 v[70:71], v[22:23], v[24:25], v[70:71]
	v_fma_f64 v[78:79], v[18:19], v[28:29], v[78:79]
	;; [unrolled: 1-line block ×4, first 2 shown]
	v_add_f64 v[70:71], v[70:71], -v[78:79]
	v_add_f64 v[76:77], v[68:69], -v[76:77]
	v_mul_f64 v[68:69], v[51:52], -v[70:71]
	v_fma_f64 v[68:69], v[76:77], v[49:50], v[68:69]
	v_mul_f64 v[76:77], v[51:52], v[76:77]
	v_fma_f64 v[70:71], v[70:71], v[49:50], v[76:77]
	global_store_dwordx4 v[72:73], v[68:71], off
	s_waitcnt vmcnt(2)
	v_mul_f64 v[68:69], v[34:35], -v[22:23]
	s_waitcnt vmcnt(1)
	v_mul_f64 v[70:71], v[16:17], v[38:39]
	v_fma_f64 v[68:69], v[20:21], v[32:33], v[68:69]
	v_mul_f64 v[20:21], v[20:21], v[34:35]
	v_fma_f64 v[70:71], v[18:19], v[36:37], v[70:71]
	v_fma_f64 v[20:21], v[22:23], v[32:33], v[20:21]
	v_mul_f64 v[22:23], v[38:39], -v[18:19]
	v_fma_f64 v[22:23], v[16:17], v[36:37], v[22:23]
	v_add_f64 v[22:23], v[68:69], -v[22:23]
	v_add_f64 v[68:69], v[20:21], -v[70:71]
	v_mul_f64 v[20:21], v[51:52], -v[68:69]
	v_fma_f64 v[20:21], v[22:23], v[49:50], v[20:21]
	v_mul_f64 v[22:23], v[51:52], v[22:23]
	v_fma_f64 v[22:23], v[68:69], v[49:50], v[22:23]
	global_store_dwordx4 v[74:75], v[20:23], off
	s_nop 0
	v_mul_f64 v[20:21], v[18:19], v[10:11]
	v_fma_f64 v[20:21], -v[16:17], v[8:9], v[20:21]
	v_mul_f64 v[16:17], v[10:11], -v[16:17]
	v_fma_f64 v[18:19], -v[18:19], v[8:9], v[16:17]
	v_mul_f64 v[16:17], v[51:52], -v[18:19]
	v_fma_f64 v[16:17], v[20:21], v[49:50], v[16:17]
	v_mul_f64 v[20:21], v[51:52], v[20:21]
	v_fma_f64 v[18:19], v[18:19], v[49:50], v[20:21]
	v_add_co_u32_e32 v20, vcc, s14, v47
	v_mov_b32_e32 v21, s15
	v_addc_co_u32_e32 v21, vcc, v21, v48, vcc
	global_store_dwordx4 v[20:21], v[16:19], off
	s_nop 0
	v_lshlrev_b64 v[16:17], 2, v[45:46]
	v_mov_b32_e32 v18, s7
	v_add_co_u32_e32 v16, vcc, s6, v16
	v_addc_co_u32_e32 v17, vcc, v18, v17, vcc
	global_store_dword v[16:17], v64, off
	s_and_saveexec_b64 s[26:27], s[0:1]
	s_cbranch_execz .LBB347_58
; %bb.57:                               ;   in Loop: Header=BB347_5 Depth=1
	v_mul_f64 v[16:17], v[6:7], v[26:27]
	v_mul_f64 v[18:19], v[26:27], -v[4:5]
	v_mul_f64 v[20:21], v[30:31], -v[2:3]
	v_mul_f64 v[22:23], v[0:1], v[30:31]
	v_mul_f64 v[44:45], v[6:7], v[34:35]
	v_mul_f64 v[34:35], v[34:35], -v[4:5]
	v_mul_f64 v[46:47], v[0:1], v[38:39]
	v_mul_f64 v[38:39], v[38:39], -v[2:3]
	v_fma_f64 v[16:17], -v[4:5], v[24:25], v[16:17]
	v_fma_f64 v[18:19], -v[6:7], v[24:25], v[18:19]
	v_fma_f64 v[20:21], v[0:1], v[28:29], v[20:21]
	v_fma_f64 v[22:23], v[2:3], v[28:29], v[22:23]
	v_fma_f64 v[44:45], -v[4:5], v[32:33], v[44:45]
	v_fma_f64 v[32:33], -v[6:7], v[32:33], v[34:35]
	v_fma_f64 v[34:35], v[2:3], v[36:37], v[46:47]
	v_fma_f64 v[36:37], v[0:1], v[36:37], v[38:39]
	v_mul_f64 v[38:39], v[0:1], v[10:11]
	v_mul_f64 v[46:47], v[10:11], -v[2:3]
	v_add_f64 v[16:17], v[16:17], v[20:21]
	v_add_f64 v[18:19], v[18:19], v[22:23]
	;; [unrolled: 1-line block ×4, first 2 shown]
	v_fma_f64 v[34:35], v[2:3], v[8:9], v[38:39]
	v_fma_f64 v[32:33], v[0:1], v[8:9], v[46:47]
	v_mul_f64 v[38:39], v[51:52], v[16:17]
	v_mul_f64 v[36:37], v[51:52], -v[18:19]
	v_mul_f64 v[44:45], v[51:52], -v[22:23]
	v_mul_f64 v[46:47], v[51:52], v[20:21]
	v_mul_f64 v[68:69], v[51:52], -v[34:35]
	v_mul_f64 v[70:71], v[51:52], v[32:33]
	v_fma_f64 v[18:19], v[18:19], v[49:50], v[38:39]
	v_fma_f64 v[16:17], v[16:17], v[49:50], v[36:37]
	v_mov_b32_e32 v36, s15
	v_fma_f64 v[20:21], v[20:21], v[49:50], v[44:45]
	v_fma_f64 v[22:23], v[22:23], v[49:50], v[46:47]
	;; [unrolled: 1-line block ×4, first 2 shown]
	global_store_dwordx4 v[57:58], v[16:19], off
	global_store_dwordx4 v[59:60], v[20:23], off
	v_add_co_u32_e32 v16, vcc, s14, v55
	v_addc_co_u32_e32 v17, vcc, v36, v56, vcc
	global_store_dwordx4 v[16:17], v[32:35], off
	v_lshlrev_b64 v[16:17], 2, v[53:54]
	v_mov_b32_e32 v18, s7
	v_add_co_u32_e32 v16, vcc, s6, v16
	v_addc_co_u32_e32 v17, vcc, v18, v17, vcc
	global_store_dword v[16:17], v64, off
.LBB347_58:                             ;   in Loop: Header=BB347_5 Depth=1
	s_or_b64 exec, exec, s[26:27]
	v_mov_b32_e32 v16, 0
	v_mov_b32_e32 v18, 0
	;; [unrolled: 1-line block ×4, first 2 shown]
	s_and_saveexec_b64 s[26:27], s[2:3]
	s_cbranch_execz .LBB347_60
; %bb.59:                               ;   in Loop: Header=BB347_5 Depth=1
	v_add_u32_e32 v16, v62, v43
	v_ashrrev_i32_e32 v17, 31, v16
	v_lshlrev_b64 v[20:21], 4, v[16:17]
	v_mov_b32_e32 v16, s11
	v_add_co_u32_e32 v32, vcc, s10, v20
	v_addc_co_u32_e32 v33, vcc, v16, v21, vcc
	v_mov_b32_e32 v22, s19
	v_add_co_u32_e32 v20, vcc, s18, v20
	v_addc_co_u32_e32 v21, vcc, v22, v21, vcc
	global_load_dwordx4 v[16:19], v[32:33], off
	v_mul_f64 v[34:35], v[6:7], v[14:15]
	global_load_dwordx4 v[20:23], v[20:21], off
	v_mul_f64 v[36:37], v[14:15], -v[4:5]
	v_mul_f64 v[38:39], v[14:15], -v[2:3]
	v_mul_f64 v[44:45], v[0:1], v[14:15]
	v_fma_f64 v[4:5], -v[4:5], v[12:13], v[34:35]
	v_fma_f64 v[6:7], -v[6:7], v[12:13], v[36:37]
	v_fma_f64 v[34:35], v[0:1], v[12:13], v[38:39]
	v_fma_f64 v[36:37], v[2:3], v[12:13], v[44:45]
	v_mul_f64 v[38:39], v[2:3], -v[14:15]
	v_mul_f64 v[2:3], v[2:3], v[12:13]
	v_mul_f64 v[44:45], v[51:52], v[4:5]
	v_mul_f64 v[46:47], v[51:52], -v[6:7]
	v_mul_f64 v[53:54], v[51:52], v[34:35]
	v_mul_f64 v[55:56], v[51:52], -v[36:37]
	v_fma_f64 v[12:13], v[12:13], v[0:1], v[38:39]
	v_fma_f64 v[0:1], v[14:15], v[0:1], v[2:3]
	;; [unrolled: 1-line block ×6, first 2 shown]
	v_mul_f64 v[34:35], v[10:11], v[12:13]
	v_mul_f64 v[10:11], v[10:11], -v[0:1]
	v_mul_f64 v[36:37], v[2:3], v[26:27]
	v_mul_f64 v[26:27], v[26:27], -v[4:5]
	v_mul_f64 v[38:39], v[30:31], -v[6:7]
	v_mul_f64 v[30:31], v[14:15], v[30:31]
	v_fma_f64 v[0:1], v[0:1], v[8:9], v[34:35]
	v_fma_f64 v[8:9], v[12:13], v[8:9], v[10:11]
	v_fma_f64 v[4:5], -v[4:5], v[24:25], v[36:37]
	v_fma_f64 v[2:3], -v[2:3], v[24:25], v[26:27]
	v_fma_f64 v[10:11], v[14:15], v[28:29], v[38:39]
	v_fma_f64 v[6:7], v[6:7], v[28:29], v[30:31]
	v_mul_f64 v[12:13], v[51:52], -v[0:1]
	v_mul_f64 v[14:15], v[51:52], v[8:9]
	v_add_f64 v[4:5], v[4:5], -v[10:11]
	v_add_f64 v[2:3], v[2:3], -v[6:7]
	v_fma_f64 v[6:7], v[8:9], v[49:50], v[12:13]
	v_fma_f64 v[8:9], v[0:1], v[49:50], v[14:15]
	s_waitcnt vmcnt(1)
	v_add_f64 v[0:1], v[4:5], v[16:17]
	v_add_f64 v[2:3], v[2:3], v[18:19]
	s_waitcnt vmcnt(0)
	v_add_f64 v[18:19], v[20:21], -v[6:7]
	v_add_f64 v[16:17], v[22:23], -v[8:9]
	global_store_dwordx4 v[32:33], v[0:3], off
.LBB347_60:                             ;   in Loop: Header=BB347_5 Depth=1
	s_or_b64 exec, exec, s[26:27]
	v_mov_b32_e32 v2, v16
	v_mov_b32_e32 v0, v18
	;; [unrolled: 1-line block ×4, first 2 shown]
                                        ; implicit-def: $vgpr4_vgpr5
                                        ; implicit-def: $vgpr20_vgpr21
                                        ; implicit-def: $vgpr34_vgpr35
                                        ; implicit-def: $vgpr32_vgpr33
                                        ; implicit-def: $vgpr45_vgpr46
                                        ; implicit-def: $vgpr47_vgpr48
                                        ; implicit-def: $vgpr18_vgpr19
.LBB347_61:                             ;   in Loop: Header=BB347_5 Depth=1
	s_or_saveexec_b64 s[2:3], s[4:5]
	v_mov_b32_e32 v8, s33
	s_xor_b64 exec, exec, s[2:3]
	s_cbranch_execz .LBB347_4
; %bb.62:                               ;   in Loop: Header=BB347_5 Depth=1
	v_mul_f64 v[8:9], v[2:3], v[2:3]
	v_ashrrev_i32_e32 v44, 31, v43
	v_mov_b32_e32 v12, s13
	v_mov_b32_e32 v53, s15
	v_fma_f64 v[24:25], v[0:1], v[0:1], v[8:9]
	v_lshlrev_b64 v[8:9], 4, v[43:44]
	v_lshlrev_b64 v[44:45], 2, v[45:46]
	v_add_co_u32_e32 v30, vcc, v41, v8
	v_addc_co_u32_e32 v31, vcc, v42, v9, vcc
	v_add_co_u32_e32 v38, vcc, s12, v47
	v_div_scale_f64 v[26:27], s[4:5], v[24:25], v[24:25], 1.0
	global_load_dwordx4 v[8:11], v[30:31], off
	v_addc_co_u32_e32 v39, vcc, v12, v48, vcc
	global_load_dwordx4 v[12:15], v[38:39], off
	v_mov_b32_e32 v46, s7
	v_rcp_f64_e32 v[28:29], v[26:27]
	v_fma_f64 v[36:37], -v[26:27], v[28:29], 1.0
	v_fma_f64 v[28:29], v[28:29], v[36:37], v[28:29]
	v_div_scale_f64 v[36:37], vcc, 1.0, v[24:25], 1.0
	v_fma_f64 v[49:50], -v[26:27], v[28:29], 1.0
	v_fma_f64 v[28:29], v[28:29], v[49:50], v[28:29]
	v_mul_f64 v[49:50], v[36:37], v[28:29]
	v_fma_f64 v[26:27], -v[26:27], v[49:50], v[36:37]
	v_div_fmas_f64 v[26:27], v[26:27], v[28:29], v[49:50]
	v_fma_f64 v[28:29], v[0:1], 0, -v[2:3]
	v_fma_f64 v[2:3], v[2:3], 0, v[0:1]
	v_div_fixup_f64 v[24:25], v[26:27], v[24:25], 1.0
	v_mul_f64 v[0:1], v[28:29], v[24:25]
	v_mul_f64 v[2:3], v[2:3], v[24:25]
	v_mul_f64 v[24:25], v[0:1], -v[18:19]
	v_mul_f64 v[26:27], v[0:1], v[16:17]
	s_waitcnt vmcnt(1)
	v_mul_f64 v[28:29], v[0:1], -v[10:11]
	v_mul_f64 v[36:37], v[0:1], v[8:9]
	s_waitcnt vmcnt(0)
	v_mul_f64 v[49:50], v[0:1], -v[14:15]
	v_mul_f64 v[51:52], v[0:1], v[12:13]
	v_fma_f64 v[16:17], v[16:17], v[2:3], v[24:25]
	v_fma_f64 v[18:19], v[18:19], v[2:3], v[26:27]
	;; [unrolled: 1-line block ×6, first 2 shown]
	v_add_co_u32_e32 v28, vcc, s14, v47
	v_addc_co_u32_e32 v29, vcc, v53, v48, vcc
	v_add_co_u32_e32 v36, vcc, s6, v44
	v_addc_co_u32_e32 v37, vcc, v46, v45, vcc
	global_store_dwordx4 v[30:31], v[24:27], off
	global_store_dwordx4 v[38:39], v[12:15], off
	global_store_dwordx4 v[28:29], v[16:19], off
	global_store_dword v[36:37], v65, off
	s_and_saveexec_b64 s[4:5], s[0:1]
	s_cbranch_execz .LBB347_3
; %bb.63:                               ;   in Loop: Header=BB347_5 Depth=1
	v_add_u32_e32 v12, v61, v43
	v_ashrrev_i32_e32 v13, 31, v12
	v_lshlrev_b64 v[12:13], 4, v[12:13]
	v_mov_b32_e32 v14, s11
	v_add_co_u32_e32 v16, vcc, s10, v12
	v_addc_co_u32_e32 v17, vcc, v14, v13, vcc
	global_load_dwordx4 v[12:15], v[16:17], off
	v_mul_f64 v[18:19], v[0:1], v[4:5]
	v_mul_f64 v[24:25], v[0:1], -v[6:7]
	v_fma_f64 v[6:7], v[6:7], v[2:3], v[18:19]
	v_fma_f64 v[4:5], v[4:5], v[2:3], v[24:25]
	v_mul_f64 v[18:19], v[6:7], v[10:11]
	v_mul_f64 v[10:11], v[10:11], -v[4:5]
	v_fma_f64 v[4:5], -v[4:5], v[8:9], v[18:19]
	v_fma_f64 v[6:7], -v[6:7], v[8:9], v[10:11]
	s_waitcnt vmcnt(0)
	v_add_f64 v[4:5], v[4:5], v[12:13]
	v_add_f64 v[6:7], v[6:7], v[14:15]
	global_store_dwordx4 v[16:17], v[4:7], off
	s_branch .LBB347_3
.LBB347_64:
	s_or_b64 exec, exec, s[20:21]
.LBB347_65:
	v_subrev_u32_e32 v2, s28, v43
	v_add_u32_e32 v0, v2, v40
	v_ashrrev_i32_e32 v1, 31, v0
	v_lshlrev_b64 v[0:1], 2, v[0:1]
	s_waitcnt lgkmcnt(0)
	v_mov_b32_e32 v3, s7
	v_add_co_u32_e32 v0, vcc, s6, v0
	v_addc_co_u32_e32 v1, vcc, v3, v1, vcc
	s_waitcnt vmcnt(0)
	buffer_wbinvl1_vol
	global_load_dword v0, v[0:1], off
	s_waitcnt vmcnt(0)
	v_mul_lo_u32 v0, v0, s28
	v_sub_u32_e32 v4, v2, v0
	v_cmp_lt_i32_e32 vcc, -1, v4
	s_and_b64 exec, exec, vcc
	s_cbranch_execz .LBB347_72
; %bb.66:
	v_subrev_u32_e32 v14, s28, v40
	s_lshl_b32 s4, s28, 1
	s_mov_b64 s[0:1], 0
	v_mov_b32_e32 v15, s7
	v_mov_b32_e32 v16, s15
	s_branch .LBB347_68
.LBB347_67:                             ;   in Loop: Header=BB347_68 Depth=1
	s_or_b64 exec, exec, s[2:3]
	s_waitcnt vmcnt(0)
	v_lshlrev_b64 v[0:1], 4, v[6:7]
	v_mov_b32_e32 v2, s13
	v_add_co_u32_e32 v6, vcc, s12, v0
	v_addc_co_u32_e32 v7, vcc, v2, v1, vcc
	global_load_dwordx4 v[0:3], v[6:7], off
	v_sub_u32_e32 v4, v4, v5
	v_cmp_gt_i32_e32 vcc, 0, v4
	s_or_b64 s[0:1], vcc, s[0:1]
	s_waitcnt vmcnt(0)
	v_add_f64 v[0:1], v[0:1], v[10:11]
	v_add_f64 v[2:3], v[12:13], v[2:3]
	global_store_dwordx4 v[6:7], v[0:3], off
	s_andn2_b64 exec, exec, s[0:1]
	s_cbranch_execz .LBB347_72
.LBB347_68:                             ; =>This Inner Loop Header: Depth=1
	v_add_u32_e32 v6, v4, v40
	v_ashrrev_i32_e32 v7, 31, v6
	v_lshlrev_b64 v[0:1], 2, v[6:7]
	v_lshlrev_b64 v[8:9], 4, v[6:7]
	v_add_co_u32_e32 v0, vcc, s6, v0
	v_addc_co_u32_e32 v1, vcc, v15, v1, vcc
	global_load_dword v5, v[0:1], off
	v_add_co_u32_e32 v0, vcc, s14, v8
	v_addc_co_u32_e32 v1, vcc, v16, v9, vcc
	global_load_dwordx4 v[0:3], v[0:1], off
                                        ; implicit-def: $vgpr12_vgpr13
                                        ; implicit-def: $vgpr10_vgpr11
	s_waitcnt vmcnt(1)
	v_cmp_ne_u32_e32 vcc, 1, v5
	s_and_saveexec_b64 s[2:3], vcc
	s_xor_b64 s[2:3], exec, s[2:3]
	s_cbranch_execz .LBB347_70
; %bb.69:                               ;   in Loop: Header=BB347_68 Depth=1
	v_add_u32_e32 v5, v61, v4
	v_ashrrev_i32_e32 v6, 31, v5
	v_lshlrev_b64 v[5:6], 4, v[5:6]
	v_mov_b32_e32 v7, s11
	v_add_co_u32_e32 v29, vcc, s10, v5
	v_addc_co_u32_e32 v30, vcc, v7, v6, vcc
	global_load_dwordx4 v[10:13], v[29:30], off
	v_mov_b32_e32 v7, s13
	v_add_co_u32_e32 v31, vcc, s12, v5
	v_ashrrev_i32_e32 v5, 31, v4
	v_addc_co_u32_e32 v32, vcc, v7, v6, vcc
	v_lshlrev_b64 v[5:6], 4, v[4:5]
	global_load_dwordx4 v[17:20], v[31:32], off
	v_add_co_u32_e32 v33, vcc, v41, v5
	v_addc_co_u32_e32 v34, vcc, v42, v6, vcc
	global_load_dwordx4 v[21:24], v[33:34], off
	v_mov_b32_e32 v5, s13
	v_add_co_u32_e32 v35, vcc, s12, v8
	v_addc_co_u32_e32 v36, vcc, v5, v9, vcc
	global_load_dwordx4 v[25:28], v[35:36], off
	s_waitcnt vmcnt(3)
	v_mul_f64 v[5:6], v[2:3], v[12:13]
	v_mul_f64 v[7:8], v[12:13], -v[0:1]
	s_waitcnt vmcnt(2)
	v_mul_f64 v[12:13], v[2:3], v[19:20]
	v_fma_f64 v[37:38], -v[0:1], v[10:11], v[5:6]
	v_fma_f64 v[10:11], -v[2:3], v[10:11], v[7:8]
	v_mul_f64 v[19:20], v[19:20], -v[0:1]
	v_add_u32_e32 v6, v14, v4
	v_ashrrev_i32_e32 v7, 31, v6
	v_lshlrev_b64 v[43:44], 4, v[6:7]
	v_mov_b32_e32 v5, s15
	v_fma_f64 v[12:13], -v[0:1], v[17:18], v[12:13]
	s_waitcnt vmcnt(1)
	v_add_f64 v[8:9], v[21:22], v[37:38]
	v_add_f64 v[10:11], v[10:11], v[23:24]
	v_add_co_u32_e32 v0, vcc, s14, v43
	v_fma_f64 v[19:20], -v[2:3], v[17:18], v[19:20]
	v_addc_co_u32_e32 v1, vcc, v5, v44, vcc
	global_load_dwordx4 v[0:3], v[0:1], off
	s_waitcnt vmcnt(1)
	v_add_f64 v[17:18], v[25:26], v[12:13]
	global_store_dwordx4 v[33:34], v[8:11], off
	global_load_dwordx4 v[8:11], v[29:30], off
	v_mov_b32_e32 v5, s11
	v_add_f64 v[19:20], v[19:20], v[27:28]
	v_add_co_u32_e32 v25, vcc, s10, v43
	v_addc_co_u32_e32 v26, vcc, v5, v44, vcc
	global_load_dwordx4 v[21:24], v[25:26], off
	s_waitcnt vmcnt(1)
	v_mul_f64 v[12:13], v[2:3], v[10:11]
	global_store_dwordx4 v[35:36], v[17:20], off
	global_load_dwordx4 v[17:20], v[31:32], off
	v_mul_f64 v[10:11], v[10:11], -v[0:1]
	v_fma_f64 v[12:13], -v[0:1], v[8:9], v[12:13]
	v_fma_f64 v[8:9], -v[2:3], v[8:9], v[10:11]
	s_waitcnt vmcnt(0)
	v_mul_f64 v[10:11], v[2:3], v[19:20]
	v_mul_f64 v[27:28], v[19:20], -v[0:1]
	v_add_f64 v[19:20], v[21:22], v[12:13]
	v_add_f64 v[21:22], v[8:9], v[23:24]
	v_fma_f64 v[10:11], -v[0:1], v[17:18], v[10:11]
	v_fma_f64 v[12:13], -v[2:3], v[17:18], v[27:28]
                                        ; implicit-def: $vgpr2_vgpr3
	global_store_dwordx4 v[25:26], v[19:22], off
.LBB347_70:                             ;   in Loop: Header=BB347_68 Depth=1
	s_or_saveexec_b64 s[2:3], s[2:3]
	v_mov_b32_e32 v5, s4
	s_xor_b64 exec, exec, s[2:3]
	s_cbranch_execz .LBB347_67
; %bb.71:                               ;   in Loop: Header=BB347_68 Depth=1
	v_add_u32_e32 v8, v61, v4
	v_ashrrev_i32_e32 v9, 31, v8
	v_lshlrev_b64 v[12:13], 4, v[8:9]
	v_mov_b32_e32 v5, s11
	v_add_co_u32_e32 v8, vcc, s10, v12
	v_addc_co_u32_e32 v9, vcc, v5, v13, vcc
	global_load_dwordx4 v[8:11], v[8:9], off
	v_mov_b32_e32 v17, s13
	v_add_co_u32_e32 v12, vcc, s12, v12
	v_addc_co_u32_e32 v13, vcc, v17, v13, vcc
	global_load_dwordx4 v[17:20], v[12:13], off
	v_ashrrev_i32_e32 v5, 31, v4
	v_lshlrev_b64 v[12:13], 4, v[4:5]
	v_mov_b32_e32 v5, s28
	v_add_co_u32_e32 v25, vcc, v41, v12
	v_addc_co_u32_e32 v26, vcc, v42, v13, vcc
	global_load_dwordx4 v[21:24], v[25:26], off
	s_waitcnt vmcnt(2)
	v_mul_f64 v[12:13], v[2:3], v[10:11]
	v_mul_f64 v[10:11], v[10:11], -v[0:1]
	s_waitcnt vmcnt(1)
	v_mul_f64 v[27:28], v[19:20], -v[0:1]
	v_fma_f64 v[12:13], -v[0:1], v[8:9], v[12:13]
	v_fma_f64 v[8:9], -v[2:3], v[8:9], v[10:11]
	v_mul_f64 v[10:11], v[2:3], v[19:20]
	s_waitcnt vmcnt(0)
	v_add_f64 v[19:20], v[21:22], v[12:13]
	v_add_f64 v[21:22], v[8:9], v[23:24]
	v_fma_f64 v[10:11], -v[0:1], v[17:18], v[10:11]
	v_fma_f64 v[12:13], -v[2:3], v[17:18], v[27:28]
	global_store_dwordx4 v[25:26], v[19:22], off
	s_branch .LBB347_67
.LBB347_72:
	s_endpgm
	.section	.rodata,"a",@progbits
	.p2align	6, 0x0
	.amdhsa_kernel _ZN9rocsparseL18gtsv_LBM_wv_kernelILj256ELj256E21rocsparse_complex_numIdEEEviiiPKT1_S5_S5_PS3_S6_S6_Pi
		.amdhsa_group_segment_fixed_size 0
		.amdhsa_private_segment_fixed_size 0
		.amdhsa_kernarg_size 72
		.amdhsa_user_sgpr_count 6
		.amdhsa_user_sgpr_private_segment_buffer 1
		.amdhsa_user_sgpr_dispatch_ptr 0
		.amdhsa_user_sgpr_queue_ptr 0
		.amdhsa_user_sgpr_kernarg_segment_ptr 1
		.amdhsa_user_sgpr_dispatch_id 0
		.amdhsa_user_sgpr_flat_scratch_init 0
		.amdhsa_user_sgpr_private_segment_size 0
		.amdhsa_uses_dynamic_stack 0
		.amdhsa_system_sgpr_private_segment_wavefront_offset 0
		.amdhsa_system_sgpr_workgroup_id_x 1
		.amdhsa_system_sgpr_workgroup_id_y 0
		.amdhsa_system_sgpr_workgroup_id_z 0
		.amdhsa_system_sgpr_workgroup_info 0
		.amdhsa_system_vgpr_workitem_id 0
		.amdhsa_next_free_vgpr 80
		.amdhsa_next_free_sgpr 36
		.amdhsa_reserve_vcc 1
		.amdhsa_reserve_flat_scratch 0
		.amdhsa_float_round_mode_32 0
		.amdhsa_float_round_mode_16_64 0
		.amdhsa_float_denorm_mode_32 3
		.amdhsa_float_denorm_mode_16_64 3
		.amdhsa_dx10_clamp 1
		.amdhsa_ieee_mode 1
		.amdhsa_fp16_overflow 0
		.amdhsa_exception_fp_ieee_invalid_op 0
		.amdhsa_exception_fp_denorm_src 0
		.amdhsa_exception_fp_ieee_div_zero 0
		.amdhsa_exception_fp_ieee_overflow 0
		.amdhsa_exception_fp_ieee_underflow 0
		.amdhsa_exception_fp_ieee_inexact 0
		.amdhsa_exception_int_div_zero 0
	.end_amdhsa_kernel
	.section	.text._ZN9rocsparseL18gtsv_LBM_wv_kernelILj256ELj256E21rocsparse_complex_numIdEEEviiiPKT1_S5_S5_PS3_S6_S6_Pi,"axG",@progbits,_ZN9rocsparseL18gtsv_LBM_wv_kernelILj256ELj256E21rocsparse_complex_numIdEEEviiiPKT1_S5_S5_PS3_S6_S6_Pi,comdat
.Lfunc_end347:
	.size	_ZN9rocsparseL18gtsv_LBM_wv_kernelILj256ELj256E21rocsparse_complex_numIdEEEviiiPKT1_S5_S5_PS3_S6_S6_Pi, .Lfunc_end347-_ZN9rocsparseL18gtsv_LBM_wv_kernelILj256ELj256E21rocsparse_complex_numIdEEEviiiPKT1_S5_S5_PS3_S6_S6_Pi
                                        ; -- End function
	.set _ZN9rocsparseL18gtsv_LBM_wv_kernelILj256ELj256E21rocsparse_complex_numIdEEEviiiPKT1_S5_S5_PS3_S6_S6_Pi.num_vgpr, 80
	.set _ZN9rocsparseL18gtsv_LBM_wv_kernelILj256ELj256E21rocsparse_complex_numIdEEEviiiPKT1_S5_S5_PS3_S6_S6_Pi.num_agpr, 0
	.set _ZN9rocsparseL18gtsv_LBM_wv_kernelILj256ELj256E21rocsparse_complex_numIdEEEviiiPKT1_S5_S5_PS3_S6_S6_Pi.numbered_sgpr, 36
	.set _ZN9rocsparseL18gtsv_LBM_wv_kernelILj256ELj256E21rocsparse_complex_numIdEEEviiiPKT1_S5_S5_PS3_S6_S6_Pi.num_named_barrier, 0
	.set _ZN9rocsparseL18gtsv_LBM_wv_kernelILj256ELj256E21rocsparse_complex_numIdEEEviiiPKT1_S5_S5_PS3_S6_S6_Pi.private_seg_size, 0
	.set _ZN9rocsparseL18gtsv_LBM_wv_kernelILj256ELj256E21rocsparse_complex_numIdEEEviiiPKT1_S5_S5_PS3_S6_S6_Pi.uses_vcc, 1
	.set _ZN9rocsparseL18gtsv_LBM_wv_kernelILj256ELj256E21rocsparse_complex_numIdEEEviiiPKT1_S5_S5_PS3_S6_S6_Pi.uses_flat_scratch, 0
	.set _ZN9rocsparseL18gtsv_LBM_wv_kernelILj256ELj256E21rocsparse_complex_numIdEEEviiiPKT1_S5_S5_PS3_S6_S6_Pi.has_dyn_sized_stack, 0
	.set _ZN9rocsparseL18gtsv_LBM_wv_kernelILj256ELj256E21rocsparse_complex_numIdEEEviiiPKT1_S5_S5_PS3_S6_S6_Pi.has_recursion, 0
	.set _ZN9rocsparseL18gtsv_LBM_wv_kernelILj256ELj256E21rocsparse_complex_numIdEEEviiiPKT1_S5_S5_PS3_S6_S6_Pi.has_indirect_call, 0
	.section	.AMDGPU.csdata,"",@progbits
; Kernel info:
; codeLenInByte = 7372
; TotalNumSgprs: 40
; NumVgprs: 80
; ScratchSize: 0
; MemoryBound: 1
; FloatMode: 240
; IeeeMode: 1
; LDSByteSize: 0 bytes/workgroup (compile time only)
; SGPRBlocks: 4
; VGPRBlocks: 19
; NumSGPRsForWavesPerEU: 40
; NumVGPRsForWavesPerEU: 80
; Occupancy: 3
; WaveLimiterHint : 0
; COMPUTE_PGM_RSRC2:SCRATCH_EN: 0
; COMPUTE_PGM_RSRC2:USER_SGPR: 6
; COMPUTE_PGM_RSRC2:TRAP_HANDLER: 0
; COMPUTE_PGM_RSRC2:TGID_X_EN: 1
; COMPUTE_PGM_RSRC2:TGID_Y_EN: 0
; COMPUTE_PGM_RSRC2:TGID_Z_EN: 0
; COMPUTE_PGM_RSRC2:TIDIG_COMP_CNT: 0
	.section	.text._ZN9rocsparseL19gtsv_LBM_rhs_kernelILj256ELj256ELj8E21rocsparse_complex_numIdEEEviiiPKT2_S5_S5_PS3_S5_PKi,"axG",@progbits,_ZN9rocsparseL19gtsv_LBM_rhs_kernelILj256ELj256ELj8E21rocsparse_complex_numIdEEEviiiPKT2_S5_S5_PS3_S5_PKi,comdat
	.globl	_ZN9rocsparseL19gtsv_LBM_rhs_kernelILj256ELj256ELj8E21rocsparse_complex_numIdEEEviiiPKT2_S5_S5_PS3_S5_PKi ; -- Begin function _ZN9rocsparseL19gtsv_LBM_rhs_kernelILj256ELj256ELj8E21rocsparse_complex_numIdEEEviiiPKT2_S5_S5_PS3_S5_PKi
	.p2align	8
	.type	_ZN9rocsparseL19gtsv_LBM_rhs_kernelILj256ELj256ELj8E21rocsparse_complex_numIdEEEviiiPKT2_S5_S5_PS3_S5_PKi,@function
_ZN9rocsparseL19gtsv_LBM_rhs_kernelILj256ELj256ELj8E21rocsparse_complex_numIdEEEviiiPKT2_S5_S5_PS3_S5_PKi: ; @_ZN9rocsparseL19gtsv_LBM_rhs_kernelILj256ELj256ELj8E21rocsparse_complex_numIdEEEviiiPKT2_S5_S5_PS3_S5_PKi
; %bb.0:
	s_load_dword s23, s[4:5], 0x0
	v_lshl_or_b32 v44, s6, 8, v0
	s_waitcnt lgkmcnt(0)
	s_lshr_b32 s22, s23, 8
	v_cmp_gt_i32_e32 vcc, s22, v44
	s_and_saveexec_b64 s[0:1], vcc
	s_cbranch_execz .LBB348_29
; %bb.1:
	s_load_dwordx4 s[8:11], s[4:5], 0x28
	s_load_dwordx2 s[16:17], s[4:5], 0x38
	s_cmp_lt_i32 s23, 1
	v_add_u32_e32 v103, s22, v44
	s_mul_i32 s24, s7, s23
	s_cbranch_scc1 .LBB348_21
; %bb.2:
	s_load_dwordx4 s[12:15], s[4:5], 0x10
	s_load_dwordx2 s[6:7], s[4:5], 0x20
	v_ashrrev_i32_e32 v45, 31, v44
	v_lshlrev_b64 v[0:1], 4, v[44:45]
	s_lshl_b32 s28, s24, 3
	s_waitcnt lgkmcnt(0)
	v_mov_b32_e32 v2, s15
	v_add_co_u32_e32 v0, vcc, s14, v0
	v_addc_co_u32_e32 v1, vcc, v2, v1, vcc
	global_load_dwordx4 v[0:3], v[0:1], off
	s_add_i32 s29, s28, s23
	s_add_i32 s30, s29, s23
	;; [unrolled: 1-line block ×6, first 2 shown]
	s_mul_i32 s25, s22, 0xff
	s_mul_i32 s26, s22, 0xfe
	s_lshl_b32 s27, s22, 1
	v_add_u32_e32 v104, s22, v103
	s_add_i32 s36, s35, s23
	v_mov_b32_e32 v46, 0
	s_mov_b64 s[18:19], 0
	v_mov_b32_e32 v106, s7
	v_mov_b32_e32 v105, 0
	s_branch .LBB348_5
.LBB348_3:                              ;   in Loop: Header=BB348_5 Depth=1
	s_or_b64 exec, exec, s[4:5]
	v_fma_f64 v[0:1], v[6:7], v[8:9], v[49:50]
	v_fma_f64 v[2:3], v[4:5], v[8:9], v[47:48]
	v_mul_f64 v[4:5], v[51:52], -v[0:1]
	v_mul_f64 v[6:7], v[51:52], v[2:3]
	v_fma_f64 v[2:3], v[2:3], v[10:11], v[4:5]
	v_fma_f64 v[4:5], v[0:1], v[10:11], v[6:7]
	v_mov_b32_e32 v10, s22
	v_add_f64 v[0:1], v[12:13], -v[2:3]
	v_add_f64 v[2:3], v[14:15], -v[4:5]
.LBB348_4:                              ;   in Loop: Header=BB348_5 Depth=1
	s_or_b64 exec, exec, s[2:3]
	v_add_u32_e32 v105, v10, v105
	v_cmp_le_i32_e32 vcc, s23, v105
	s_or_b64 s[18:19], vcc, s[18:19]
	s_andn2_b64 exec, exec, s[18:19]
	s_cbranch_execz .LBB348_20
.LBB348_5:                              ; =>This Inner Loop Header: Depth=1
	v_add_u32_e32 v24, v105, v44
	v_ashrrev_i32_e32 v25, 31, v24
	v_lshlrev_b64 v[4:5], 4, v[24:25]
	v_mov_b32_e32 v12, 0
	v_add_co_u32_e32 v4, vcc, s6, v4
	v_addc_co_u32_e32 v5, vcc, v106, v5, vcc
	global_load_dwordx4 v[8:11], v[4:5], off
	v_mov_b32_e32 v4, 0
	v_mov_b32_e32 v6, 0
	;; [unrolled: 1-line block ×5, first 2 shown]
	v_cmp_gt_u32_e64 s[0:1], s25, v105
	s_and_saveexec_b64 s[2:3], s[0:1]
	s_cbranch_execz .LBB348_7
; %bb.6:                                ;   in Loop: Header=BB348_5 Depth=1
	v_add_u32_e32 v4, v103, v105
	v_ashrrev_i32_e32 v5, 31, v4
	v_lshlrev_b64 v[4:5], 4, v[4:5]
	v_mov_b32_e32 v6, s13
	v_add_co_u32_e32 v4, vcc, s12, v4
	v_addc_co_u32_e32 v5, vcc, v6, v5, vcc
	global_load_dwordx4 v[4:7], v[4:5], off
.LBB348_7:                              ;   in Loop: Header=BB348_5 Depth=1
	s_or_b64 exec, exec, s[2:3]
	v_mov_b32_e32 v14, 0
	v_mov_b32_e32 v15, 0
	s_and_saveexec_b64 s[2:3], s[0:1]
	s_cbranch_execz .LBB348_9
; %bb.8:                                ;   in Loop: Header=BB348_5 Depth=1
	v_add_u32_e32 v12, v103, v105
	v_ashrrev_i32_e32 v13, 31, v12
	v_lshlrev_b64 v[12:13], 4, v[12:13]
	v_mov_b32_e32 v14, s15
	v_add_co_u32_e32 v12, vcc, s14, v12
	v_addc_co_u32_e32 v13, vcc, v14, v13, vcc
	global_load_dwordx4 v[12:15], v[12:13], off
.LBB348_9:                              ;   in Loop: Header=BB348_5 Depth=1
	s_or_b64 exec, exec, s[2:3]
	v_mov_b32_e32 v20, 0
	v_mov_b32_e32 v16, 0
	;; [unrolled: 1-line block ×6, first 2 shown]
	s_and_saveexec_b64 s[2:3], s[0:1]
	s_cbranch_execz .LBB348_11
; %bb.10:                               ;   in Loop: Header=BB348_5 Depth=1
	v_add_u32_e32 v16, v103, v105
	v_ashrrev_i32_e32 v17, 31, v16
	v_lshlrev_b64 v[16:17], 4, v[16:17]
	v_mov_b32_e32 v18, s7
	v_add_co_u32_e32 v16, vcc, s6, v16
	v_addc_co_u32_e32 v17, vcc, v18, v17, vcc
	global_load_dwordx4 v[16:19], v[16:17], off
.LBB348_11:                             ;   in Loop: Header=BB348_5 Depth=1
	s_or_b64 exec, exec, s[2:3]
	v_mov_b32_e32 v22, 0
	v_mov_b32_e32 v23, 0
	v_cmp_gt_u32_e64 s[2:3], s26, v105
	s_and_saveexec_b64 s[4:5], s[2:3]
	s_cbranch_execz .LBB348_13
; %bb.12:                               ;   in Loop: Header=BB348_5 Depth=1
	v_add_u32_e32 v20, v104, v105
	v_ashrrev_i32_e32 v21, 31, v20
	v_lshlrev_b64 v[20:21], 4, v[20:21]
	v_mov_b32_e32 v22, s13
	v_add_co_u32_e32 v20, vcc, s12, v20
	v_addc_co_u32_e32 v21, vcc, v22, v21, vcc
	global_load_dwordx4 v[20:23], v[20:21], off
.LBB348_13:                             ;   in Loop: Header=BB348_5 Depth=1
	s_or_b64 exec, exec, s[4:5]
	v_lshlrev_b64 v[25:26], 2, v[24:25]
	v_mov_b32_e32 v27, s17
	v_add_co_u32_e32 v25, vcc, s16, v25
	v_addc_co_u32_e32 v26, vcc, v27, v26, vcc
	global_load_dword v25, v[25:26], off
	s_waitcnt vmcnt(1)
	v_mul_f64 v[47:48], v[10:11], -v[6:7]
	v_mul_f64 v[49:50], v[10:11], v[4:5]
	v_cmp_ne_u32_e32 vcc, s25, v105
	v_add_u32_e32 v45, s28, v24
	v_add_u32_e32 v36, s29, v24
	;; [unrolled: 1-line block ×8, first 2 shown]
	s_waitcnt vmcnt(0)
	v_cmp_ne_u32_e64 s[4:5], 1, v25
	s_and_b64 s[4:5], vcc, s[4:5]
	s_and_saveexec_b64 s[20:21], s[4:5]
	s_xor_b64 s[20:21], exec, s[20:21]
	s_cbranch_execz .LBB348_17
; %bb.14:                               ;   in Loop: Header=BB348_5 Depth=1
	v_mul_f64 v[37:38], v[0:1], v[14:15]
	v_mul_f64 v[39:40], v[14:15], -v[2:3]
	v_fma_f64 v[41:42], v[6:7], v[8:9], v[49:50]
	v_fma_f64 v[47:48], v[4:5], v[8:9], v[47:48]
	v_mov_b32_e32 v53, s9
	v_mov_b32_e32 v35, v46
	;; [unrolled: 1-line block ×3, first 2 shown]
	v_add_u32_e32 v81, v103, v105
	v_fma_f64 v[37:38], v[2:3], v[12:13], v[37:38]
	v_fma_f64 v[49:50], v[0:1], v[12:13], v[39:40]
	v_lshlrev_b64 v[34:35], 4, v[34:35]
	v_mov_b32_e32 v33, v46
	v_mov_b32_e32 v62, s9
	v_lshlrev_b64 v[51:52], 4, v[32:33]
	v_mov_b32_e32 v64, s9
	v_mov_b32_e32 v31, v46
	v_add_f64 v[38:39], v[37:38], -v[41:42]
	v_add_f64 v[40:41], v[49:50], -v[47:48]
	v_lshlrev_b64 v[47:48], 4, v[45:46]
	v_mov_b32_e32 v37, v46
	v_add_co_u32_e32 v79, vcc, s8, v47
	v_lshlrev_b64 v[36:37], 4, v[36:37]
	v_addc_co_u32_e32 v80, vcc, v53, v48, vcc
	v_mul_f64 v[42:43], v[38:39], v[38:39]
	v_add_co_u32_e32 v139, vcc, s8, v36
	v_add_u32_e32 v45, s28, v81
	v_addc_co_u32_e32 v140, vcc, v61, v37, vcc
	v_lshlrev_b64 v[32:33], 4, v[45:46]
	v_add_co_u32_e32 v141, vcc, s8, v34
	v_fma_f64 v[42:43], v[40:41], v[40:41], v[42:43]
	v_addc_co_u32_e32 v142, vcc, v62, v35, vcc
	v_add_co_u32_e32 v85, vcc, s8, v32
	v_mov_b32_e32 v29, v46
	v_addc_co_u32_e32 v86, vcc, v64, v33, vcc
	v_div_scale_f64 v[55:56], s[4:5], v[42:43], v[42:43], 1.0
	v_lshlrev_b64 v[57:58], 4, v[30:31]
	v_lshlrev_b64 v[59:60], 4, v[28:29]
	global_load_dwordx4 v[28:31], v[79:80], off
	global_load_dwordx4 v[32:35], v[85:86], off
	v_add_u32_e32 v45, s29, v81
	v_lshlrev_b64 v[53:54], 4, v[45:46]
	v_mov_b32_e32 v63, s9
	v_mov_b32_e32 v71, s9
	v_add_co_u32_e32 v143, vcc, s8, v51
	v_add_co_u32_e64 v36, s[4:5], s8, v53
	v_addc_co_u32_e32 v144, vcc, v63, v52, vcc
	v_rcp_f64_e32 v[49:50], v[55:56]
	v_addc_co_u32_e64 v37, s[4:5], v71, v54, s[4:5]
	v_div_scale_f64 v[65:66], vcc, 1.0, v[42:43], 1.0
	global_load_dwordx4 v[51:54], v[36:37], off
	v_mov_b32_e32 v67, s9
	v_add_co_u32_e64 v145, s[4:5], s8, v57
	v_mov_b32_e32 v27, v46
	v_addc_co_u32_e64 v146, s[4:5], v67, v58, s[4:5]
	v_mov_b32_e32 v68, s9
	v_lshlrev_b64 v[26:27], 4, v[26:27]
	v_add_co_u32_e64 v147, s[4:5], s8, v59
	v_fma_f64 v[47:48], -v[55:56], v[49:50], 1.0
	v_mov_b32_e32 v25, v46
	v_addc_co_u32_e64 v148, s[4:5], v68, v60, s[4:5]
	v_mov_b32_e32 v69, s9
	v_lshlrev_b64 v[24:25], 4, v[24:25]
	v_add_co_u32_e64 v149, s[4:5], s8, v26
	v_fma_f64 v[61:62], v[49:50], v[47:48], v[49:50]
	global_load_dwordx4 v[47:50], v[139:140], off
	v_addc_co_u32_e64 v150, s[4:5], v69, v27, s[4:5]
	v_mov_b32_e32 v70, s9
	v_add_u32_e32 v45, s30, v81
	v_add_co_u32_e64 v151, s[4:5], s8, v24
	v_fma_f64 v[63:64], -v[55:56], v[61:62], 1.0
	v_addc_co_u32_e64 v152, s[4:5], v70, v25, s[4:5]
	v_lshlrev_b64 v[24:25], 4, v[45:46]
	v_mov_b32_e32 v72, s9
	v_add_co_u32_e64 v89, s[4:5], s8, v24
	v_addc_co_u32_e64 v90, s[4:5], v72, v25, s[4:5]
	v_fma_f64 v[63:64], v[61:62], v[63:64], v[61:62]
	global_load_dwordx4 v[59:62], v[141:142], off
	global_load_dwordx4 v[71:74], v[143:144], off
	v_add_u32_e32 v45, s31, v81
	v_mov_b32_e32 v82, s9
	v_mov_b32_e32 v83, s9
	;; [unrolled: 1-line block ×4, first 2 shown]
	v_mul_f64 v[57:58], v[65:66], v[63:64]
	v_mov_b32_e32 v88, s9
	v_fma_f64 v[26:27], -v[55:56], v[57:58], v[65:66]
	global_load_dwordx4 v[65:68], v[89:90], off
	global_load_dwordx4 v[75:78], v[145:146], off
	;; [unrolled: 1-line block ×5, first 2 shown]
	v_div_fmas_f64 v[24:25], v[26:27], v[63:64], v[57:58]
	v_lshlrev_b64 v[26:27], 4, v[45:46]
	v_add_u32_e32 v45, s33, v81
	v_add_co_u32_e32 v97, vcc, s8, v26
	v_addc_co_u32_e32 v98, vcc, v82, v27, vcc
	global_load_dwordx4 v[119:122], v[97:98], off
	v_lshlrev_b64 v[26:27], 4, v[45:46]
	v_fma_f64 v[57:58], v[40:41], 0, -v[38:39]
	v_add_co_u32_e32 v153, vcc, s8, v26
	v_addc_co_u32_e32 v154, vcc, v83, v27, vcc
	global_load_dwordx4 v[123:126], v[153:154], off
	v_fma_f64 v[26:27], v[38:39], 0, v[40:41]
	v_div_fixup_f64 v[42:43], v[24:25], v[42:43], 1.0
	v_add_u32_e32 v45, s34, v81
	v_lshlrev_b64 v[55:56], 4, v[45:46]
	v_add_u32_e32 v45, s35, v81
	v_add_co_u32_e32 v155, vcc, s8, v55
	v_addc_co_u32_e32 v156, vcc, v84, v56, vcc
	v_mul_f64 v[24:25], v[57:58], v[42:43]
	v_mul_f64 v[26:27], v[26:27], v[42:43]
	global_load_dwordx4 v[127:130], v[155:156], off
	v_lshlrev_b64 v[63:64], 4, v[45:46]
	v_add_u32_e32 v45, s36, v81
	v_lshlrev_b64 v[38:39], 4, v[45:46]
	v_add_co_u32_e32 v157, vcc, s8, v63
	s_waitcnt vmcnt(13)
	v_mul_f64 v[40:41], v[24:25], v[28:29]
	s_waitcnt vmcnt(12)
	v_mul_f64 v[42:43], v[24:25], v[32:33]
	v_mul_f64 v[55:56], v[24:25], -v[30:31]
	v_mul_f64 v[57:58], v[24:25], -v[34:35]
	v_addc_co_u32_e32 v158, vcc, v87, v64, vcc
	v_add_co_u32_e32 v159, vcc, s8, v38
	v_fma_f64 v[93:94], v[30:31], v[26:27], v[40:41]
	v_fma_f64 v[95:96], v[34:35], v[26:27], v[42:43]
	s_waitcnt vmcnt(10)
	v_mul_f64 v[30:31], v[24:25], v[47:48]
	v_mul_f64 v[34:35], v[24:25], v[51:52]
	v_addc_co_u32_e32 v160, vcc, v88, v39, vcc
	global_load_dwordx4 v[131:134], v[157:158], off
	v_fma_f64 v[101:102], v[28:29], v[26:27], v[55:56]
	v_fma_f64 v[99:100], v[32:33], v[26:27], v[57:58]
	v_mul_f64 v[28:29], v[93:94], -v[14:15]
	v_mul_f64 v[32:33], v[12:13], v[93:94]
	v_mul_f64 v[38:39], v[95:96], -v[10:11]
	v_mul_f64 v[40:41], v[8:9], v[95:96]
	v_mul_f64 v[42:43], v[24:25], -v[49:50]
	v_fma_f64 v[55:56], v[49:50], v[26:27], v[30:31]
	v_mul_f64 v[30:31], v[24:25], -v[53:54]
	v_fma_f64 v[57:58], v[53:54], v[26:27], v[34:35]
	v_fma_f64 v[28:29], v[12:13], v[101:102], v[28:29]
	;; [unrolled: 1-line block ×6, first 2 shown]
	v_mul_f64 v[40:41], v[55:56], -v[14:15]
	v_mul_f64 v[42:43], v[12:13], v[55:56]
	v_fma_f64 v[69:70], v[51:52], v[26:27], v[30:31]
	v_mul_f64 v[47:48], v[57:58], -v[10:11]
	v_mul_f64 v[49:50], v[8:9], v[57:58]
	v_add_f64 v[28:29], v[28:29], -v[34:35]
	v_add_f64 v[30:31], v[32:33], -v[38:39]
	s_waitcnt vmcnt(10)
	v_mul_f64 v[32:33], v[24:25], v[59:60]
	v_fma_f64 v[34:35], v[12:13], v[63:64], v[40:41]
	v_fma_f64 v[38:39], v[14:15], v[63:64], v[42:43]
	global_load_dwordx4 v[135:138], v[159:160], off
	s_waitcnt vmcnt(9)
	v_mul_f64 v[40:41], v[24:25], v[65:66]
	v_fma_f64 v[42:43], v[8:9], v[69:70], v[47:48]
	v_fma_f64 v[47:48], v[10:11], v[69:70], v[49:50]
	v_mul_f64 v[49:50], v[24:25], -v[61:62]
	v_fma_f64 v[83:84], v[61:62], v[26:27], v[32:33]
	v_mul_f64 v[32:33], v[24:25], -v[67:68]
	global_store_dwordx4 v[79:80], v[28:31], off
	v_mul_f64 v[53:54], v[24:25], -v[73:74]
	v_fma_f64 v[87:88], v[67:68], v[26:27], v[40:41]
	v_add_f64 v[28:29], v[34:35], -v[42:43]
	v_mul_f64 v[34:35], v[24:25], v[71:72]
	v_add_f64 v[30:31], v[38:39], -v[47:48]
	v_fma_f64 v[81:82], v[59:60], v[26:27], v[49:50]
	v_mul_f64 v[38:39], v[83:84], -v[14:15]
	v_fma_f64 v[91:92], v[65:66], v[26:27], v[32:33]
	s_waitcnt vmcnt(5)
	v_mul_f64 v[32:33], v[24:25], v[119:120]
	v_mul_f64 v[42:43], v[87:88], -v[10:11]
	v_mul_f64 v[49:50], v[12:13], v[83:84]
	v_mul_f64 v[51:52], v[8:9], v[87:88]
	v_fma_f64 v[40:41], v[73:74], v[26:27], v[34:35]
	v_mul_f64 v[59:60], v[24:25], -v[121:122]
	v_fma_f64 v[34:35], v[12:13], v[81:82], v[38:39]
	v_fma_f64 v[38:39], v[71:72], v[26:27], v[53:54]
	;; [unrolled: 1-line block ×6, first 2 shown]
	v_mul_f64 v[53:54], v[40:41], -v[14:15]
	v_mul_f64 v[61:62], v[12:13], v[40:41]
	v_fma_f64 v[42:43], v[119:120], v[26:27], v[59:60]
	v_mul_f64 v[65:66], v[24:25], v[75:76]
	v_mul_f64 v[59:60], v[47:48], -v[10:11]
	v_add_f64 v[32:33], v[34:35], -v[32:33]
	v_mul_f64 v[67:68], v[8:9], v[47:48]
	v_add_f64 v[34:35], v[49:50], -v[51:52]
	v_fma_f64 v[49:50], v[12:13], v[38:39], v[53:54]
	s_waitcnt vmcnt(4)
	v_mul_f64 v[53:54], v[24:25], v[123:124]
	v_fma_f64 v[51:52], v[14:15], v[38:39], v[61:62]
	v_mul_f64 v[61:62], v[24:25], -v[77:78]
	v_fma_f64 v[59:60], v[8:9], v[42:43], v[59:60]
	v_fma_f64 v[73:74], v[77:78], v[26:27], v[65:66]
	;; [unrolled: 1-line block ×3, first 2 shown]
	v_mul_f64 v[67:68], v[24:25], -v[125:126]
	global_store_dwordx4 v[139:140], v[28:31], off
	global_store_dwordx4 v[141:142], v[32:35], off
	v_fma_f64 v[77:78], v[125:126], v[26:27], v[53:54]
	v_mul_f64 v[34:35], v[24:25], v[107:108]
	v_fma_f64 v[71:72], v[75:76], v[26:27], v[61:62]
	v_add_f64 v[28:29], v[49:50], -v[59:60]
	v_mul_f64 v[32:33], v[73:74], -v[14:15]
	v_add_f64 v[30:31], v[51:52], -v[65:66]
	v_fma_f64 v[75:76], v[123:124], v[26:27], v[67:68]
	s_waitcnt vmcnt(5)
	v_mul_f64 v[49:50], v[24:25], v[127:128]
	v_mul_f64 v[51:52], v[77:78], -v[10:11]
	v_mul_f64 v[53:54], v[12:13], v[73:74]
	v_mul_f64 v[65:66], v[8:9], v[77:78]
	v_mul_f64 v[67:68], v[24:25], -v[109:110]
	v_fma_f64 v[32:33], v[12:13], v[71:72], v[32:33]
	v_mul_f64 v[79:80], v[24:25], -v[129:130]
	v_fma_f64 v[61:62], v[109:110], v[26:27], v[34:35]
	v_fma_f64 v[59:60], v[129:130], v[26:27], v[49:50]
	;; [unrolled: 1-line block ×5, first 2 shown]
	global_store_dwordx4 v[143:144], v[28:31], off
	v_fma_f64 v[67:68], v[107:108], v[26:27], v[67:68]
	v_fma_f64 v[65:66], v[127:128], v[26:27], v[79:80]
	v_mul_f64 v[53:54], v[61:62], -v[14:15]
	v_mul_f64 v[79:80], v[59:60], -v[10:11]
	v_add_f64 v[28:29], v[32:33], -v[34:35]
	v_mul_f64 v[32:33], v[12:13], v[61:62]
	v_add_f64 v[30:31], v[49:50], -v[51:52]
	v_mul_f64 v[34:35], v[24:25], v[111:112]
	s_waitcnt vmcnt(5)
	v_mul_f64 v[49:50], v[24:25], v[131:132]
	v_mul_f64 v[107:108], v[8:9], v[59:60]
	v_fma_f64 v[53:54], v[12:13], v[67:68], v[53:54]
	v_fma_f64 v[79:80], v[8:9], v[65:66], v[79:80]
	v_mul_f64 v[109:110], v[24:25], -v[113:114]
	v_fma_f64 v[32:33], v[14:15], v[67:68], v[32:33]
	v_mul_f64 v[119:120], v[24:25], -v[133:134]
	v_fma_f64 v[51:52], v[113:114], v[26:27], v[34:35]
	v_fma_f64 v[49:50], v[133:134], v[26:27], v[49:50]
	v_fma_f64 v[34:35], v[10:11], v[65:66], v[107:108]
	global_store_dwordx4 v[145:146], v[28:31], off
	v_add_f64 v[107:108], v[53:54], -v[79:80]
	v_fma_f64 v[53:54], v[111:112], v[26:27], v[109:110]
	v_mul_f64 v[28:29], v[24:25], v[115:116]
	v_fma_f64 v[79:80], v[131:132], v[26:27], v[119:120]
	v_mul_f64 v[30:31], v[51:52], -v[14:15]
	v_mul_f64 v[111:112], v[49:50], -v[10:11]
	v_add_f64 v[109:110], v[32:33], -v[34:35]
	s_waitcnt vmcnt(5)
	v_mul_f64 v[32:33], v[24:25], v[135:136]
	v_mul_f64 v[34:35], v[12:13], v[51:52]
	v_mul_f64 v[113:114], v[24:25], -v[117:118]
	v_fma_f64 v[28:29], v[117:118], v[26:27], v[28:29]
	v_mul_f64 v[117:118], v[8:9], v[49:50]
	v_fma_f64 v[119:120], v[12:13], v[53:54], v[30:31]
	v_fma_f64 v[111:112], v[8:9], v[79:80], v[111:112]
	v_mul_f64 v[121:122], v[24:25], -v[137:138]
	v_fma_f64 v[32:33], v[137:138], v[26:27], v[32:33]
	global_store_dwordx4 v[147:148], v[107:110], off
	v_fma_f64 v[30:31], v[115:116], v[26:27], v[113:114]
	v_mul_f64 v[109:110], v[28:29], -v[14:15]
	v_fma_f64 v[113:114], v[14:15], v[53:54], v[34:35]
	v_fma_f64 v[115:116], v[10:11], v[79:80], v[117:118]
	v_add_f64 v[107:108], v[119:120], -v[111:112]
	v_fma_f64 v[34:35], v[135:136], v[26:27], v[121:122]
	v_mul_f64 v[111:112], v[32:33], -v[10:11]
	v_mul_f64 v[117:118], v[12:13], v[28:29]
	v_mul_f64 v[119:120], v[8:9], v[32:33]
	v_fma_f64 v[12:13], v[12:13], v[30:31], v[109:110]
	v_mul_f64 v[121:122], v[6:7], v[93:94]
	v_mul_f64 v[123:124], v[93:94], -v[4:5]
	v_mul_f64 v[125:126], v[95:96], -v[2:3]
	v_mul_f64 v[127:128], v[0:1], v[95:96]
	v_fma_f64 v[8:9], v[8:9], v[34:35], v[111:112]
	v_fma_f64 v[14:15], v[14:15], v[30:31], v[117:118]
	;; [unrolled: 1-line block ×3, first 2 shown]
	v_add_f64 v[109:110], v[113:114], -v[115:116]
	v_fma_f64 v[111:112], -v[4:5], v[101:102], v[121:122]
	v_fma_f64 v[113:114], -v[6:7], v[101:102], v[123:124]
	v_fma_f64 v[115:116], v[0:1], v[99:100], v[125:126]
	v_fma_f64 v[117:118], v[2:3], v[99:100], v[127:128]
	v_add_f64 v[8:9], v[12:13], -v[8:9]
	v_mul_f64 v[119:120], v[6:7], v[55:56]
	v_mul_f64 v[121:122], v[55:56], -v[4:5]
	v_add_f64 v[10:11], v[14:15], -v[10:11]
	v_mul_f64 v[123:124], v[57:58], -v[2:3]
	v_mul_f64 v[125:126], v[0:1], v[57:58]
	global_store_dwordx4 v[149:150], v[107:110], off
	v_add_f64 v[12:13], v[111:112], v[115:116]
	v_add_f64 v[14:15], v[113:114], v[117:118]
	v_fma_f64 v[107:108], -v[4:5], v[63:64], v[119:120]
	v_fma_f64 v[109:110], -v[6:7], v[63:64], v[121:122]
	global_store_dwordx4 v[151:152], v[8:11], off
	v_mul_f64 v[115:116], v[87:88], -v[2:3]
	v_mul_f64 v[8:9], v[6:7], v[83:84]
	v_mul_f64 v[10:11], v[83:84], -v[4:5]
	v_mul_f64 v[117:118], v[0:1], v[87:88]
	v_mul_f64 v[119:120], v[6:7], v[40:41]
	v_mul_f64 v[121:122], v[47:48], -v[2:3]
	v_fma_f64 v[111:112], v[0:1], v[69:70], v[123:124]
	v_fma_f64 v[113:114], v[2:3], v[69:70], v[125:126]
	v_mul_f64 v[123:124], v[40:41], -v[4:5]
	v_mul_f64 v[125:126], v[0:1], v[47:48]
	v_fma_f64 v[127:128], -v[4:5], v[81:82], v[8:9]
	v_fma_f64 v[129:130], -v[6:7], v[81:82], v[10:11]
	v_fma_f64 v[115:116], v[0:1], v[91:92], v[115:116]
	v_fma_f64 v[117:118], v[2:3], v[91:92], v[117:118]
	v_fma_f64 v[119:120], -v[4:5], v[38:39], v[119:120]
	v_fma_f64 v[121:122], v[0:1], v[42:43], v[121:122]
	v_add_f64 v[8:9], v[107:108], v[111:112]
	v_add_f64 v[10:11], v[109:110], v[113:114]
	v_mul_f64 v[111:112], v[6:7], v[73:74]
	v_mul_f64 v[113:114], v[77:78], -v[2:3]
	global_store_dwordx4 v[85:86], v[12:15], off
	v_fma_f64 v[85:86], -v[6:7], v[38:39], v[123:124]
	v_fma_f64 v[109:110], v[2:3], v[42:43], v[125:126]
	v_add_f64 v[12:13], v[127:128], v[115:116]
	v_add_f64 v[14:15], v[129:130], v[117:118]
	;; [unrolled: 1-line block ×3, first 2 shown]
	v_mul_f64 v[115:116], v[73:74], -v[4:5]
	v_mul_f64 v[117:118], v[0:1], v[77:78]
	v_mul_f64 v[119:120], v[6:7], v[61:62]
	v_mul_f64 v[121:122], v[61:62], -v[4:5]
	v_mul_f64 v[123:124], v[59:60], -v[2:3]
	v_mul_f64 v[125:126], v[0:1], v[59:60]
	v_fma_f64 v[111:112], -v[4:5], v[71:72], v[111:112]
	v_fma_f64 v[113:114], v[0:1], v[75:76], v[113:114]
	v_add_f64 v[109:110], v[85:86], v[109:110]
	v_fma_f64 v[85:86], -v[6:7], v[71:72], v[115:116]
	v_fma_f64 v[115:116], v[2:3], v[75:76], v[117:118]
	v_fma_f64 v[117:118], -v[4:5], v[67:68], v[119:120]
	v_fma_f64 v[119:120], -v[6:7], v[67:68], v[121:122]
	v_fma_f64 v[121:122], v[0:1], v[65:66], v[123:124]
	v_fma_f64 v[123:124], v[2:3], v[65:66], v[125:126]
	v_mul_f64 v[125:126], v[51:52], -v[4:5]
	v_mul_f64 v[129:130], v[0:1], v[49:50]
	v_mul_f64 v[131:132], v[6:7], v[28:29]
	v_mul_f64 v[133:134], v[28:29], -v[4:5]
	v_mul_f64 v[135:136], v[32:33], -v[2:3]
	v_mul_f64 v[137:138], v[0:1], v[32:33]
	v_add_f64 v[111:112], v[111:112], v[113:114]
	v_mul_f64 v[113:114], v[6:7], v[51:52]
	v_mul_f64 v[127:128], v[49:50], -v[2:3]
	v_fma_f64 v[125:126], -v[6:7], v[53:54], v[125:126]
	v_fma_f64 v[129:130], v[2:3], v[79:80], v[129:130]
	v_fma_f64 v[131:132], -v[4:5], v[30:31], v[131:132]
	v_fma_f64 v[133:134], -v[6:7], v[30:31], v[133:134]
	v_fma_f64 v[135:136], v[0:1], v[34:35], v[135:136]
	v_fma_f64 v[137:138], v[2:3], v[34:35], v[137:138]
	v_fma_f64 v[139:140], -v[4:5], v[53:54], v[113:114]
	v_fma_f64 v[127:128], v[0:1], v[79:80], v[127:128]
	v_add_f64 v[113:114], v[85:86], v[115:116]
	v_add_f64 v[115:116], v[117:118], v[121:122]
	;; [unrolled: 1-line block ×6, first 2 shown]
	global_store_dwordx4 v[36:37], v[8:11], off
	v_add_f64 v[119:120], v[139:140], v[127:128]
	v_mov_b32_e32 v8, 0
	v_mov_b32_e32 v10, 0
	v_mov_b32_e32 v9, 0
	v_mov_b32_e32 v11, 0
	global_store_dwordx4 v[89:90], v[12:15], off
	global_store_dwordx4 v[97:98], v[107:110], off
	;; [unrolled: 1-line block ×6, first 2 shown]
	s_and_saveexec_b64 s[4:5], s[2:3]
	s_cbranch_execz .LBB348_16
; %bb.15:                               ;   in Loop: Header=BB348_5 Depth=1
	v_add_u32_e32 v12, v104, v105
	v_add_u32_e32 v45, s28, v12
	v_lshlrev_b64 v[8:9], 4, v[45:46]
	v_mov_b32_e32 v10, s9
	v_add_co_u32_e32 v13, vcc, s8, v8
	v_addc_co_u32_e32 v14, vcc, v10, v9, vcc
	global_load_dwordx4 v[8:11], v[13:14], off
	v_mul_f64 v[36:37], v[22:23], -v[4:5]
	v_mul_f64 v[85:86], v[6:7], v[22:23]
	v_mul_f64 v[89:90], v[0:1], v[22:23]
	v_mul_f64 v[97:98], v[22:23], -v[2:3]
	v_add_u32_e32 v45, s29, v12
	v_mov_b32_e32 v15, s9
	v_fma_f64 v[36:37], -v[6:7], v[20:21], v[36:37]
	v_fma_f64 v[85:86], -v[4:5], v[20:21], v[85:86]
	v_fma_f64 v[89:90], v[2:3], v[20:21], v[89:90]
	v_fma_f64 v[97:98], v[0:1], v[20:21], v[97:98]
	v_mul_f64 v[4:5], v[36:37], v[93:94]
	v_mul_f64 v[6:7], v[93:94], -v[85:86]
	v_mul_f64 v[93:94], v[95:96], -v[89:90]
	v_mul_f64 v[95:96], v[97:98], v[95:96]
	v_fma_f64 v[4:5], -v[85:86], v[101:102], v[4:5]
	v_fma_f64 v[6:7], -v[36:37], v[101:102], v[6:7]
	v_fma_f64 v[93:94], v[97:98], v[99:100], v[93:94]
	v_fma_f64 v[95:96], v[89:90], v[99:100], v[95:96]
	v_mul_f64 v[101:102], v[36:37], v[83:84]
	v_add_f64 v[93:94], v[4:5], -v[93:94]
	v_add_f64 v[95:96], v[6:7], -v[95:96]
	v_lshlrev_b64 v[4:5], 4, v[45:46]
	v_add_u32_e32 v45, s30, v12
	v_add_co_u32_e32 v99, vcc, s8, v4
	v_addc_co_u32_e32 v100, vcc, v15, v5, vcc
	global_load_dwordx4 v[4:7], v[99:100], off
	s_waitcnt vmcnt(1)
	v_add_f64 v[8:9], v[93:94], v[8:9]
	v_add_f64 v[10:11], v[95:96], v[10:11]
	v_lshlrev_b64 v[93:94], 4, v[45:46]
	v_mul_f64 v[95:96], v[57:58], -v[89:90]
	v_add_co_u32_e32 v93, vcc, s8, v93
	v_addc_co_u32_e32 v94, vcc, v15, v94, vcc
	v_mul_f64 v[57:58], v[97:98], v[57:58]
	global_store_dwordx4 v[13:14], v[8:11], off
	global_load_dwordx4 v[8:11], v[93:94], off
	v_mul_f64 v[13:14], v[36:37], v[55:56]
	v_mul_f64 v[55:56], v[55:56], -v[85:86]
	v_add_u32_e32 v45, s31, v12
	v_fma_f64 v[57:58], v[89:90], v[69:70], v[57:58]
	v_fma_f64 v[13:14], -v[85:86], v[63:64], v[13:14]
	v_fma_f64 v[55:56], -v[36:37], v[63:64], v[55:56]
	v_fma_f64 v[63:64], v[97:98], v[69:70], v[95:96]
	v_mul_f64 v[69:70], v[83:84], -v[85:86]
	v_mul_f64 v[83:84], v[87:88], -v[89:90]
	v_mul_f64 v[87:88], v[97:98], v[87:88]
	v_fma_f64 v[95:96], -v[85:86], v[81:82], v[101:102]
	v_add_f64 v[55:56], v[55:56], -v[57:58]
	v_add_f64 v[13:14], v[13:14], -v[63:64]
	v_fma_f64 v[57:58], -v[36:37], v[81:82], v[69:70]
	v_fma_f64 v[63:64], v[97:98], v[91:92], v[83:84]
	v_fma_f64 v[69:70], v[89:90], v[91:92], v[87:88]
	v_mul_f64 v[81:82], v[77:78], -v[89:90]
	v_mul_f64 v[77:78], v[97:98], v[77:78]
	v_add_f64 v[57:58], v[57:58], -v[69:70]
	v_mul_f64 v[69:70], v[36:37], v[73:74]
	v_mul_f64 v[73:74], v[73:74], -v[85:86]
	s_waitcnt vmcnt(2)
	v_add_f64 v[6:7], v[55:56], v[6:7]
	v_add_f64 v[55:56], v[95:96], -v[63:64]
	v_add_f64 v[4:5], v[13:14], v[4:5]
	v_lshlrev_b64 v[13:14], 4, v[45:46]
	v_add_u32_e32 v45, s33, v12
	v_add_co_u32_e32 v13, vcc, s8, v13
	v_addc_co_u32_e32 v14, vcc, v15, v14, vcc
	v_mul_f64 v[63:64], v[47:48], -v[89:90]
	global_store_dwordx4 v[99:100], v[4:7], off
	global_load_dwordx4 v[4:7], v[13:14], off
	v_mul_f64 v[47:48], v[97:98], v[47:48]
	s_waitcnt vmcnt(2)
	v_add_f64 v[8:9], v[55:56], v[8:9]
	v_add_f64 v[10:11], v[57:58], v[10:11]
	v_lshlrev_b64 v[55:56], 4, v[45:46]
	v_mul_f64 v[57:58], v[36:37], v[40:41]
	v_add_co_u32_e32 v55, vcc, s8, v55
	v_addc_co_u32_e32 v56, vcc, v15, v56, vcc
	v_mul_f64 v[40:41], v[40:41], -v[85:86]
	global_store_dwordx4 v[93:94], v[8:11], off
	global_load_dwordx4 v[8:11], v[55:56], off
	v_fma_f64 v[57:58], -v[85:86], v[38:39], v[57:58]
	v_add_u32_e32 v45, s34, v12
	v_fma_f64 v[38:39], -v[36:37], v[38:39], v[40:41]
	v_fma_f64 v[40:41], v[97:98], v[42:43], v[63:64]
	v_fma_f64 v[42:43], v[89:90], v[42:43], v[47:48]
	v_fma_f64 v[47:48], -v[85:86], v[71:72], v[69:70]
	v_fma_f64 v[63:64], -v[36:37], v[71:72], v[73:74]
	v_fma_f64 v[69:70], v[97:98], v[75:76], v[81:82]
	v_fma_f64 v[71:72], v[89:90], v[75:76], v[77:78]
	v_add_f64 v[40:41], v[57:58], -v[40:41]
	v_add_f64 v[38:39], v[38:39], -v[42:43]
	;; [unrolled: 1-line block ×4, first 2 shown]
	s_waitcnt vmcnt(2)
	v_add_f64 v[4:5], v[40:41], v[4:5]
	v_add_f64 v[6:7], v[38:39], v[6:7]
	v_lshlrev_b64 v[38:39], 4, v[45:46]
	v_mul_f64 v[40:41], v[97:98], v[59:60]
	v_add_co_u32_e32 v38, vcc, s8, v38
	v_addc_co_u32_e32 v39, vcc, v15, v39, vcc
	v_add_u32_e32 v45, s35, v12
	v_fma_f64 v[40:41], v[89:90], v[65:66], v[40:41]
	s_waitcnt vmcnt(0)
	v_add_f64 v[8:9], v[42:43], v[8:9]
	v_add_f64 v[10:11], v[47:48], v[10:11]
	global_store_dwordx4 v[13:14], v[4:7], off
	global_store_dwordx4 v[55:56], v[8:11], off
	global_load_dwordx4 v[4:7], v[38:39], off
	v_mul_f64 v[8:9], v[36:37], v[61:62]
	v_mul_f64 v[10:11], v[61:62], -v[85:86]
	v_mul_f64 v[13:14], v[59:60], -v[89:90]
	v_fma_f64 v[8:9], -v[85:86], v[67:68], v[8:9]
	v_fma_f64 v[10:11], -v[36:37], v[67:68], v[10:11]
	v_fma_f64 v[13:14], v[97:98], v[65:66], v[13:14]
	v_add_f64 v[10:11], v[10:11], -v[40:41]
	v_add_f64 v[8:9], v[8:9], -v[13:14]
	v_mul_f64 v[13:14], v[51:52], -v[85:86]
	v_mul_f64 v[40:41], v[97:98], v[49:50]
	v_fma_f64 v[13:14], -v[36:37], v[53:54], v[13:14]
	v_fma_f64 v[40:41], v[89:90], v[79:80], v[40:41]
	v_add_f64 v[14:15], v[13:14], -v[40:41]
	v_ashrrev_i32_e32 v13, 31, v12
	s_waitcnt vmcnt(0)
	v_add_f64 v[4:5], v[8:9], v[4:5]
	v_add_f64 v[6:7], v[10:11], v[6:7]
	v_lshlrev_b64 v[8:9], 4, v[45:46]
	v_mov_b32_e32 v10, s9
	v_add_co_u32_e32 v8, vcc, s8, v8
	v_addc_co_u32_e32 v9, vcc, v10, v9, vcc
	v_mul_f64 v[10:11], v[36:37], v[51:52]
	global_store_dwordx4 v[38:39], v[4:7], off
	global_load_dwordx4 v[4:7], v[8:9], off
	v_mul_f64 v[38:39], v[49:50], -v[89:90]
	v_add_u32_e32 v45, s36, v12
	v_fma_f64 v[10:11], -v[85:86], v[53:54], v[10:11]
	v_fma_f64 v[38:39], v[97:98], v[79:80], v[38:39]
	v_add_f64 v[10:11], v[10:11], -v[38:39]
	v_mov_b32_e32 v38, s9
	v_mov_b32_e32 v39, s15
	s_waitcnt vmcnt(0)
	v_add_f64 v[4:5], v[10:11], v[4:5]
	v_add_f64 v[6:7], v[14:15], v[6:7]
	v_lshlrev_b64 v[10:11], 4, v[12:13]
	v_lshlrev_b64 v[12:13], 4, v[45:46]
	v_add_co_u32_e32 v14, vcc, s8, v12
	v_addc_co_u32_e32 v15, vcc, v38, v13, vcc
	global_store_dwordx4 v[8:9], v[4:7], off
	v_add_co_u32_e32 v8, vcc, s14, v10
	v_addc_co_u32_e32 v9, vcc, v39, v11, vcc
	global_load_dwordx4 v[4:7], v[14:15], off
	global_load_dwordx4 v[10:13], v[8:9], off
	v_mul_f64 v[8:9], v[2:3], -v[22:23]
	v_mul_f64 v[2:3], v[2:3], v[20:21]
	v_fma_f64 v[8:9], v[20:21], v[0:1], v[8:9]
	v_fma_f64 v[0:1], v[22:23], v[0:1], v[2:3]
	v_mul_f64 v[20:21], v[36:37], v[28:29]
	v_mul_f64 v[22:23], v[28:29], -v[85:86]
	v_mul_f64 v[28:29], v[32:33], -v[89:90]
	v_mul_f64 v[32:33], v[97:98], v[32:33]
	v_mul_f64 v[2:3], v[18:19], v[8:9]
	v_mul_f64 v[18:19], v[18:19], -v[0:1]
	v_fma_f64 v[0:1], v[0:1], v[16:17], v[2:3]
	v_fma_f64 v[2:3], v[8:9], v[16:17], v[18:19]
	v_fma_f64 v[8:9], -v[85:86], v[30:31], v[20:21]
	v_fma_f64 v[16:17], -v[36:37], v[30:31], v[22:23]
	v_fma_f64 v[18:19], v[97:98], v[34:35], v[28:29]
	v_fma_f64 v[20:21], v[89:90], v[34:35], v[32:33]
	v_mul_f64 v[22:23], v[24:25], -v[0:1]
	v_mul_f64 v[24:25], v[24:25], v[2:3]
	v_add_f64 v[8:9], v[8:9], -v[18:19]
	v_add_f64 v[16:17], v[16:17], -v[20:21]
	v_fma_f64 v[18:19], v[2:3], v[26:27], v[22:23]
	v_fma_f64 v[20:21], v[0:1], v[26:27], v[24:25]
	s_waitcnt vmcnt(1)
	v_add_f64 v[0:1], v[8:9], v[4:5]
	v_add_f64 v[2:3], v[16:17], v[6:7]
	s_waitcnt vmcnt(0)
	v_add_f64 v[10:11], v[10:11], -v[18:19]
	v_add_f64 v[8:9], v[12:13], -v[20:21]
	global_store_dwordx4 v[14:15], v[0:3], off
.LBB348_16:                             ;   in Loop: Header=BB348_5 Depth=1
	s_or_b64 exec, exec, s[4:5]
	v_mov_b32_e32 v2, v8
	v_mov_b32_e32 v0, v10
	;; [unrolled: 1-line block ×4, first 2 shown]
                                        ; implicit-def: $vgpr4_vgpr5
                                        ; implicit-def: $vgpr12_vgpr13
                                        ; implicit-def: $vgpr8_vgpr9
                                        ; implicit-def: $vgpr47_vgpr48
                                        ; implicit-def: $vgpr49_vgpr50
                                        ; implicit-def: $vgpr36
                                        ; implicit-def: $vgpr34
                                        ; implicit-def: $vgpr32
                                        ; implicit-def: $vgpr30
                                        ; implicit-def: $vgpr28
                                        ; implicit-def: $vgpr26
                                        ; implicit-def: $vgpr24
.LBB348_17:                             ;   in Loop: Header=BB348_5 Depth=1
	s_or_saveexec_b64 s[2:3], s[20:21]
	v_mov_b32_e32 v10, s27
	s_xor_b64 exec, exec, s[2:3]
	s_cbranch_execz .LBB348_4
; %bb.18:                               ;   in Loop: Header=BB348_5 Depth=1
	v_mul_f64 v[10:11], v[2:3], v[2:3]
	v_lshlrev_b64 v[16:17], 4, v[45:46]
	v_mov_b32_e32 v35, v46
	v_mov_b32_e32 v37, v46
	v_lshlrev_b64 v[20:21], 4, v[34:35]
	v_mov_b32_e32 v25, s9
	v_lshlrev_b64 v[18:19], 4, v[36:37]
	v_add_co_u32_e32 v73, vcc, s8, v16
	v_fma_f64 v[10:11], v[0:1], v[0:1], v[10:11]
	v_addc_co_u32_e32 v74, vcc, v25, v17, vcc
	v_mov_b32_e32 v40, s9
	v_add_co_u32_e32 v75, vcc, s8, v18
	v_mov_b32_e32 v33, v46
	v_addc_co_u32_e32 v76, vcc, v40, v19, vcc
	v_div_scale_f64 v[38:39], s[4:5], v[10:11], v[10:11], 1.0
	v_mov_b32_e32 v41, s9
	v_lshlrev_b64 v[22:23], 4, v[32:33]
	v_add_co_u32_e32 v77, vcc, s8, v20
	v_mov_b32_e32 v31, v46
	v_addc_co_u32_e32 v78, vcc, v41, v21, vcc
	v_mov_b32_e32 v42, s9
	v_lshlrev_b64 v[30:31], 4, v[30:31]
	v_add_co_u32_e32 v79, vcc, s8, v22
	v_mov_b32_e32 v29, v46
	v_addc_co_u32_e32 v80, vcc, v42, v23, vcc
	v_rcp_f64_e32 v[34:35], v[38:39]
	v_mov_b32_e32 v43, s9
	v_lshlrev_b64 v[28:29], 4, v[28:29]
	v_add_co_u32_e32 v81, vcc, s8, v30
	v_mov_b32_e32 v27, v46
	v_addc_co_u32_e32 v82, vcc, v43, v31, vcc
	v_mov_b32_e32 v45, s9
	v_lshlrev_b64 v[32:33], 4, v[26:27]
	v_add_co_u32_e32 v83, vcc, s8, v28
	v_addc_co_u32_e32 v84, vcc, v45, v29, vcc
	v_mov_b32_e32 v25, v46
	v_mov_b32_e32 v51, s9
	v_add_co_u32_e32 v85, vcc, s8, v32
	v_lshlrev_b64 v[24:25], 4, v[24:25]
	v_addc_co_u32_e32 v86, vcc, v51, v33, vcc
	v_mov_b32_e32 v32, s9
	v_add_co_u32_e32 v87, vcc, s8, v24
	v_fma_f64 v[30:31], -v[38:39], v[34:35], 1.0
	global_load_dwordx4 v[16:19], v[73:74], off
	global_load_dwordx4 v[20:23], v[75:76], off
	;; [unrolled: 1-line block ×6, first 2 shown]
	v_addc_co_u32_e32 v88, vcc, v32, v25, vcc
	global_load_dwordx4 v[65:68], v[85:86], off
	global_load_dwordx4 v[69:72], v[87:88], off
	v_div_scale_f64 v[24:25], vcc, 1.0, v[10:11], 1.0
	v_fma_f64 v[30:31], v[34:35], v[30:31], v[34:35]
	v_fma_f64 v[32:33], -v[38:39], v[30:31], 1.0
	v_fma_f64 v[30:31], v[30:31], v[32:33], v[30:31]
	v_mul_f64 v[32:33], v[24:25], v[30:31]
	v_fma_f64 v[24:25], -v[38:39], v[32:33], v[24:25]
	v_div_fmas_f64 v[24:25], v[24:25], v[30:31], v[32:33]
	v_fma_f64 v[30:31], v[0:1], 0, -v[2:3]
	v_fma_f64 v[0:1], v[2:3], 0, v[0:1]
	v_div_fixup_f64 v[10:11], v[24:25], v[10:11], 1.0
	v_mul_f64 v[51:52], v[30:31], v[10:11]
	v_mul_f64 v[10:11], v[0:1], v[10:11]
	s_waitcnt vmcnt(7)
	v_mul_f64 v[0:1], v[51:52], -v[18:19]
	v_mul_f64 v[2:3], v[51:52], v[16:17]
	s_waitcnt vmcnt(6)
	v_mul_f64 v[24:25], v[51:52], -v[22:23]
	;; [unrolled: 3-line block ×8, first 2 shown]
	v_mul_f64 v[111:112], v[51:52], v[69:70]
	v_fma_f64 v[40:41], v[16:17], v[10:11], v[0:1]
	v_fma_f64 v[42:43], v[18:19], v[10:11], v[2:3]
	v_fma_f64 v[36:37], v[20:21], v[10:11], v[24:25]
	v_fma_f64 v[38:39], v[22:23], v[10:11], v[30:31]
	v_fma_f64 v[32:33], v[26:27], v[10:11], v[32:33]
	v_fma_f64 v[34:35], v[28:29], v[10:11], v[34:35]
	v_fma_f64 v[28:29], v[53:54], v[10:11], v[89:90]
	v_fma_f64 v[30:31], v[55:56], v[10:11], v[91:92]
	v_fma_f64 v[24:25], v[57:58], v[10:11], v[93:94]
	v_fma_f64 v[26:27], v[59:60], v[10:11], v[95:96]
	v_fma_f64 v[20:21], v[61:62], v[10:11], v[97:98]
	v_fma_f64 v[22:23], v[63:64], v[10:11], v[99:100]
	v_fma_f64 v[16:17], v[65:66], v[10:11], v[101:102]
	v_fma_f64 v[18:19], v[67:68], v[10:11], v[107:108]
	v_fma_f64 v[0:1], v[69:70], v[10:11], v[109:110]
	v_fma_f64 v[2:3], v[71:72], v[10:11], v[111:112]
	global_store_dwordx4 v[73:74], v[40:43], off
	global_store_dwordx4 v[75:76], v[36:39], off
	;; [unrolled: 1-line block ×8, first 2 shown]
	s_and_saveexec_b64 s[4:5], s[0:1]
	s_cbranch_execz .LBB348_3
; %bb.19:                               ;   in Loop: Header=BB348_5 Depth=1
	v_add_u32_e32 v65, v103, v105
	v_add_u32_e32 v45, s28, v65
	v_lshlrev_b64 v[53:54], 4, v[45:46]
	v_mov_b32_e32 v45, s9
	v_add_co_u32_e32 v61, vcc, s8, v53
	v_addc_co_u32_e32 v62, vcc, v45, v54, vcc
	global_load_dwordx4 v[53:56], v[61:62], off
	v_add_u32_e32 v45, s29, v65
	v_lshlrev_b64 v[57:58], 4, v[45:46]
	v_add_u32_e32 v45, s30, v65
	v_mov_b32_e32 v59, s9
	v_add_co_u32_e32 v63, vcc, s8, v57
	v_addc_co_u32_e32 v64, vcc, v59, v58, vcc
	global_load_dwordx4 v[57:60], v[63:64], off
	s_waitcnt vmcnt(1)
	v_fma_f64 v[53:54], -v[4:5], v[40:41], v[53:54]
	v_fma_f64 v[55:56], -v[6:7], v[40:41], v[55:56]
	v_fma_f64 v[40:41], v[6:7], v[42:43], v[53:54]
	v_fma_f64 v[42:43], -v[4:5], v[42:43], v[55:56]
	v_lshlrev_b64 v[53:54], 4, v[45:46]
	v_mov_b32_e32 v55, s9
	v_add_co_u32_e32 v53, vcc, s8, v53
	v_addc_co_u32_e32 v54, vcc, v55, v54, vcc
	v_add_u32_e32 v45, s31, v65
	global_store_dwordx4 v[61:62], v[40:43], off
	global_load_dwordx4 v[40:43], v[53:54], off
	s_waitcnt vmcnt(2)
	v_fma_f64 v[55:56], -v[4:5], v[36:37], v[57:58]
	v_fma_f64 v[57:58], -v[6:7], v[36:37], v[59:60]
	v_fma_f64 v[36:37], v[6:7], v[38:39], v[55:56]
	v_fma_f64 v[38:39], -v[4:5], v[38:39], v[57:58]
	v_lshlrev_b64 v[55:56], 4, v[45:46]
	v_add_u32_e32 v45, s33, v65
	v_mov_b32_e32 v57, s9
	v_add_co_u32_e32 v55, vcc, s8, v55
	v_addc_co_u32_e32 v56, vcc, v57, v56, vcc
	global_store_dwordx4 v[63:64], v[36:39], off
	global_load_dwordx4 v[36:39], v[55:56], off
	s_waitcnt vmcnt(2)
	v_fma_f64 v[40:41], -v[4:5], v[32:33], v[40:41]
	v_fma_f64 v[42:43], -v[6:7], v[32:33], v[42:43]
	v_fma_f64 v[32:33], v[6:7], v[34:35], v[40:41]
	v_fma_f64 v[34:35], -v[4:5], v[34:35], v[42:43]
	v_lshlrev_b64 v[40:41], 4, v[45:46]
	v_mov_b32_e32 v42, s9
	v_add_co_u32_e32 v40, vcc, s8, v40
	v_addc_co_u32_e32 v41, vcc, v42, v41, vcc
	v_add_u32_e32 v45, s34, v65
	global_store_dwordx4 v[53:54], v[32:35], off
	global_load_dwordx4 v[32:35], v[40:41], off
	s_waitcnt vmcnt(2)
	v_fma_f64 v[36:37], -v[4:5], v[28:29], v[36:37]
	v_fma_f64 v[38:39], -v[6:7], v[28:29], v[38:39]
	v_fma_f64 v[28:29], v[6:7], v[30:31], v[36:37]
	v_fma_f64 v[30:31], -v[4:5], v[30:31], v[38:39]
	s_waitcnt vmcnt(0)
	v_fma_f64 v[32:33], -v[4:5], v[24:25], v[32:33]
	v_fma_f64 v[34:35], -v[6:7], v[24:25], v[34:35]
	v_fma_f64 v[24:25], v[6:7], v[26:27], v[32:33]
	v_fma_f64 v[26:27], -v[4:5], v[26:27], v[34:35]
	v_lshlrev_b64 v[32:33], 4, v[45:46]
	global_store_dwordx4 v[55:56], v[28:31], off
	global_store_dwordx4 v[40:41], v[24:27], off
	v_add_co_u32_e32 v32, vcc, s8, v32
	v_addc_co_u32_e32 v33, vcc, v42, v33, vcc
	global_load_dwordx4 v[24:27], v[32:33], off
	v_add_u32_e32 v45, s35, v65
	s_waitcnt vmcnt(0)
	v_fma_f64 v[24:25], -v[4:5], v[20:21], v[24:25]
	v_fma_f64 v[26:27], -v[6:7], v[20:21], v[26:27]
	v_fma_f64 v[20:21], v[6:7], v[22:23], v[24:25]
	v_fma_f64 v[22:23], -v[4:5], v[22:23], v[26:27]
	v_lshlrev_b64 v[24:25], 4, v[45:46]
	v_mov_b32_e32 v26, s9
	v_add_co_u32_e32 v24, vcc, s8, v24
	v_addc_co_u32_e32 v25, vcc, v26, v25, vcc
	v_add_u32_e32 v45, s36, v65
	global_store_dwordx4 v[32:33], v[20:23], off
	global_load_dwordx4 v[20:23], v[24:25], off
	s_waitcnt vmcnt(0)
	v_fma_f64 v[20:21], -v[4:5], v[16:17], v[20:21]
	v_fma_f64 v[22:23], -v[6:7], v[16:17], v[22:23]
	v_fma_f64 v[16:17], v[6:7], v[18:19], v[20:21]
	v_fma_f64 v[18:19], -v[4:5], v[18:19], v[22:23]
	v_lshlrev_b64 v[20:21], 4, v[45:46]
	v_mov_b32_e32 v22, s9
	v_add_co_u32_e32 v20, vcc, s8, v20
	v_addc_co_u32_e32 v21, vcc, v22, v21, vcc
	global_store_dwordx4 v[24:25], v[16:19], off
	global_load_dwordx4 v[16:19], v[20:21], off
	s_waitcnt vmcnt(0)
	v_fma_f64 v[16:17], -v[4:5], v[0:1], v[16:17]
	v_fma_f64 v[18:19], -v[6:7], v[0:1], v[18:19]
	v_fma_f64 v[0:1], v[6:7], v[2:3], v[16:17]
	v_fma_f64 v[2:3], -v[4:5], v[2:3], v[18:19]
	global_store_dwordx4 v[20:21], v[0:3], off
	s_branch .LBB348_3
.LBB348_20:
	s_or_b64 exec, exec, s[18:19]
	s_branch .LBB348_22
.LBB348_21:
	v_mov_b32_e32 v105, 0
.LBB348_22:
	v_subrev_u32_e32 v2, s22, v105
	v_add_u32_e32 v0, v2, v44
	v_ashrrev_i32_e32 v1, 31, v0
	v_lshlrev_b64 v[0:1], 2, v[0:1]
	s_waitcnt lgkmcnt(0)
	v_mov_b32_e32 v3, s17
	v_add_co_u32_e32 v0, vcc, s16, v0
	v_addc_co_u32_e32 v1, vcc, v3, v1, vcc
	s_waitcnt vmcnt(0)
	buffer_wbinvl1_vol
	global_load_dword v0, v[0:1], off
	s_waitcnt vmcnt(0)
	v_mul_lo_u32 v0, v0, s22
	v_sub_u32_e32 v8, v2, v0
	v_cmp_lt_i32_e32 vcc, -1, v8
	s_and_b64 exec, exec, vcc
	s_cbranch_execz .LBB348_29
; %bb.23:
	s_lshl_b32 s4, s24, 3
	s_add_i32 s5, s4, s23
	s_add_i32 s6, s5, s23
	;; [unrolled: 1-line block ×7, first 2 shown]
	s_lshl_b32 s18, s22, 1
	s_mov_b64 s[0:1], 0
	v_mov_b32_e32 v9, s17
	v_mov_b32_e32 v10, s11
	;; [unrolled: 1-line block ×3, first 2 shown]
	s_branch .LBB348_25
.LBB348_24:                             ;   in Loop: Header=BB348_25 Depth=1
	s_or_b64 exec, exec, s[2:3]
	v_sub_u32_e32 v8, v8, v4
	v_cmp_gt_i32_e32 vcc, 0, v8
	s_or_b64 s[0:1], vcc, s[0:1]
	s_andn2_b64 exec, exec, s[0:1]
	s_cbranch_execz .LBB348_29
.LBB348_25:                             ; =>This Inner Loop Header: Depth=1
	v_add_u32_e32 v6, v8, v44
	v_ashrrev_i32_e32 v7, 31, v6
	s_waitcnt vmcnt(0)
	v_lshlrev_b64 v[0:1], 2, v[6:7]
	v_add_co_u32_e32 v0, vcc, s16, v0
	v_addc_co_u32_e32 v1, vcc, v9, v1, vcc
	global_load_dword v4, v[0:1], off
	v_lshlrev_b64 v[0:1], 4, v[6:7]
	v_add_co_u32_e32 v0, vcc, s10, v0
	v_addc_co_u32_e32 v1, vcc, v10, v1, vcc
	global_load_dwordx4 v[0:3], v[0:1], off
	s_waitcnt vmcnt(1)
	v_cmp_ne_u32_e32 vcc, 1, v4
	s_and_saveexec_b64 s[2:3], vcc
	s_xor_b64 s[2:3], exec, s[2:3]
	s_cbranch_execz .LBB348_27
; %bb.26:                               ;   in Loop: Header=BB348_25 Depth=1
	v_add_u32_e32 v7, v103, v8
	v_add_u32_e32 v4, s4, v7
	v_lshlrev_b64 v[11:12], 4, v[4:5]
	v_mov_b32_e32 v4, s9
	v_add_co_u32_e32 v11, vcc, s8, v11
	v_addc_co_u32_e32 v12, vcc, v4, v12, vcc
	v_add_u32_e32 v4, s5, v7
	v_lshlrev_b64 v[19:20], 4, v[4:5]
	v_add_u32_e32 v4, s6, v7
	v_lshlrev_b64 v[23:24], 4, v[4:5]
	;; [unrolled: 2-line block ×8, first 2 shown]
	v_mov_b32_e32 v4, s9
	v_add_co_u32_e32 v49, vcc, s8, v15
	v_addc_co_u32_e32 v50, vcc, v4, v16, vcc
	global_load_dwordx4 v[11:14], v[11:12], off
	v_add_co_u32_e32 v19, vcc, s8, v19
	global_load_dwordx4 v[15:18], v[49:50], off
	v_addc_co_u32_e32 v20, vcc, v4, v20, vcc
	global_load_dwordx4 v[19:22], v[19:20], off
	v_mov_b32_e32 v7, s9
	v_add_co_u32_e32 v35, vcc, s8, v23
	v_addc_co_u32_e32 v36, vcc, v7, v24, vcc
	v_mov_b32_e32 v27, s9
	v_add_co_u32_e32 v37, vcc, s8, v25
	v_addc_co_u32_e32 v38, vcc, v27, v26, vcc
	;; [unrolled: 3-line block ×5, first 2 shown]
	v_add_u32_e32 v4, s5, v6
	v_mov_b32_e32 v54, s9
	v_add_co_u32_e32 v53, vcc, s8, v41
	v_lshlrev_b64 v[55:56], 4, v[4:5]
	v_addc_co_u32_e32 v54, vcc, v54, v42, vcc
	v_mov_b32_e32 v57, s9
	global_load_dwordx4 v[23:26], v[35:36], off
	global_load_dwordx4 v[27:30], v[37:38], off
	;; [unrolled: 1-line block ×3, first 2 shown]
	s_nop 0
	global_load_dwordx4 v[35:38], v[47:48], off
	global_load_dwordx4 v[39:42], v[51:52], off
	s_nop 0
	global_load_dwordx4 v[45:48], v[53:54], off
	v_add_co_u32_e32 v51, vcc, s8, v55
	v_addc_co_u32_e32 v52, vcc, v57, v56, vcc
	v_add_u32_e32 v4, s6, v6
	s_waitcnt vmcnt(7)
	v_fma_f64 v[15:16], -v[0:1], v[11:12], v[15:16]
	v_fma_f64 v[17:18], -v[2:3], v[11:12], v[17:18]
	v_fma_f64 v[15:16], v[2:3], v[13:14], v[15:16]
	v_fma_f64 v[17:18], -v[0:1], v[13:14], v[17:18]
	global_store_dwordx4 v[49:50], v[15:18], off
	global_load_dwordx4 v[15:18], v[51:52], off
	v_lshlrev_b64 v[49:50], 4, v[4:5]
	v_add_u32_e32 v4, s7, v6
	v_add_co_u32_e32 v49, vcc, s8, v49
	v_addc_co_u32_e32 v50, vcc, v7, v50, vcc
	s_waitcnt vmcnt(0)
	v_fma_f64 v[15:16], -v[0:1], v[19:20], v[15:16]
	v_fma_f64 v[17:18], -v[2:3], v[19:20], v[17:18]
	v_fma_f64 v[15:16], v[2:3], v[21:22], v[15:16]
	v_fma_f64 v[17:18], -v[0:1], v[21:22], v[17:18]
	global_store_dwordx4 v[51:52], v[15:18], off
	global_load_dwordx4 v[15:18], v[49:50], off
	v_lshlrev_b64 v[51:52], 4, v[4:5]
	v_add_u32_e32 v4, s12, v6
	v_add_co_u32_e32 v51, vcc, s8, v51
	v_addc_co_u32_e32 v52, vcc, v7, v52, vcc
	;; [unrolled: 11-line block ×5, first 2 shown]
	v_lshlrev_b64 v[6:7], 4, v[4:5]
	v_subrev_u32_e32 v4, s22, v8
	v_add_co_u32_e32 v6, vcc, s8, v6
	v_addc_co_u32_e32 v7, vcc, v43, v7, vcc
	v_mov_b32_e32 v43, s11
	s_waitcnt vmcnt(0)
	v_fma_f64 v[15:16], -v[0:1], v[35:36], v[15:16]
	v_fma_f64 v[17:18], -v[2:3], v[35:36], v[17:18]
	v_fma_f64 v[15:16], v[2:3], v[37:38], v[15:16]
	v_fma_f64 v[17:18], -v[0:1], v[37:38], v[17:18]
	global_store_dwordx4 v[51:52], v[15:18], off
	global_load_dwordx4 v[15:18], v[49:50], off
	v_mov_b32_e32 v52, s9
	s_waitcnt vmcnt(0)
	v_fma_f64 v[15:16], -v[0:1], v[39:40], v[15:16]
	v_fma_f64 v[17:18], -v[2:3], v[39:40], v[17:18]
	v_fma_f64 v[15:16], v[2:3], v[41:42], v[15:16]
	v_fma_f64 v[17:18], -v[0:1], v[41:42], v[17:18]
	global_store_dwordx4 v[49:50], v[15:18], off
	global_load_dwordx4 v[15:18], v[6:7], off
	v_add_u32_e32 v49, v4, v44
	v_ashrrev_i32_e32 v50, 31, v49
	v_lshlrev_b64 v[50:51], 4, v[49:50]
	v_add_u32_e32 v4, s4, v49
	v_add_co_u32_e32 v50, vcc, s10, v50
	v_addc_co_u32_e32 v51, vcc, v43, v51, vcc
	s_waitcnt vmcnt(0)
	v_fma_f64 v[15:16], -v[0:1], v[45:46], v[15:16]
	v_fma_f64 v[17:18], -v[2:3], v[45:46], v[17:18]
	v_fma_f64 v[15:16], v[2:3], v[47:48], v[15:16]
	v_fma_f64 v[17:18], -v[0:1], v[47:48], v[17:18]
	global_load_dwordx4 v[0:3], v[50:51], off
	v_lshlrev_b64 v[50:51], 4, v[4:5]
	v_add_u32_e32 v4, s5, v49
	v_add_co_u32_e32 v50, vcc, s8, v50
	v_addc_co_u32_e32 v51, vcc, v52, v51, vcc
	global_store_dwordx4 v[6:7], v[15:18], off
	global_load_dwordx4 v[15:18], v[50:51], off
	s_waitcnt vmcnt(0)
	v_fma_f64 v[6:7], -v[0:1], v[11:12], v[15:16]
	v_fma_f64 v[15:16], -v[2:3], v[11:12], v[17:18]
	v_mov_b32_e32 v17, s9
	v_fma_f64 v[11:12], v[2:3], v[13:14], v[6:7]
	v_fma_f64 v[13:14], -v[0:1], v[13:14], v[15:16]
	v_lshlrev_b64 v[6:7], 4, v[4:5]
	v_mov_b32_e32 v15, s9
	v_add_co_u32_e32 v6, vcc, s8, v6
	v_addc_co_u32_e32 v7, vcc, v15, v7, vcc
	v_add_u32_e32 v4, s6, v49
	global_store_dwordx4 v[50:51], v[11:14], off
	global_load_dwordx4 v[11:14], v[6:7], off
	v_lshlrev_b64 v[15:16], 4, v[4:5]
	v_add_u32_e32 v4, s7, v49
	v_add_co_u32_e32 v15, vcc, s8, v15
	v_addc_co_u32_e32 v16, vcc, v17, v16, vcc
	s_waitcnt vmcnt(0)
	v_fma_f64 v[11:12], -v[0:1], v[19:20], v[11:12]
	v_fma_f64 v[13:14], -v[2:3], v[19:20], v[13:14]
	v_fma_f64 v[11:12], v[2:3], v[21:22], v[11:12]
	v_fma_f64 v[13:14], -v[0:1], v[21:22], v[13:14]
	global_store_dwordx4 v[6:7], v[11:14], off
	global_load_dwordx4 v[11:14], v[15:16], off
	s_waitcnt vmcnt(0)
	v_fma_f64 v[6:7], -v[0:1], v[23:24], v[11:12]
	v_fma_f64 v[13:14], -v[2:3], v[23:24], v[13:14]
	v_fma_f64 v[11:12], v[2:3], v[25:26], v[6:7]
	v_fma_f64 v[13:14], -v[0:1], v[25:26], v[13:14]
	v_lshlrev_b64 v[6:7], 4, v[4:5]
	v_add_u32_e32 v4, s12, v49
	v_add_co_u32_e32 v6, vcc, s8, v6
	v_addc_co_u32_e32 v7, vcc, v17, v7, vcc
	global_store_dwordx4 v[15:16], v[11:14], off
	global_load_dwordx4 v[11:14], v[6:7], off
	v_lshlrev_b64 v[15:16], 4, v[4:5]
	v_add_u32_e32 v4, s13, v49
	v_add_co_u32_e32 v15, vcc, s8, v15
	v_addc_co_u32_e32 v16, vcc, v17, v16, vcc
	s_waitcnt vmcnt(0)
	v_fma_f64 v[11:12], -v[0:1], v[27:28], v[11:12]
	v_fma_f64 v[13:14], -v[2:3], v[27:28], v[13:14]
	v_fma_f64 v[11:12], v[2:3], v[29:30], v[11:12]
	v_fma_f64 v[13:14], -v[0:1], v[29:30], v[13:14]
	global_store_dwordx4 v[6:7], v[11:14], off
	global_load_dwordx4 v[11:14], v[15:16], off
	s_waitcnt vmcnt(0)
	v_fma_f64 v[6:7], -v[0:1], v[31:32], v[11:12]
	v_fma_f64 v[13:14], -v[2:3], v[31:32], v[13:14]
	v_fma_f64 v[11:12], v[2:3], v[33:34], v[6:7]
	v_fma_f64 v[13:14], -v[0:1], v[33:34], v[13:14]
	v_lshlrev_b64 v[6:7], 4, v[4:5]
	v_add_u32_e32 v4, s14, v49
	v_add_co_u32_e32 v6, vcc, s8, v6
	v_addc_co_u32_e32 v7, vcc, v17, v7, vcc
	global_store_dwordx4 v[15:16], v[11:14], off
	global_load_dwordx4 v[11:14], v[6:7], off
	v_lshlrev_b64 v[15:16], 4, v[4:5]
	v_add_u32_e32 v4, s15, v49
	v_add_co_u32_e32 v15, vcc, s8, v15
	v_addc_co_u32_e32 v16, vcc, v17, v16, vcc
	s_waitcnt vmcnt(0)
	v_fma_f64 v[11:12], -v[0:1], v[35:36], v[11:12]
	v_fma_f64 v[13:14], -v[2:3], v[35:36], v[13:14]
	v_fma_f64 v[11:12], v[2:3], v[37:38], v[11:12]
	v_fma_f64 v[13:14], -v[0:1], v[37:38], v[13:14]
	global_store_dwordx4 v[6:7], v[11:14], off
	global_load_dwordx4 v[11:14], v[15:16], off
	s_waitcnt vmcnt(0)
	v_fma_f64 v[6:7], -v[0:1], v[39:40], v[11:12]
	v_fma_f64 v[13:14], -v[2:3], v[39:40], v[13:14]
	v_fma_f64 v[11:12], v[2:3], v[41:42], v[6:7]
	v_fma_f64 v[13:14], -v[0:1], v[41:42], v[13:14]
	v_lshlrev_b64 v[6:7], 4, v[4:5]
	v_add_co_u32_e32 v6, vcc, s8, v6
	v_addc_co_u32_e32 v7, vcc, v17, v7, vcc
	global_store_dwordx4 v[15:16], v[11:14], off
	global_load_dwordx4 v[11:14], v[6:7], off
	s_waitcnt vmcnt(0)
	v_fma_f64 v[11:12], -v[0:1], v[45:46], v[11:12]
	v_fma_f64 v[13:14], -v[2:3], v[45:46], v[13:14]
	v_fma_f64 v[11:12], v[2:3], v[47:48], v[11:12]
	v_fma_f64 v[13:14], -v[0:1], v[47:48], v[13:14]
                                        ; implicit-def: $vgpr0_vgpr1
	global_store_dwordx4 v[6:7], v[11:14], off
                                        ; implicit-def: $vgpr6
.LBB348_27:                             ;   in Loop: Header=BB348_25 Depth=1
	s_or_saveexec_b64 s[2:3], s[2:3]
	v_mov_b32_e32 v4, s18
	s_xor_b64 exec, exec, s[2:3]
	s_cbranch_execz .LBB348_24
; %bb.28:                               ;   in Loop: Header=BB348_25 Depth=1
	v_add_u32_e32 v7, v103, v8
	v_add_u32_e32 v4, s4, v7
	v_lshlrev_b64 v[11:12], 4, v[4:5]
	v_mov_b32_e32 v4, s9
	v_add_co_u32_e32 v19, vcc, s8, v11
	v_addc_co_u32_e32 v20, vcc, v4, v12, vcc
	v_add_u32_e32 v4, s4, v6
	v_lshlrev_b64 v[11:12], 4, v[4:5]
	v_mov_b32_e32 v4, s9
	v_add_co_u32_e32 v21, vcc, s8, v11
	v_addc_co_u32_e32 v22, vcc, v4, v12, vcc
	global_load_dwordx4 v[11:14], v[19:20], off
	global_load_dwordx4 v[15:18], v[21:22], off
	v_add_u32_e32 v4, s5, v7
	v_lshlrev_b64 v[19:20], 4, v[4:5]
	v_add_u32_e32 v4, s5, v6
	v_mov_b32_e32 v25, s9
	v_lshlrev_b64 v[23:24], 4, v[4:5]
	v_add_co_u32_e32 v19, vcc, s8, v19
	v_addc_co_u32_e32 v20, vcc, v25, v20, vcc
	v_mov_b32_e32 v26, s9
	v_add_co_u32_e32 v23, vcc, s8, v23
	v_addc_co_u32_e32 v24, vcc, v26, v24, vcc
	v_add_u32_e32 v4, s6, v7
	s_waitcnt vmcnt(0)
	v_fma_f64 v[15:16], -v[0:1], v[11:12], v[15:16]
	v_fma_f64 v[17:18], -v[2:3], v[11:12], v[17:18]
	v_fma_f64 v[11:12], v[2:3], v[13:14], v[15:16]
	v_fma_f64 v[13:14], -v[0:1], v[13:14], v[17:18]
	global_store_dwordx4 v[21:22], v[11:14], off
	global_load_dwordx4 v[11:14], v[19:20], off
	s_nop 0
	global_load_dwordx4 v[15:18], v[23:24], off
	v_lshlrev_b64 v[19:20], 4, v[4:5]
	v_add_u32_e32 v4, s6, v6
	v_lshlrev_b64 v[21:22], 4, v[4:5]
	v_add_co_u32_e32 v19, vcc, s8, v19
	v_addc_co_u32_e32 v20, vcc, v25, v20, vcc
	v_add_co_u32_e32 v21, vcc, s8, v21
	v_addc_co_u32_e32 v22, vcc, v26, v22, vcc
	v_add_u32_e32 v4, s7, v7
	s_waitcnt vmcnt(0)
	v_fma_f64 v[15:16], -v[0:1], v[11:12], v[15:16]
	v_fma_f64 v[17:18], -v[2:3], v[11:12], v[17:18]
	v_fma_f64 v[11:12], v[2:3], v[13:14], v[15:16]
	v_fma_f64 v[13:14], -v[0:1], v[13:14], v[17:18]
	global_store_dwordx4 v[23:24], v[11:14], off
	global_load_dwordx4 v[11:14], v[19:20], off
	s_nop 0
	global_load_dwordx4 v[15:18], v[21:22], off
	v_lshlrev_b64 v[19:20], 4, v[4:5]
	v_add_u32_e32 v4, s7, v6
	v_lshlrev_b64 v[23:24], 4, v[4:5]
	v_add_co_u32_e32 v19, vcc, s8, v19
	v_addc_co_u32_e32 v20, vcc, v25, v20, vcc
	v_add_co_u32_e32 v23, vcc, s8, v23
	v_addc_co_u32_e32 v24, vcc, v26, v24, vcc
	v_add_u32_e32 v4, s12, v7
	s_waitcnt vmcnt(0)
	v_fma_f64 v[15:16], -v[0:1], v[11:12], v[15:16]
	v_fma_f64 v[17:18], -v[2:3], v[11:12], v[17:18]
	v_fma_f64 v[11:12], v[2:3], v[13:14], v[15:16]
	v_fma_f64 v[13:14], -v[0:1], v[13:14], v[17:18]
	global_store_dwordx4 v[21:22], v[11:14], off
	global_load_dwordx4 v[11:14], v[19:20], off
	s_nop 0
	global_load_dwordx4 v[15:18], v[23:24], off
	v_lshlrev_b64 v[19:20], 4, v[4:5]
	v_add_u32_e32 v4, s12, v6
	v_lshlrev_b64 v[21:22], 4, v[4:5]
	v_add_co_u32_e32 v19, vcc, s8, v19
	v_addc_co_u32_e32 v20, vcc, v25, v20, vcc
	v_add_co_u32_e32 v21, vcc, s8, v21
	v_addc_co_u32_e32 v22, vcc, v26, v22, vcc
	v_add_u32_e32 v4, s13, v7
	s_waitcnt vmcnt(0)
	v_fma_f64 v[15:16], -v[0:1], v[11:12], v[15:16]
	v_fma_f64 v[17:18], -v[2:3], v[11:12], v[17:18]
	v_fma_f64 v[11:12], v[2:3], v[13:14], v[15:16]
	v_fma_f64 v[13:14], -v[0:1], v[13:14], v[17:18]
	global_store_dwordx4 v[23:24], v[11:14], off
	global_load_dwordx4 v[11:14], v[19:20], off
	s_nop 0
	global_load_dwordx4 v[15:18], v[21:22], off
	v_lshlrev_b64 v[19:20], 4, v[4:5]
	v_add_u32_e32 v4, s13, v6
	v_lshlrev_b64 v[23:24], 4, v[4:5]
	v_add_co_u32_e32 v19, vcc, s8, v19
	v_addc_co_u32_e32 v20, vcc, v25, v20, vcc
	v_add_co_u32_e32 v23, vcc, s8, v23
	v_addc_co_u32_e32 v24, vcc, v26, v24, vcc
	v_add_u32_e32 v4, s14, v7
	s_waitcnt vmcnt(0)
	v_fma_f64 v[15:16], -v[0:1], v[11:12], v[15:16]
	v_fma_f64 v[17:18], -v[2:3], v[11:12], v[17:18]
	v_fma_f64 v[11:12], v[2:3], v[13:14], v[15:16]
	v_fma_f64 v[13:14], -v[0:1], v[13:14], v[17:18]
	global_store_dwordx4 v[21:22], v[11:14], off
	global_load_dwordx4 v[11:14], v[19:20], off
	s_nop 0
	global_load_dwordx4 v[15:18], v[23:24], off
	v_lshlrev_b64 v[19:20], 4, v[4:5]
	v_add_u32_e32 v4, s14, v6
	v_lshlrev_b64 v[21:22], 4, v[4:5]
	v_add_co_u32_e32 v19, vcc, s8, v19
	v_addc_co_u32_e32 v20, vcc, v25, v20, vcc
	v_add_co_u32_e32 v21, vcc, s8, v21
	v_addc_co_u32_e32 v22, vcc, v26, v22, vcc
	v_add_u32_e32 v4, s15, v7
	s_waitcnt vmcnt(0)
	v_fma_f64 v[15:16], -v[0:1], v[11:12], v[15:16]
	v_fma_f64 v[17:18], -v[2:3], v[11:12], v[17:18]
	v_fma_f64 v[11:12], v[2:3], v[13:14], v[15:16]
	v_fma_f64 v[13:14], -v[0:1], v[13:14], v[17:18]
	global_store_dwordx4 v[23:24], v[11:14], off
	global_load_dwordx4 v[11:14], v[19:20], off
	s_nop 0
	global_load_dwordx4 v[15:18], v[21:22], off
	v_lshlrev_b64 v[19:20], 4, v[4:5]
	v_add_u32_e32 v4, s15, v6
	v_mov_b32_e32 v23, s9
	v_lshlrev_b64 v[6:7], 4, v[4:5]
	v_add_co_u32_e32 v19, vcc, s8, v19
	v_addc_co_u32_e32 v20, vcc, v23, v20, vcc
	v_mov_b32_e32 v24, s9
	v_add_co_u32_e32 v6, vcc, s8, v6
	v_addc_co_u32_e32 v7, vcc, v24, v7, vcc
	v_mov_b32_e32 v4, s22
	s_waitcnt vmcnt(0)
	v_fma_f64 v[15:16], -v[0:1], v[11:12], v[15:16]
	v_fma_f64 v[17:18], -v[2:3], v[11:12], v[17:18]
	v_fma_f64 v[11:12], v[2:3], v[13:14], v[15:16]
	v_fma_f64 v[13:14], -v[0:1], v[13:14], v[17:18]
	global_store_dwordx4 v[21:22], v[11:14], off
	global_load_dwordx4 v[11:14], v[19:20], off
	s_nop 0
	global_load_dwordx4 v[15:18], v[6:7], off
	s_waitcnt vmcnt(0)
	v_fma_f64 v[15:16], -v[0:1], v[11:12], v[15:16]
	v_fma_f64 v[17:18], -v[2:3], v[11:12], v[17:18]
	v_fma_f64 v[11:12], v[2:3], v[13:14], v[15:16]
	v_fma_f64 v[13:14], -v[0:1], v[13:14], v[17:18]
	global_store_dwordx4 v[6:7], v[11:14], off
	s_branch .LBB348_24
.LBB348_29:
	s_endpgm
	.section	.rodata,"a",@progbits
	.p2align	6, 0x0
	.amdhsa_kernel _ZN9rocsparseL19gtsv_LBM_rhs_kernelILj256ELj256ELj8E21rocsparse_complex_numIdEEEviiiPKT2_S5_S5_PS3_S5_PKi
		.amdhsa_group_segment_fixed_size 0
		.amdhsa_private_segment_fixed_size 0
		.amdhsa_kernarg_size 64
		.amdhsa_user_sgpr_count 6
		.amdhsa_user_sgpr_private_segment_buffer 1
		.amdhsa_user_sgpr_dispatch_ptr 0
		.amdhsa_user_sgpr_queue_ptr 0
		.amdhsa_user_sgpr_kernarg_segment_ptr 1
		.amdhsa_user_sgpr_dispatch_id 0
		.amdhsa_user_sgpr_flat_scratch_init 0
		.amdhsa_user_sgpr_private_segment_size 0
		.amdhsa_uses_dynamic_stack 0
		.amdhsa_system_sgpr_private_segment_wavefront_offset 0
		.amdhsa_system_sgpr_workgroup_id_x 1
		.amdhsa_system_sgpr_workgroup_id_y 1
		.amdhsa_system_sgpr_workgroup_id_z 0
		.amdhsa_system_sgpr_workgroup_info 0
		.amdhsa_system_vgpr_workitem_id 0
		.amdhsa_next_free_vgpr 161
		.amdhsa_next_free_sgpr 37
		.amdhsa_reserve_vcc 1
		.amdhsa_reserve_flat_scratch 0
		.amdhsa_float_round_mode_32 0
		.amdhsa_float_round_mode_16_64 0
		.amdhsa_float_denorm_mode_32 3
		.amdhsa_float_denorm_mode_16_64 3
		.amdhsa_dx10_clamp 1
		.amdhsa_ieee_mode 1
		.amdhsa_fp16_overflow 0
		.amdhsa_exception_fp_ieee_invalid_op 0
		.amdhsa_exception_fp_denorm_src 0
		.amdhsa_exception_fp_ieee_div_zero 0
		.amdhsa_exception_fp_ieee_overflow 0
		.amdhsa_exception_fp_ieee_underflow 0
		.amdhsa_exception_fp_ieee_inexact 0
		.amdhsa_exception_int_div_zero 0
	.end_amdhsa_kernel
	.section	.text._ZN9rocsparseL19gtsv_LBM_rhs_kernelILj256ELj256ELj8E21rocsparse_complex_numIdEEEviiiPKT2_S5_S5_PS3_S5_PKi,"axG",@progbits,_ZN9rocsparseL19gtsv_LBM_rhs_kernelILj256ELj256ELj8E21rocsparse_complex_numIdEEEviiiPKT2_S5_S5_PS3_S5_PKi,comdat
.Lfunc_end348:
	.size	_ZN9rocsparseL19gtsv_LBM_rhs_kernelILj256ELj256ELj8E21rocsparse_complex_numIdEEEviiiPKT2_S5_S5_PS3_S5_PKi, .Lfunc_end348-_ZN9rocsparseL19gtsv_LBM_rhs_kernelILj256ELj256ELj8E21rocsparse_complex_numIdEEEviiiPKT2_S5_S5_PS3_S5_PKi
                                        ; -- End function
	.set _ZN9rocsparseL19gtsv_LBM_rhs_kernelILj256ELj256ELj8E21rocsparse_complex_numIdEEEviiiPKT2_S5_S5_PS3_S5_PKi.num_vgpr, 161
	.set _ZN9rocsparseL19gtsv_LBM_rhs_kernelILj256ELj256ELj8E21rocsparse_complex_numIdEEEviiiPKT2_S5_S5_PS3_S5_PKi.num_agpr, 0
	.set _ZN9rocsparseL19gtsv_LBM_rhs_kernelILj256ELj256ELj8E21rocsparse_complex_numIdEEEviiiPKT2_S5_S5_PS3_S5_PKi.numbered_sgpr, 37
	.set _ZN9rocsparseL19gtsv_LBM_rhs_kernelILj256ELj256ELj8E21rocsparse_complex_numIdEEEviiiPKT2_S5_S5_PS3_S5_PKi.num_named_barrier, 0
	.set _ZN9rocsparseL19gtsv_LBM_rhs_kernelILj256ELj256ELj8E21rocsparse_complex_numIdEEEviiiPKT2_S5_S5_PS3_S5_PKi.private_seg_size, 0
	.set _ZN9rocsparseL19gtsv_LBM_rhs_kernelILj256ELj256ELj8E21rocsparse_complex_numIdEEEviiiPKT2_S5_S5_PS3_S5_PKi.uses_vcc, 1
	.set _ZN9rocsparseL19gtsv_LBM_rhs_kernelILj256ELj256ELj8E21rocsparse_complex_numIdEEEviiiPKT2_S5_S5_PS3_S5_PKi.uses_flat_scratch, 0
	.set _ZN9rocsparseL19gtsv_LBM_rhs_kernelILj256ELj256ELj8E21rocsparse_complex_numIdEEEviiiPKT2_S5_S5_PS3_S5_PKi.has_dyn_sized_stack, 0
	.set _ZN9rocsparseL19gtsv_LBM_rhs_kernelILj256ELj256ELj8E21rocsparse_complex_numIdEEEviiiPKT2_S5_S5_PS3_S5_PKi.has_recursion, 0
	.set _ZN9rocsparseL19gtsv_LBM_rhs_kernelILj256ELj256ELj8E21rocsparse_complex_numIdEEEviiiPKT2_S5_S5_PS3_S5_PKi.has_indirect_call, 0
	.section	.AMDGPU.csdata,"",@progbits
; Kernel info:
; codeLenInByte = 8776
; TotalNumSgprs: 41
; NumVgprs: 161
; ScratchSize: 0
; MemoryBound: 1
; FloatMode: 240
; IeeeMode: 1
; LDSByteSize: 0 bytes/workgroup (compile time only)
; SGPRBlocks: 5
; VGPRBlocks: 40
; NumSGPRsForWavesPerEU: 41
; NumVGPRsForWavesPerEU: 161
; Occupancy: 1
; WaveLimiterHint : 0
; COMPUTE_PGM_RSRC2:SCRATCH_EN: 0
; COMPUTE_PGM_RSRC2:USER_SGPR: 6
; COMPUTE_PGM_RSRC2:TRAP_HANDLER: 0
; COMPUTE_PGM_RSRC2:TGID_X_EN: 1
; COMPUTE_PGM_RSRC2:TGID_Y_EN: 1
; COMPUTE_PGM_RSRC2:TGID_Z_EN: 0
; COMPUTE_PGM_RSRC2:TIDIG_COMP_CNT: 0
	.section	.text._ZN9rocsparseL19gtsv_LBM_rhs_kernelILj256ELj256ELj4E21rocsparse_complex_numIdEEEviiiPKT2_S5_S5_PS3_S5_PKi,"axG",@progbits,_ZN9rocsparseL19gtsv_LBM_rhs_kernelILj256ELj256ELj4E21rocsparse_complex_numIdEEEviiiPKT2_S5_S5_PS3_S5_PKi,comdat
	.globl	_ZN9rocsparseL19gtsv_LBM_rhs_kernelILj256ELj256ELj4E21rocsparse_complex_numIdEEEviiiPKT2_S5_S5_PS3_S5_PKi ; -- Begin function _ZN9rocsparseL19gtsv_LBM_rhs_kernelILj256ELj256ELj4E21rocsparse_complex_numIdEEEviiiPKT2_S5_S5_PS3_S5_PKi
	.p2align	8
	.type	_ZN9rocsparseL19gtsv_LBM_rhs_kernelILj256ELj256ELj4E21rocsparse_complex_numIdEEEviiiPKT2_S5_S5_PS3_S5_PKi,@function
_ZN9rocsparseL19gtsv_LBM_rhs_kernelILj256ELj256ELj4E21rocsparse_complex_numIdEEEviiiPKT2_S5_S5_PS3_S5_PKi: ; @_ZN9rocsparseL19gtsv_LBM_rhs_kernelILj256ELj256ELj4E21rocsparse_complex_numIdEEEviiiPKT2_S5_S5_PS3_S5_PKi
; %bb.0:
	s_load_dword s23, s[4:5], 0x0
	v_lshl_or_b32 v28, s6, 8, v0
	s_waitcnt lgkmcnt(0)
	s_lshr_b32 s22, s23, 8
	v_cmp_gt_i32_e32 vcc, s22, v28
	s_and_saveexec_b64 s[0:1], vcc
	s_cbranch_execz .LBB349_29
; %bb.1:
	s_load_dwordx4 s[8:11], s[4:5], 0x28
	s_load_dwordx2 s[16:17], s[4:5], 0x38
	s_cmp_lt_i32 s23, 1
	v_add_u32_e32 v65, s22, v28
	s_mul_i32 s24, s7, s23
	s_cbranch_scc1 .LBB349_21
; %bb.2:
	s_load_dwordx4 s[12:15], s[4:5], 0x10
	s_load_dwordx2 s[6:7], s[4:5], 0x20
	v_ashrrev_i32_e32 v29, 31, v28
	v_lshlrev_b64 v[0:1], 4, v[28:29]
	s_lshl_b32 s28, s24, 2
	s_waitcnt lgkmcnt(0)
	v_mov_b32_e32 v2, s15
	v_add_co_u32_e32 v0, vcc, s14, v0
	v_addc_co_u32_e32 v1, vcc, v2, v1, vcc
	global_load_dwordx4 v[0:3], v[0:1], off
	s_add_i32 s29, s28, s23
	s_add_i32 s30, s29, s23
	s_mul_i32 s25, s22, 0xff
	s_mul_i32 s26, s22, 0xfe
	s_lshl_b32 s27, s22, 1
	v_add_u32_e32 v67, s22, v65
	s_add_i32 s31, s30, s23
	v_mov_b32_e32 v30, 0
	s_mov_b64 s[18:19], 0
	v_mov_b32_e32 v68, s7
	v_mov_b32_e32 v66, 0
	s_branch .LBB349_5
.LBB349_3:                              ;   in Loop: Header=BB349_5 Depth=1
	s_or_b64 exec, exec, s[4:5]
	v_fma_f64 v[0:1], v[6:7], v[8:9], v[33:34]
	v_fma_f64 v[2:3], v[4:5], v[8:9], v[31:32]
	v_mov_b32_e32 v10, s22
	v_mul_f64 v[4:5], v[35:36], -v[0:1]
	v_mul_f64 v[6:7], v[35:36], v[2:3]
	v_fma_f64 v[2:3], v[2:3], v[14:15], v[4:5]
	v_fma_f64 v[4:5], v[0:1], v[14:15], v[6:7]
	v_add_f64 v[0:1], v[16:17], -v[2:3]
	v_add_f64 v[2:3], v[18:19], -v[4:5]
.LBB349_4:                              ;   in Loop: Header=BB349_5 Depth=1
	s_or_b64 exec, exec, s[2:3]
	v_add_u32_e32 v66, v10, v66
	v_cmp_le_i32_e32 vcc, s23, v66
	s_or_b64 s[18:19], vcc, s[18:19]
	s_andn2_b64 exec, exec, s[18:19]
	s_cbranch_execz .LBB349_20
.LBB349_5:                              ; =>This Inner Loop Header: Depth=1
	v_add_u32_e32 v25, v66, v28
	v_ashrrev_i32_e32 v26, 31, v25
	v_lshlrev_b64 v[4:5], 4, v[25:26]
	v_mov_b32_e32 v16, 0
	v_add_co_u32_e32 v4, vcc, s6, v4
	v_addc_co_u32_e32 v5, vcc, v68, v5, vcc
	global_load_dwordx4 v[8:11], v[4:5], off
	v_mov_b32_e32 v4, 0
	v_mov_b32_e32 v6, 0
	;; [unrolled: 1-line block ×5, first 2 shown]
	v_cmp_gt_u32_e64 s[0:1], s25, v66
	s_and_saveexec_b64 s[2:3], s[0:1]
	s_cbranch_execz .LBB349_7
; %bb.6:                                ;   in Loop: Header=BB349_5 Depth=1
	v_add_u32_e32 v4, v65, v66
	v_ashrrev_i32_e32 v5, 31, v4
	v_lshlrev_b64 v[4:5], 4, v[4:5]
	v_mov_b32_e32 v6, s13
	v_add_co_u32_e32 v4, vcc, s12, v4
	v_addc_co_u32_e32 v5, vcc, v6, v5, vcc
	global_load_dwordx4 v[4:7], v[4:5], off
.LBB349_7:                              ;   in Loop: Header=BB349_5 Depth=1
	s_or_b64 exec, exec, s[2:3]
	v_mov_b32_e32 v18, 0
	v_mov_b32_e32 v19, 0
	s_and_saveexec_b64 s[2:3], s[0:1]
	s_cbranch_execz .LBB349_9
; %bb.8:                                ;   in Loop: Header=BB349_5 Depth=1
	v_add_u32_e32 v12, v65, v66
	v_ashrrev_i32_e32 v13, 31, v12
	v_lshlrev_b64 v[12:13], 4, v[12:13]
	v_mov_b32_e32 v14, s15
	v_add_co_u32_e32 v12, vcc, s14, v12
	v_addc_co_u32_e32 v13, vcc, v14, v13, vcc
	global_load_dwordx4 v[16:19], v[12:13], off
.LBB349_9:                              ;   in Loop: Header=BB349_5 Depth=1
	s_or_b64 exec, exec, s[2:3]
	v_mov_b32_e32 v20, 0
	v_mov_b32_e32 v12, 0
	;; [unrolled: 1-line block ×6, first 2 shown]
	s_and_saveexec_b64 s[2:3], s[0:1]
	s_cbranch_execz .LBB349_11
; %bb.10:                               ;   in Loop: Header=BB349_5 Depth=1
	v_add_u32_e32 v12, v65, v66
	v_ashrrev_i32_e32 v13, 31, v12
	v_lshlrev_b64 v[12:13], 4, v[12:13]
	v_mov_b32_e32 v14, s7
	v_add_co_u32_e32 v12, vcc, s6, v12
	v_addc_co_u32_e32 v13, vcc, v14, v13, vcc
	global_load_dwordx4 v[12:15], v[12:13], off
.LBB349_11:                             ;   in Loop: Header=BB349_5 Depth=1
	s_or_b64 exec, exec, s[2:3]
	v_mov_b32_e32 v22, 0
	v_mov_b32_e32 v23, 0
	v_cmp_gt_u32_e64 s[2:3], s26, v66
	s_and_saveexec_b64 s[4:5], s[2:3]
	s_cbranch_execz .LBB349_13
; %bb.12:                               ;   in Loop: Header=BB349_5 Depth=1
	v_add_u32_e32 v20, v67, v66
	v_ashrrev_i32_e32 v21, 31, v20
	v_lshlrev_b64 v[20:21], 4, v[20:21]
	v_mov_b32_e32 v22, s13
	v_add_co_u32_e32 v20, vcc, s12, v20
	v_addc_co_u32_e32 v21, vcc, v22, v21, vcc
	global_load_dwordx4 v[20:23], v[20:21], off
.LBB349_13:                             ;   in Loop: Header=BB349_5 Depth=1
	s_or_b64 exec, exec, s[4:5]
	v_lshlrev_b64 v[26:27], 2, v[25:26]
	v_mov_b32_e32 v24, s17
	v_add_co_u32_e32 v26, vcc, s16, v26
	v_addc_co_u32_e32 v27, vcc, v24, v27, vcc
	global_load_dword v26, v[26:27], off
	s_waitcnt vmcnt(1)
	v_mul_f64 v[31:32], v[10:11], -v[6:7]
	v_mul_f64 v[33:34], v[10:11], v[4:5]
	v_cmp_ne_u32_e32 vcc, s25, v66
	v_add_u32_e32 v29, s28, v25
	v_add_u32_e32 v24, s29, v25
	;; [unrolled: 1-line block ×4, first 2 shown]
	s_waitcnt vmcnt(0)
	v_cmp_ne_u32_e64 s[4:5], 1, v26
	s_and_b64 s[4:5], vcc, s[4:5]
	s_and_saveexec_b64 s[20:21], s[4:5]
	s_xor_b64 s[20:21], exec, s[20:21]
	s_cbranch_execz .LBB349_17
; %bb.14:                               ;   in Loop: Header=BB349_5 Depth=1
	v_mul_f64 v[25:26], v[0:1], v[18:19]
	v_mul_f64 v[38:39], v[18:19], -v[2:3]
	v_fma_f64 v[33:34], v[6:7], v[8:9], v[33:34]
	v_fma_f64 v[31:32], v[4:5], v[8:9], v[31:32]
	v_add_u32_e32 v71, v65, v66
	v_mov_b32_e32 v36, s9
	v_mov_b32_e32 v63, s9
	;; [unrolled: 1-line block ×3, first 2 shown]
	v_fma_f64 v[25:26], v[2:3], v[16:17], v[25:26]
	v_fma_f64 v[38:39], v[0:1], v[16:17], v[38:39]
	v_mov_b32_e32 v75, s9
	v_mov_b32_e32 v76, s9
	v_add_f64 v[26:27], v[25:26], -v[33:34]
	v_add_f64 v[33:34], v[38:39], -v[31:32]
	v_mov_b32_e32 v25, s9
	v_mul_f64 v[31:32], v[26:27], v[26:27]
	v_fma_f64 v[59:60], v[33:34], 0, -v[26:27]
	v_fma_f64 v[26:27], v[26:27], 0, v[33:34]
	v_fma_f64 v[38:39], v[33:34], v[33:34], v[31:32]
	v_lshlrev_b64 v[31:32], 4, v[29:30]
	v_add_u32_e32 v29, s28, v71
	v_add_co_u32_e32 v57, vcc, s8, v31
	v_lshlrev_b64 v[45:46], 4, v[29:30]
	v_addc_co_u32_e32 v58, vcc, v25, v32, vcc
	v_div_scale_f64 v[49:50], s[4:5], v[38:39], v[38:39], 1.0
	v_add_co_u32_e32 v31, vcc, s8, v45
	v_addc_co_u32_e32 v32, vcc, v36, v46, vcc
	global_load_dwordx4 v[41:44], v[57:58], off
	global_load_dwordx4 v[45:48], v[31:32], off
	v_mov_b32_e32 v25, v30
	v_lshlrev_b64 v[24:25], 4, v[24:25]
	v_mov_b32_e32 v29, s9
	v_add_co_u32_e64 v81, s[4:5], s8, v24
	v_addc_co_u32_e64 v82, s[4:5], v29, v25, s[4:5]
	v_add_u32_e32 v29, s29, v71
	v_rcp_f64_e32 v[51:52], v[49:50]
	v_fma_f64 v[53:54], -v[49:50], v[51:52], 1.0
	v_fma_f64 v[51:52], v[51:52], v[53:54], v[51:52]
	v_div_scale_f64 v[53:54], vcc, 1.0, v[38:39], 1.0
	v_fma_f64 v[55:56], -v[49:50], v[51:52], 1.0
	v_fma_f64 v[51:52], v[51:52], v[55:56], v[51:52]
	v_mul_f64 v[55:56], v[53:54], v[51:52]
	v_fma_f64 v[49:50], -v[49:50], v[55:56], v[53:54]
	v_lshlrev_b64 v[53:54], 4, v[29:30]
	v_add_u32_e32 v29, s30, v71
	v_div_fmas_f64 v[24:25], v[49:50], v[51:52], v[55:56]
	global_load_dwordx4 v[49:52], v[81:82], off
	v_add_co_u32_e32 v83, vcc, s8, v53
	v_addc_co_u32_e32 v84, vcc, v36, v54, vcc
	global_load_dwordx4 v[53:56], v[83:84], off
	v_mov_b32_e32 v36, v30
	v_div_fixup_f64 v[39:40], v[24:25], v[38:39], 1.0
	v_mov_b32_e32 v38, v30
	v_mul_f64 v[24:25], v[59:60], v[39:40]
	v_mul_f64 v[26:27], v[26:27], v[39:40]
	s_waitcnt vmcnt(3)
	v_mul_f64 v[33:34], v[24:25], v[41:42]
	s_waitcnt vmcnt(2)
	v_mul_f64 v[39:40], v[24:25], v[45:46]
	v_mul_f64 v[59:60], v[24:25], -v[43:44]
	v_mul_f64 v[61:62], v[24:25], -v[47:48]
	v_fma_f64 v[33:34], v[43:44], v[26:27], v[33:34]
	v_fma_f64 v[39:40], v[47:48], v[26:27], v[39:40]
	v_lshlrev_b64 v[43:44], 4, v[37:38]
	v_lshlrev_b64 v[47:48], 4, v[35:36]
	v_fma_f64 v[37:38], v[41:42], v[26:27], v[59:60]
	v_fma_f64 v[35:36], v[45:46], v[26:27], v[61:62]
	v_add_co_u32_e32 v85, vcc, s8, v43
	v_mul_f64 v[45:46], v[16:17], v[33:34]
	v_mul_f64 v[59:60], v[39:40], -v[10:11]
	v_mul_f64 v[61:62], v[8:9], v[39:40]
	v_mul_f64 v[41:42], v[33:34], -v[18:19]
	v_add_co_u32_e64 v87, s[4:5], s8, v47
	v_addc_co_u32_e32 v86, vcc, v63, v44, vcc
	v_fma_f64 v[69:70], v[18:19], v[37:38], v[45:46]
	v_fma_f64 v[45:46], v[8:9], v[35:36], v[59:60]
	;; [unrolled: 1-line block ×3, first 2 shown]
	v_addc_co_u32_e64 v88, vcc, v72, v48, s[4:5]
	v_fma_f64 v[63:64], v[16:17], v[37:38], v[41:42]
	v_lshlrev_b64 v[61:62], 4, v[29:30]
	v_add_u32_e32 v29, s31, v71
	global_load_dwordx4 v[41:44], v[85:86], off
	v_lshlrev_b64 v[73:74], 4, v[29:30]
	v_add_f64 v[47:48], v[69:70], -v[59:60]
	global_load_dwordx4 v[69:72], v[87:88], off
	v_add_co_u32_e32 v89, vcc, s8, v61
	v_addc_co_u32_e32 v90, vcc, v75, v62, vcc
	v_add_f64 v[45:46], v[63:64], -v[45:46]
	v_add_co_u32_e32 v91, vcc, s8, v73
	v_addc_co_u32_e32 v92, vcc, v76, v74, vcc
	global_load_dwordx4 v[73:76], v[89:90], off
	global_load_dwordx4 v[77:80], v[91:92], off
	s_nop 0
	global_store_dwordx4 v[57:58], v[45:48], off
	s_waitcnt vmcnt(6)
	v_mul_f64 v[45:46], v[24:25], -v[51:52]
	v_fma_f64 v[57:58], v[49:50], v[26:27], v[45:46]
	v_mul_f64 v[45:46], v[24:25], v[49:50]
	v_fma_f64 v[61:62], v[51:52], v[26:27], v[45:46]
	s_waitcnt vmcnt(5)
	v_mul_f64 v[45:46], v[24:25], -v[55:56]
	v_mul_f64 v[47:48], v[16:17], v[61:62]
	v_fma_f64 v[59:60], v[53:54], v[26:27], v[45:46]
	v_mul_f64 v[45:46], v[24:25], v[53:54]
	v_fma_f64 v[47:48], v[18:19], v[57:58], v[47:48]
	v_fma_f64 v[63:64], v[55:56], v[26:27], v[45:46]
	v_mul_f64 v[45:46], v[61:62], -v[18:19]
	v_mul_f64 v[49:50], v[63:64], -v[10:11]
	v_mul_f64 v[51:52], v[8:9], v[63:64]
	v_fma_f64 v[45:46], v[16:17], v[57:58], v[45:46]
	v_fma_f64 v[49:50], v[8:9], v[59:60], v[49:50]
	;; [unrolled: 1-line block ×3, first 2 shown]
	v_add_f64 v[45:46], v[45:46], -v[49:50]
	v_add_f64 v[47:48], v[47:48], -v[51:52]
	s_waitcnt vmcnt(3)
	v_mul_f64 v[51:52], v[24:25], v[69:70]
	v_mul_f64 v[49:50], v[24:25], -v[71:72]
	global_store_dwordx4 v[81:82], v[45:48], off
	v_fma_f64 v[51:52], v[71:72], v[26:27], v[51:52]
	v_mul_f64 v[45:46], v[24:25], -v[43:44]
	v_mul_f64 v[47:48], v[24:25], v[41:42]
	v_fma_f64 v[49:50], v[69:70], v[26:27], v[49:50]
	s_waitcnt vmcnt(2)
	v_mul_f64 v[55:56], v[24:25], v[77:78]
	v_mul_f64 v[53:54], v[24:25], -v[79:80]
	v_fma_f64 v[41:42], v[41:42], v[26:27], v[45:46]
	v_fma_f64 v[45:46], v[43:44], v[26:27], v[47:48]
	v_mul_f64 v[43:44], v[24:25], -v[75:76]
	v_mul_f64 v[47:48], v[24:25], v[73:74]
	v_fma_f64 v[55:56], v[79:80], v[26:27], v[55:56]
	v_fma_f64 v[53:54], v[77:78], v[26:27], v[53:54]
	v_mul_f64 v[69:70], v[45:46], -v[18:19]
	v_fma_f64 v[43:44], v[73:74], v[26:27], v[43:44]
	v_mul_f64 v[73:74], v[51:52], -v[18:19]
	v_fma_f64 v[47:48], v[75:76], v[26:27], v[47:48]
	v_mul_f64 v[71:72], v[16:17], v[45:46]
	v_mul_f64 v[77:78], v[55:56], -v[10:11]
	v_fma_f64 v[69:70], v[16:17], v[41:42], v[69:70]
	v_fma_f64 v[73:74], v[16:17], v[49:50], v[73:74]
	v_mul_f64 v[16:17], v[16:17], v[51:52]
	v_fma_f64 v[71:72], v[18:19], v[41:42], v[71:72]
	v_mul_f64 v[75:76], v[8:9], v[47:48]
	v_fma_f64 v[77:78], v[8:9], v[53:54], v[77:78]
	v_fma_f64 v[18:19], v[18:19], v[49:50], v[16:17]
	v_mul_f64 v[16:17], v[47:48], -v[10:11]
	v_fma_f64 v[75:76], v[10:11], v[43:44], v[75:76]
	v_fma_f64 v[16:17], v[8:9], v[43:44], v[16:17]
	v_mul_f64 v[8:9], v[8:9], v[55:56]
	v_fma_f64 v[79:80], v[10:11], v[53:54], v[8:9]
	v_add_f64 v[8:9], v[69:70], -v[16:17]
	v_add_f64 v[10:11], v[71:72], -v[75:76]
	;; [unrolled: 1-line block ×3, first 2 shown]
	v_mul_f64 v[69:70], v[6:7], v[33:34]
	v_mul_f64 v[71:72], v[33:34], -v[4:5]
	v_mul_f64 v[73:74], v[6:7], v[61:62]
	v_mul_f64 v[75:76], v[0:1], v[63:64]
	v_add_f64 v[18:19], v[18:19], -v[79:80]
	v_mul_f64 v[79:80], v[0:1], v[55:56]
	global_store_dwordx4 v[85:86], v[8:11], off
	v_fma_f64 v[69:70], -v[4:5], v[37:38], v[69:70]
	v_mul_f64 v[8:9], v[39:40], -v[2:3]
	v_mul_f64 v[10:11], v[0:1], v[39:40]
	v_fma_f64 v[71:72], -v[6:7], v[37:38], v[71:72]
	global_store_dwordx4 v[87:88], v[16:19], off
	v_fma_f64 v[73:74], -v[4:5], v[57:58], v[73:74]
	v_mul_f64 v[16:17], v[61:62], -v[4:5]
	v_mul_f64 v[18:19], v[63:64], -v[2:3]
	v_fma_f64 v[79:80], v[2:3], v[53:54], v[79:80]
	v_fma_f64 v[8:9], v[0:1], v[35:36], v[8:9]
	;; [unrolled: 1-line block ×3, first 2 shown]
	v_fma_f64 v[77:78], -v[6:7], v[57:58], v[16:17]
	v_fma_f64 v[16:17], v[0:1], v[59:60], v[18:19]
	v_fma_f64 v[18:19], v[2:3], v[59:60], v[75:76]
	v_add_f64 v[8:9], v[69:70], v[8:9]
	v_add_f64 v[10:11], v[71:72], v[10:11]
	v_mul_f64 v[69:70], v[6:7], v[45:46]
	v_mul_f64 v[71:72], v[45:46], -v[4:5]
	v_mul_f64 v[75:76], v[0:1], v[47:48]
	v_add_f64 v[16:17], v[73:74], v[16:17]
	v_mul_f64 v[73:74], v[47:48], -v[2:3]
	v_add_f64 v[18:19], v[77:78], v[18:19]
	v_mul_f64 v[77:78], v[55:56], -v[2:3]
	v_fma_f64 v[69:70], -v[4:5], v[41:42], v[69:70]
	v_fma_f64 v[71:72], -v[6:7], v[41:42], v[71:72]
	v_fma_f64 v[75:76], v[2:3], v[43:44], v[75:76]
	v_fma_f64 v[73:74], v[0:1], v[43:44], v[73:74]
	;; [unrolled: 1-line block ×3, first 2 shown]
	v_add_f64 v[71:72], v[71:72], v[75:76]
	v_mul_f64 v[75:76], v[51:52], -v[4:5]
	v_add_f64 v[69:70], v[69:70], v[73:74]
	v_mul_f64 v[73:74], v[6:7], v[51:52]
	global_store_dwordx4 v[31:32], v[8:11], off
	global_store_dwordx4 v[83:84], v[16:19], off
	;; [unrolled: 1-line block ×3, first 2 shown]
	v_fma_f64 v[75:76], -v[6:7], v[49:50], v[75:76]
	v_mov_b32_e32 v8, 0
	v_fma_f64 v[73:74], -v[4:5], v[49:50], v[73:74]
	v_mov_b32_e32 v10, 0
	v_mov_b32_e32 v9, 0
	v_mov_b32_e32 v11, 0
	v_add_f64 v[75:76], v[75:76], v[79:80]
	v_add_f64 v[73:74], v[73:74], v[77:78]
	global_store_dwordx4 v[91:92], v[73:76], off
	s_and_saveexec_b64 s[4:5], s[2:3]
	s_cbranch_execz .LBB349_16
; %bb.15:                               ;   in Loop: Header=BB349_5 Depth=1
	v_add_u32_e32 v31, v67, v66
	v_add_u32_e32 v29, s28, v31
	v_lshlrev_b64 v[8:9], 4, v[29:30]
	v_add_u32_e32 v29, s29, v31
	v_mov_b32_e32 v10, s9
	v_add_co_u32_e32 v69, vcc, s8, v8
	v_lshlrev_b64 v[16:17], 4, v[29:30]
	v_addc_co_u32_e32 v70, vcc, v10, v9, vcc
	v_mov_b32_e32 v18, s9
	v_add_co_u32_e32 v71, vcc, s8, v16
	global_load_dwordx4 v[8:11], v[69:70], off
	v_addc_co_u32_e32 v72, vcc, v18, v17, vcc
	global_load_dwordx4 v[16:19], v[71:72], off
	v_mul_f64 v[73:74], v[22:23], -v[4:5]
	v_mul_f64 v[75:76], v[6:7], v[22:23]
	v_mul_f64 v[77:78], v[0:1], v[22:23]
	v_mul_f64 v[79:80], v[22:23], -v[2:3]
	v_add_u32_e32 v29, s30, v31
	v_mov_b32_e32 v85, s9
	v_fma_f64 v[73:74], -v[6:7], v[20:21], v[73:74]
	v_fma_f64 v[75:76], -v[4:5], v[20:21], v[75:76]
	v_fma_f64 v[77:78], v[2:3], v[20:21], v[77:78]
	v_fma_f64 v[79:80], v[0:1], v[20:21], v[79:80]
	v_mul_f64 v[4:5], v[73:74], v[33:34]
	v_mul_f64 v[6:7], v[33:34], -v[75:76]
	v_mul_f64 v[32:33], v[39:40], -v[77:78]
	v_mul_f64 v[39:40], v[79:80], v[39:40]
	v_mul_f64 v[81:82], v[73:74], v[61:62]
	v_mul_f64 v[61:62], v[61:62], -v[75:76]
	v_mul_f64 v[83:84], v[63:64], -v[77:78]
	v_mul_f64 v[63:64], v[79:80], v[63:64]
	v_fma_f64 v[4:5], -v[75:76], v[37:38], v[4:5]
	v_fma_f64 v[6:7], -v[73:74], v[37:38], v[6:7]
	v_fma_f64 v[33:34], v[79:80], v[35:36], v[32:33]
	v_fma_f64 v[35:36], v[77:78], v[35:36], v[39:40]
	v_fma_f64 v[37:38], -v[75:76], v[57:58], v[81:82]
	v_fma_f64 v[39:40], -v[73:74], v[57:58], v[61:62]
	v_fma_f64 v[57:58], v[79:80], v[59:60], v[83:84]
	v_fma_f64 v[59:60], v[77:78], v[59:60], v[63:64]
	v_ashrrev_i32_e32 v32, 31, v31
	v_lshlrev_b64 v[61:62], 4, v[31:32]
	v_add_f64 v[4:5], v[4:5], -v[33:34]
	v_add_f64 v[6:7], v[6:7], -v[35:36]
	v_mov_b32_e32 v63, s9
	v_mov_b32_e32 v64, s15
	v_add_f64 v[32:33], v[37:38], -v[57:58]
	v_add_f64 v[34:35], v[39:40], -v[59:60]
	v_lshlrev_b64 v[36:37], 4, v[29:30]
	v_add_u32_e32 v29, s31, v31
	v_lshlrev_b64 v[38:39], 4, v[29:30]
	v_add_co_u32_e32 v31, vcc, s8, v36
	s_waitcnt vmcnt(1)
	v_add_f64 v[4:5], v[4:5], v[8:9]
	v_add_f64 v[6:7], v[6:7], v[10:11]
	s_waitcnt vmcnt(0)
	v_add_f64 v[8:9], v[32:33], v[16:17]
	v_add_f64 v[10:11], v[34:35], v[18:19]
	v_addc_co_u32_e32 v32, vcc, v85, v37, vcc
	v_add_co_u32_e32 v33, vcc, s8, v38
	v_addc_co_u32_e32 v34, vcc, v63, v39, vcc
	v_add_co_u32_e32 v16, vcc, s14, v61
	global_store_dwordx4 v[69:70], v[4:7], off
	global_store_dwordx4 v[71:72], v[8:11], off
	v_addc_co_u32_e32 v17, vcc, v64, v62, vcc
	global_load_dwordx4 v[4:7], v[31:32], off
	global_load_dwordx4 v[8:11], v[33:34], off
	v_mul_f64 v[35:36], v[2:3], -v[22:23]
	global_load_dwordx4 v[16:19], v[16:17], off
	v_mul_f64 v[2:3], v[2:3], v[20:21]
	v_mul_f64 v[37:38], v[79:80], v[47:48]
	v_fma_f64 v[20:21], v[20:21], v[0:1], v[35:36]
	v_mul_f64 v[35:36], v[47:48], -v[77:78]
	v_fma_f64 v[0:1], v[22:23], v[0:1], v[2:3]
	v_mul_f64 v[2:3], v[73:74], v[45:46]
	v_mul_f64 v[22:23], v[45:46], -v[75:76]
	v_mul_f64 v[45:46], v[73:74], v[51:52]
	v_mul_f64 v[47:48], v[51:52], -v[75:76]
	v_mul_f64 v[51:52], v[55:56], -v[77:78]
	v_mul_f64 v[39:40], v[14:15], v[20:21]
	v_mul_f64 v[55:56], v[79:80], v[55:56]
	v_mul_f64 v[14:15], v[14:15], -v[0:1]
	v_fma_f64 v[2:3], -v[75:76], v[41:42], v[2:3]
	v_fma_f64 v[22:23], -v[73:74], v[41:42], v[22:23]
	v_fma_f64 v[0:1], v[0:1], v[12:13], v[39:40]
	v_fma_f64 v[39:40], v[79:80], v[53:54], v[51:52]
	;; [unrolled: 1-line block ×5, first 2 shown]
	v_fma_f64 v[35:36], -v[75:76], v[49:50], v[45:46]
	v_fma_f64 v[37:38], -v[73:74], v[49:50], v[47:48]
	v_fma_f64 v[41:42], v[77:78], v[53:54], v[55:56]
	v_mul_f64 v[43:44], v[24:25], -v[0:1]
	v_mul_f64 v[24:25], v[24:25], v[12:13]
	v_add_f64 v[2:3], v[2:3], -v[14:15]
	v_add_f64 v[14:15], v[22:23], -v[20:21]
	;; [unrolled: 1-line block ×4, first 2 shown]
	v_fma_f64 v[12:13], v[12:13], v[26:27], v[43:44]
	v_fma_f64 v[24:25], v[0:1], v[26:27], v[24:25]
	s_waitcnt vmcnt(2)
	v_add_f64 v[0:1], v[2:3], v[4:5]
	v_add_f64 v[2:3], v[14:15], v[6:7]
	s_waitcnt vmcnt(1)
	v_add_f64 v[4:5], v[20:21], v[8:9]
	v_add_f64 v[6:7], v[22:23], v[10:11]
	s_waitcnt vmcnt(0)
	v_add_f64 v[10:11], v[16:17], -v[12:13]
	v_add_f64 v[8:9], v[18:19], -v[24:25]
	global_store_dwordx4 v[31:32], v[0:3], off
	global_store_dwordx4 v[33:34], v[4:7], off
.LBB349_16:                             ;   in Loop: Header=BB349_5 Depth=1
	s_or_b64 exec, exec, s[4:5]
	v_mov_b32_e32 v2, v8
	v_mov_b32_e32 v0, v10
	;; [unrolled: 1-line block ×4, first 2 shown]
                                        ; implicit-def: $vgpr4_vgpr5
                                        ; implicit-def: $vgpr16_vgpr17
                                        ; implicit-def: $vgpr8_vgpr9
                                        ; implicit-def: $vgpr31_vgpr32
                                        ; implicit-def: $vgpr33_vgpr34
                                        ; implicit-def: $vgpr24
                                        ; implicit-def: $vgpr37
                                        ; implicit-def: $vgpr35
.LBB349_17:                             ;   in Loop: Header=BB349_5 Depth=1
	s_or_saveexec_b64 s[2:3], s[20:21]
	v_mov_b32_e32 v10, s27
	s_xor_b64 exec, exec, s[2:3]
	s_cbranch_execz .LBB349_4
; %bb.18:                               ;   in Loop: Header=BB349_5 Depth=1
	v_mul_f64 v[10:11], v[2:3], v[2:3]
	v_mov_b32_e32 v25, v30
	v_lshlrev_b64 v[12:13], 4, v[24:25]
	v_mov_b32_e32 v22, s9
	v_mov_b32_e32 v38, v30
	;; [unrolled: 1-line block ×3, first 2 shown]
	v_lshlrev_b64 v[20:21], 4, v[37:38]
	v_mov_b32_e32 v36, v30
	v_fma_f64 v[14:15], v[0:1], v[0:1], v[10:11]
	v_lshlrev_b64 v[10:11], 4, v[29:30]
	v_mov_b32_e32 v29, s9
	v_add_co_u32_e32 v45, vcc, s8, v10
	v_addc_co_u32_e32 v46, vcc, v22, v11, vcc
	v_add_co_u32_e32 v47, vcc, s8, v12
	v_div_scale_f64 v[26:27], s[4:5], v[14:15], v[14:15], 1.0
	v_addc_co_u32_e32 v48, vcc, v23, v13, vcc
	v_lshlrev_b64 v[35:36], 4, v[35:36]
	v_add_co_u32_e32 v49, vcc, s8, v20
	v_addc_co_u32_e32 v50, vcc, v29, v21, vcc
	v_mov_b32_e32 v41, s9
	v_add_co_u32_e32 v53, vcc, s8, v35
	v_addc_co_u32_e32 v54, vcc, v41, v36, vcc
	global_load_dwordx4 v[10:13], v[45:46], off
	global_load_dwordx4 v[20:23], v[47:48], off
	;; [unrolled: 1-line block ×4, first 2 shown]
	v_rcp_f64_e32 v[24:25], v[26:27]
	v_div_scale_f64 v[35:36], vcc, 1.0, v[14:15], 1.0
	v_fma_f64 v[51:52], -v[26:27], v[24:25], 1.0
	v_fma_f64 v[24:25], v[24:25], v[51:52], v[24:25]
	v_fma_f64 v[51:52], -v[26:27], v[24:25], 1.0
	v_fma_f64 v[24:25], v[24:25], v[51:52], v[24:25]
	v_mul_f64 v[51:52], v[35:36], v[24:25]
	v_fma_f64 v[26:27], -v[26:27], v[51:52], v[35:36]
	v_div_fmas_f64 v[24:25], v[26:27], v[24:25], v[51:52]
	v_fma_f64 v[26:27], v[0:1], 0, -v[2:3]
	v_fma_f64 v[0:1], v[2:3], 0, v[0:1]
	v_div_fixup_f64 v[14:15], v[24:25], v[14:15], 1.0
	v_mul_f64 v[35:36], v[26:27], v[14:15]
	v_mul_f64 v[14:15], v[0:1], v[14:15]
	s_waitcnt vmcnt(3)
	v_mul_f64 v[0:1], v[35:36], -v[12:13]
	v_mul_f64 v[2:3], v[35:36], v[10:11]
	s_waitcnt vmcnt(2)
	v_mul_f64 v[51:52], v[35:36], -v[22:23]
	;; [unrolled: 3-line block ×4, first 2 shown]
	v_mul_f64 v[63:64], v[35:36], v[41:42]
	v_fma_f64 v[24:25], v[10:11], v[14:15], v[0:1]
	v_fma_f64 v[26:27], v[12:13], v[14:15], v[2:3]
	;; [unrolled: 1-line block ×8, first 2 shown]
	global_store_dwordx4 v[45:46], v[24:27], off
	global_store_dwordx4 v[47:48], v[20:23], off
	;; [unrolled: 1-line block ×4, first 2 shown]
	s_and_saveexec_b64 s[4:5], s[0:1]
	s_cbranch_execz .LBB349_3
; %bb.19:                               ;   in Loop: Header=BB349_5 Depth=1
	v_add_u32_e32 v51, v65, v66
	v_add_u32_e32 v29, s28, v51
	v_lshlrev_b64 v[37:38], 4, v[29:30]
	v_mov_b32_e32 v29, s9
	v_add_co_u32_e32 v45, vcc, s8, v37
	v_addc_co_u32_e32 v46, vcc, v29, v38, vcc
	v_add_u32_e32 v29, s29, v51
	v_lshlrev_b64 v[41:42], 4, v[29:30]
	v_mov_b32_e32 v29, s9
	v_add_co_u32_e32 v47, vcc, s8, v41
	global_load_dwordx4 v[37:40], v[45:46], off
	v_addc_co_u32_e32 v48, vcc, v29, v42, vcc
	global_load_dwordx4 v[41:44], v[47:48], off
	v_add_u32_e32 v29, s30, v51
	v_lshlrev_b64 v[49:50], 4, v[29:30]
	v_add_u32_e32 v29, s31, v51
	v_mov_b32_e32 v53, s9
	v_lshlrev_b64 v[51:52], 4, v[29:30]
	v_mov_b32_e32 v54, s9
	s_waitcnt vmcnt(1)
	v_fma_f64 v[37:38], -v[4:5], v[24:25], v[37:38]
	v_fma_f64 v[39:40], -v[6:7], v[24:25], v[39:40]
	s_waitcnt vmcnt(0)
	v_fma_f64 v[41:42], -v[4:5], v[20:21], v[41:42]
	v_fma_f64 v[43:44], -v[6:7], v[20:21], v[43:44]
	v_fma_f64 v[24:25], v[6:7], v[26:27], v[37:38]
	v_fma_f64 v[26:27], -v[4:5], v[26:27], v[39:40]
	v_add_co_u32_e32 v37, vcc, s8, v49
	v_fma_f64 v[20:21], v[6:7], v[22:23], v[41:42]
	v_fma_f64 v[22:23], -v[4:5], v[22:23], v[43:44]
	v_addc_co_u32_e32 v38, vcc, v53, v50, vcc
	v_add_co_u32_e32 v39, vcc, s8, v51
	global_store_dwordx4 v[45:46], v[24:27], off
	v_addc_co_u32_e32 v40, vcc, v54, v52, vcc
	global_load_dwordx4 v[24:27], v[37:38], off
	s_nop 0
	global_store_dwordx4 v[47:48], v[20:23], off
	global_load_dwordx4 v[20:23], v[39:40], off
	s_waitcnt vmcnt(2)
	v_fma_f64 v[24:25], -v[4:5], v[10:11], v[24:25]
	v_fma_f64 v[26:27], -v[6:7], v[10:11], v[26:27]
	s_waitcnt vmcnt(0)
	v_fma_f64 v[20:21], -v[4:5], v[0:1], v[20:21]
	v_fma_f64 v[22:23], -v[6:7], v[0:1], v[22:23]
	v_fma_f64 v[10:11], v[6:7], v[12:13], v[24:25]
	v_fma_f64 v[12:13], -v[4:5], v[12:13], v[26:27]
	v_fma_f64 v[0:1], v[6:7], v[2:3], v[20:21]
	v_fma_f64 v[2:3], -v[4:5], v[2:3], v[22:23]
	global_store_dwordx4 v[37:38], v[10:13], off
	global_store_dwordx4 v[39:40], v[0:3], off
	s_branch .LBB349_3
.LBB349_20:
	s_or_b64 exec, exec, s[18:19]
	s_branch .LBB349_22
.LBB349_21:
	v_mov_b32_e32 v66, 0
.LBB349_22:
	v_subrev_u32_e32 v2, s22, v66
	v_add_u32_e32 v0, v2, v28
	v_ashrrev_i32_e32 v1, 31, v0
	v_lshlrev_b64 v[0:1], 2, v[0:1]
	s_waitcnt lgkmcnt(0)
	v_mov_b32_e32 v3, s17
	v_add_co_u32_e32 v0, vcc, s16, v0
	v_addc_co_u32_e32 v1, vcc, v3, v1, vcc
	s_waitcnt vmcnt(0)
	buffer_wbinvl1_vol
	global_load_dword v0, v[0:1], off
	s_waitcnt vmcnt(0)
	v_mul_lo_u32 v0, v0, s22
	v_sub_u32_e32 v8, v2, v0
	v_cmp_lt_i32_e32 vcc, -1, v8
	s_and_b64 exec, exec, vcc
	s_cbranch_execz .LBB349_29
; %bb.23:
	s_lshl_b32 s4, s24, 2
	s_add_i32 s5, s4, s23
	s_add_i32 s6, s5, s23
	;; [unrolled: 1-line block ×3, first 2 shown]
	s_lshl_b32 s12, s22, 1
	s_mov_b64 s[0:1], 0
	v_mov_b32_e32 v9, s17
	v_mov_b32_e32 v10, s11
	;; [unrolled: 1-line block ×3, first 2 shown]
	s_branch .LBB349_25
.LBB349_24:                             ;   in Loop: Header=BB349_25 Depth=1
	s_or_b64 exec, exec, s[2:3]
	v_sub_u32_e32 v8, v8, v4
	v_cmp_gt_i32_e32 vcc, 0, v8
	s_or_b64 s[0:1], vcc, s[0:1]
	s_andn2_b64 exec, exec, s[0:1]
	s_cbranch_execz .LBB349_29
.LBB349_25:                             ; =>This Inner Loop Header: Depth=1
	v_add_u32_e32 v6, v8, v28
	v_ashrrev_i32_e32 v7, 31, v6
	s_waitcnt vmcnt(0)
	v_lshlrev_b64 v[0:1], 2, v[6:7]
	v_add_co_u32_e32 v0, vcc, s16, v0
	v_addc_co_u32_e32 v1, vcc, v9, v1, vcc
	global_load_dword v4, v[0:1], off
	v_lshlrev_b64 v[0:1], 4, v[6:7]
	v_add_co_u32_e32 v0, vcc, s10, v0
	v_addc_co_u32_e32 v1, vcc, v10, v1, vcc
	global_load_dwordx4 v[0:3], v[0:1], off
	s_waitcnt vmcnt(1)
	v_cmp_ne_u32_e32 vcc, 1, v4
	s_and_saveexec_b64 s[2:3], vcc
	s_xor_b64 s[2:3], exec, s[2:3]
	s_cbranch_execz .LBB349_27
; %bb.26:                               ;   in Loop: Header=BB349_25 Depth=1
	v_add_u32_e32 v7, v65, v8
	v_add_u32_e32 v4, s4, v7
	v_lshlrev_b64 v[11:12], 4, v[4:5]
	v_mov_b32_e32 v4, s9
	v_add_co_u32_e32 v11, vcc, s8, v11
	v_addc_co_u32_e32 v12, vcc, v4, v12, vcc
	v_add_u32_e32 v4, s5, v7
	v_lshlrev_b64 v[19:20], 4, v[4:5]
	v_add_u32_e32 v4, s6, v7
	v_lshlrev_b64 v[23:24], 4, v[4:5]
	;; [unrolled: 2-line block ×4, first 2 shown]
	v_mov_b32_e32 v4, s9
	v_add_co_u32_e32 v33, vcc, s8, v15
	v_addc_co_u32_e32 v34, vcc, v4, v16, vcc
	global_load_dwordx4 v[11:14], v[11:12], off
	v_add_co_u32_e32 v19, vcc, s8, v19
	global_load_dwordx4 v[15:18], v[33:34], off
	v_addc_co_u32_e32 v20, vcc, v4, v20, vcc
	global_load_dwordx4 v[19:22], v[19:20], off
	v_mov_b32_e32 v7, s9
	v_add_co_u32_e32 v35, vcc, s8, v23
	v_addc_co_u32_e32 v36, vcc, v7, v24, vcc
	v_add_u32_e32 v4, s5, v6
	v_mov_b32_e32 v27, s9
	v_add_co_u32_e32 v37, vcc, s8, v25
	v_lshlrev_b64 v[39:40], 4, v[4:5]
	v_addc_co_u32_e32 v38, vcc, v27, v26, vcc
	v_mov_b32_e32 v41, s9
	global_load_dwordx4 v[23:26], v[35:36], off
	global_load_dwordx4 v[29:32], v[37:38], off
	v_add_co_u32_e32 v35, vcc, s8, v39
	v_addc_co_u32_e32 v36, vcc, v41, v40, vcc
	v_add_u32_e32 v4, s6, v6
	s_waitcnt vmcnt(3)
	v_fma_f64 v[15:16], -v[0:1], v[11:12], v[15:16]
	v_fma_f64 v[17:18], -v[2:3], v[11:12], v[17:18]
	v_fma_f64 v[15:16], v[2:3], v[13:14], v[15:16]
	v_fma_f64 v[17:18], -v[0:1], v[13:14], v[17:18]
	global_store_dwordx4 v[33:34], v[15:18], off
	global_load_dwordx4 v[15:18], v[35:36], off
	v_lshlrev_b64 v[33:34], 4, v[4:5]
	v_add_u32_e32 v4, s7, v6
	v_add_co_u32_e32 v33, vcc, s8, v33
	v_addc_co_u32_e32 v34, vcc, v7, v34, vcc
	v_lshlrev_b64 v[6:7], 4, v[4:5]
	v_subrev_u32_e32 v4, s22, v8
	v_add_co_u32_e32 v6, vcc, s8, v6
	v_addc_co_u32_e32 v7, vcc, v27, v7, vcc
	v_mov_b32_e32 v27, s11
	s_waitcnt vmcnt(0)
	v_fma_f64 v[15:16], -v[0:1], v[19:20], v[15:16]
	v_fma_f64 v[17:18], -v[2:3], v[19:20], v[17:18]
	v_fma_f64 v[15:16], v[2:3], v[21:22], v[15:16]
	v_fma_f64 v[17:18], -v[0:1], v[21:22], v[17:18]
	global_store_dwordx4 v[35:36], v[15:18], off
	global_load_dwordx4 v[15:18], v[33:34], off
	v_mov_b32_e32 v36, s9
	s_waitcnt vmcnt(0)
	v_fma_f64 v[15:16], -v[0:1], v[23:24], v[15:16]
	v_fma_f64 v[17:18], -v[2:3], v[23:24], v[17:18]
	v_fma_f64 v[15:16], v[2:3], v[25:26], v[15:16]
	v_fma_f64 v[17:18], -v[0:1], v[25:26], v[17:18]
	global_store_dwordx4 v[33:34], v[15:18], off
	global_load_dwordx4 v[15:18], v[6:7], off
	v_add_u32_e32 v33, v4, v28
	v_ashrrev_i32_e32 v34, 31, v33
	v_lshlrev_b64 v[34:35], 4, v[33:34]
	v_add_u32_e32 v4, s4, v33
	v_add_co_u32_e32 v34, vcc, s10, v34
	v_addc_co_u32_e32 v35, vcc, v27, v35, vcc
	s_waitcnt vmcnt(0)
	v_fma_f64 v[15:16], -v[0:1], v[29:30], v[15:16]
	v_fma_f64 v[17:18], -v[2:3], v[29:30], v[17:18]
	v_fma_f64 v[15:16], v[2:3], v[31:32], v[15:16]
	v_fma_f64 v[17:18], -v[0:1], v[31:32], v[17:18]
	global_load_dwordx4 v[0:3], v[34:35], off
	v_lshlrev_b64 v[34:35], 4, v[4:5]
	v_add_u32_e32 v4, s5, v33
	v_add_co_u32_e32 v34, vcc, s8, v34
	v_addc_co_u32_e32 v35, vcc, v36, v35, vcc
	global_store_dwordx4 v[6:7], v[15:18], off
	global_load_dwordx4 v[15:18], v[34:35], off
	s_waitcnt vmcnt(0)
	v_fma_f64 v[6:7], -v[0:1], v[11:12], v[15:16]
	v_fma_f64 v[15:16], -v[2:3], v[11:12], v[17:18]
	v_mov_b32_e32 v17, s9
	v_fma_f64 v[11:12], v[2:3], v[13:14], v[6:7]
	v_fma_f64 v[13:14], -v[0:1], v[13:14], v[15:16]
	v_lshlrev_b64 v[6:7], 4, v[4:5]
	v_mov_b32_e32 v15, s9
	v_add_co_u32_e32 v6, vcc, s8, v6
	v_addc_co_u32_e32 v7, vcc, v15, v7, vcc
	v_add_u32_e32 v4, s6, v33
	global_store_dwordx4 v[34:35], v[11:14], off
	global_load_dwordx4 v[11:14], v[6:7], off
	v_lshlrev_b64 v[15:16], 4, v[4:5]
	v_add_u32_e32 v4, s7, v33
	v_add_co_u32_e32 v15, vcc, s8, v15
	v_addc_co_u32_e32 v16, vcc, v17, v16, vcc
	s_waitcnt vmcnt(0)
	v_fma_f64 v[11:12], -v[0:1], v[19:20], v[11:12]
	v_fma_f64 v[13:14], -v[2:3], v[19:20], v[13:14]
	v_fma_f64 v[11:12], v[2:3], v[21:22], v[11:12]
	v_fma_f64 v[13:14], -v[0:1], v[21:22], v[13:14]
	global_store_dwordx4 v[6:7], v[11:14], off
	global_load_dwordx4 v[11:14], v[15:16], off
	s_waitcnt vmcnt(0)
	v_fma_f64 v[6:7], -v[0:1], v[23:24], v[11:12]
	v_fma_f64 v[13:14], -v[2:3], v[23:24], v[13:14]
	v_fma_f64 v[11:12], v[2:3], v[25:26], v[6:7]
	v_fma_f64 v[13:14], -v[0:1], v[25:26], v[13:14]
	v_lshlrev_b64 v[6:7], 4, v[4:5]
	v_add_co_u32_e32 v6, vcc, s8, v6
	v_addc_co_u32_e32 v7, vcc, v17, v7, vcc
	global_store_dwordx4 v[15:16], v[11:14], off
	global_load_dwordx4 v[11:14], v[6:7], off
	s_waitcnt vmcnt(0)
	v_fma_f64 v[11:12], -v[0:1], v[29:30], v[11:12]
	v_fma_f64 v[13:14], -v[2:3], v[29:30], v[13:14]
	v_fma_f64 v[11:12], v[2:3], v[31:32], v[11:12]
	v_fma_f64 v[13:14], -v[0:1], v[31:32], v[13:14]
                                        ; implicit-def: $vgpr0_vgpr1
	global_store_dwordx4 v[6:7], v[11:14], off
                                        ; implicit-def: $vgpr6
.LBB349_27:                             ;   in Loop: Header=BB349_25 Depth=1
	s_or_saveexec_b64 s[2:3], s[2:3]
	v_mov_b32_e32 v4, s12
	s_xor_b64 exec, exec, s[2:3]
	s_cbranch_execz .LBB349_24
; %bb.28:                               ;   in Loop: Header=BB349_25 Depth=1
	v_add_u32_e32 v7, v65, v8
	v_add_u32_e32 v4, s4, v7
	v_lshlrev_b64 v[11:12], 4, v[4:5]
	v_mov_b32_e32 v4, s9
	v_add_co_u32_e32 v19, vcc, s8, v11
	v_addc_co_u32_e32 v20, vcc, v4, v12, vcc
	v_add_u32_e32 v4, s4, v6
	v_lshlrev_b64 v[11:12], 4, v[4:5]
	v_mov_b32_e32 v4, s9
	v_add_co_u32_e32 v21, vcc, s8, v11
	v_addc_co_u32_e32 v22, vcc, v4, v12, vcc
	global_load_dwordx4 v[11:14], v[19:20], off
	global_load_dwordx4 v[15:18], v[21:22], off
	v_add_u32_e32 v4, s5, v7
	v_lshlrev_b64 v[19:20], 4, v[4:5]
	v_add_u32_e32 v4, s5, v6
	v_mov_b32_e32 v25, s9
	v_lshlrev_b64 v[23:24], 4, v[4:5]
	v_add_co_u32_e32 v19, vcc, s8, v19
	v_addc_co_u32_e32 v20, vcc, v25, v20, vcc
	v_mov_b32_e32 v26, s9
	v_add_co_u32_e32 v23, vcc, s8, v23
	v_addc_co_u32_e32 v24, vcc, v26, v24, vcc
	v_add_u32_e32 v4, s6, v7
	s_waitcnt vmcnt(0)
	v_fma_f64 v[15:16], -v[0:1], v[11:12], v[15:16]
	v_fma_f64 v[17:18], -v[2:3], v[11:12], v[17:18]
	v_fma_f64 v[11:12], v[2:3], v[13:14], v[15:16]
	v_fma_f64 v[13:14], -v[0:1], v[13:14], v[17:18]
	global_store_dwordx4 v[21:22], v[11:14], off
	global_load_dwordx4 v[11:14], v[19:20], off
	s_nop 0
	global_load_dwordx4 v[15:18], v[23:24], off
	v_lshlrev_b64 v[19:20], 4, v[4:5]
	v_add_u32_e32 v4, s6, v6
	v_lshlrev_b64 v[21:22], 4, v[4:5]
	v_add_co_u32_e32 v19, vcc, s8, v19
	v_addc_co_u32_e32 v20, vcc, v25, v20, vcc
	v_add_co_u32_e32 v21, vcc, s8, v21
	v_addc_co_u32_e32 v22, vcc, v26, v22, vcc
	v_add_u32_e32 v4, s7, v7
	s_waitcnt vmcnt(0)
	v_fma_f64 v[15:16], -v[0:1], v[11:12], v[15:16]
	v_fma_f64 v[17:18], -v[2:3], v[11:12], v[17:18]
	v_fma_f64 v[11:12], v[2:3], v[13:14], v[15:16]
	v_fma_f64 v[13:14], -v[0:1], v[13:14], v[17:18]
	global_store_dwordx4 v[23:24], v[11:14], off
	global_load_dwordx4 v[11:14], v[19:20], off
	s_nop 0
	global_load_dwordx4 v[15:18], v[21:22], off
	v_lshlrev_b64 v[19:20], 4, v[4:5]
	v_add_u32_e32 v4, s7, v6
	v_mov_b32_e32 v23, s9
	v_lshlrev_b64 v[6:7], 4, v[4:5]
	v_add_co_u32_e32 v19, vcc, s8, v19
	v_addc_co_u32_e32 v20, vcc, v23, v20, vcc
	v_mov_b32_e32 v24, s9
	v_add_co_u32_e32 v6, vcc, s8, v6
	v_addc_co_u32_e32 v7, vcc, v24, v7, vcc
	v_mov_b32_e32 v4, s22
	s_waitcnt vmcnt(0)
	v_fma_f64 v[15:16], -v[0:1], v[11:12], v[15:16]
	v_fma_f64 v[17:18], -v[2:3], v[11:12], v[17:18]
	v_fma_f64 v[11:12], v[2:3], v[13:14], v[15:16]
	v_fma_f64 v[13:14], -v[0:1], v[13:14], v[17:18]
	global_store_dwordx4 v[21:22], v[11:14], off
	global_load_dwordx4 v[11:14], v[19:20], off
	s_nop 0
	global_load_dwordx4 v[15:18], v[6:7], off
	s_waitcnt vmcnt(0)
	v_fma_f64 v[15:16], -v[0:1], v[11:12], v[15:16]
	v_fma_f64 v[17:18], -v[2:3], v[11:12], v[17:18]
	v_fma_f64 v[11:12], v[2:3], v[13:14], v[15:16]
	v_fma_f64 v[13:14], -v[0:1], v[13:14], v[17:18]
	global_store_dwordx4 v[6:7], v[11:14], off
	s_branch .LBB349_24
.LBB349_29:
	s_endpgm
	.section	.rodata,"a",@progbits
	.p2align	6, 0x0
	.amdhsa_kernel _ZN9rocsparseL19gtsv_LBM_rhs_kernelILj256ELj256ELj4E21rocsparse_complex_numIdEEEviiiPKT2_S5_S5_PS3_S5_PKi
		.amdhsa_group_segment_fixed_size 0
		.amdhsa_private_segment_fixed_size 0
		.amdhsa_kernarg_size 64
		.amdhsa_user_sgpr_count 6
		.amdhsa_user_sgpr_private_segment_buffer 1
		.amdhsa_user_sgpr_dispatch_ptr 0
		.amdhsa_user_sgpr_queue_ptr 0
		.amdhsa_user_sgpr_kernarg_segment_ptr 1
		.amdhsa_user_sgpr_dispatch_id 0
		.amdhsa_user_sgpr_flat_scratch_init 0
		.amdhsa_user_sgpr_private_segment_size 0
		.amdhsa_uses_dynamic_stack 0
		.amdhsa_system_sgpr_private_segment_wavefront_offset 0
		.amdhsa_system_sgpr_workgroup_id_x 1
		.amdhsa_system_sgpr_workgroup_id_y 1
		.amdhsa_system_sgpr_workgroup_id_z 0
		.amdhsa_system_sgpr_workgroup_info 0
		.amdhsa_system_vgpr_workitem_id 0
		.amdhsa_next_free_vgpr 93
		.amdhsa_next_free_sgpr 32
		.amdhsa_reserve_vcc 1
		.amdhsa_reserve_flat_scratch 0
		.amdhsa_float_round_mode_32 0
		.amdhsa_float_round_mode_16_64 0
		.amdhsa_float_denorm_mode_32 3
		.amdhsa_float_denorm_mode_16_64 3
		.amdhsa_dx10_clamp 1
		.amdhsa_ieee_mode 1
		.amdhsa_fp16_overflow 0
		.amdhsa_exception_fp_ieee_invalid_op 0
		.amdhsa_exception_fp_denorm_src 0
		.amdhsa_exception_fp_ieee_div_zero 0
		.amdhsa_exception_fp_ieee_overflow 0
		.amdhsa_exception_fp_ieee_underflow 0
		.amdhsa_exception_fp_ieee_inexact 0
		.amdhsa_exception_int_div_zero 0
	.end_amdhsa_kernel
	.section	.text._ZN9rocsparseL19gtsv_LBM_rhs_kernelILj256ELj256ELj4E21rocsparse_complex_numIdEEEviiiPKT2_S5_S5_PS3_S5_PKi,"axG",@progbits,_ZN9rocsparseL19gtsv_LBM_rhs_kernelILj256ELj256ELj4E21rocsparse_complex_numIdEEEviiiPKT2_S5_S5_PS3_S5_PKi,comdat
.Lfunc_end349:
	.size	_ZN9rocsparseL19gtsv_LBM_rhs_kernelILj256ELj256ELj4E21rocsparse_complex_numIdEEEviiiPKT2_S5_S5_PS3_S5_PKi, .Lfunc_end349-_ZN9rocsparseL19gtsv_LBM_rhs_kernelILj256ELj256ELj4E21rocsparse_complex_numIdEEEviiiPKT2_S5_S5_PS3_S5_PKi
                                        ; -- End function
	.set _ZN9rocsparseL19gtsv_LBM_rhs_kernelILj256ELj256ELj4E21rocsparse_complex_numIdEEEviiiPKT2_S5_S5_PS3_S5_PKi.num_vgpr, 93
	.set _ZN9rocsparseL19gtsv_LBM_rhs_kernelILj256ELj256ELj4E21rocsparse_complex_numIdEEEviiiPKT2_S5_S5_PS3_S5_PKi.num_agpr, 0
	.set _ZN9rocsparseL19gtsv_LBM_rhs_kernelILj256ELj256ELj4E21rocsparse_complex_numIdEEEviiiPKT2_S5_S5_PS3_S5_PKi.numbered_sgpr, 32
	.set _ZN9rocsparseL19gtsv_LBM_rhs_kernelILj256ELj256ELj4E21rocsparse_complex_numIdEEEviiiPKT2_S5_S5_PS3_S5_PKi.num_named_barrier, 0
	.set _ZN9rocsparseL19gtsv_LBM_rhs_kernelILj256ELj256ELj4E21rocsparse_complex_numIdEEEviiiPKT2_S5_S5_PS3_S5_PKi.private_seg_size, 0
	.set _ZN9rocsparseL19gtsv_LBM_rhs_kernelILj256ELj256ELj4E21rocsparse_complex_numIdEEEviiiPKT2_S5_S5_PS3_S5_PKi.uses_vcc, 1
	.set _ZN9rocsparseL19gtsv_LBM_rhs_kernelILj256ELj256ELj4E21rocsparse_complex_numIdEEEviiiPKT2_S5_S5_PS3_S5_PKi.uses_flat_scratch, 0
	.set _ZN9rocsparseL19gtsv_LBM_rhs_kernelILj256ELj256ELj4E21rocsparse_complex_numIdEEEviiiPKT2_S5_S5_PS3_S5_PKi.has_dyn_sized_stack, 0
	.set _ZN9rocsparseL19gtsv_LBM_rhs_kernelILj256ELj256ELj4E21rocsparse_complex_numIdEEEviiiPKT2_S5_S5_PS3_S5_PKi.has_recursion, 0
	.set _ZN9rocsparseL19gtsv_LBM_rhs_kernelILj256ELj256ELj4E21rocsparse_complex_numIdEEEviiiPKT2_S5_S5_PS3_S5_PKi.has_indirect_call, 0
	.section	.AMDGPU.csdata,"",@progbits
; Kernel info:
; codeLenInByte = 5192
; TotalNumSgprs: 36
; NumVgprs: 93
; ScratchSize: 0
; MemoryBound: 1
; FloatMode: 240
; IeeeMode: 1
; LDSByteSize: 0 bytes/workgroup (compile time only)
; SGPRBlocks: 4
; VGPRBlocks: 23
; NumSGPRsForWavesPerEU: 36
; NumVGPRsForWavesPerEU: 93
; Occupancy: 2
; WaveLimiterHint : 0
; COMPUTE_PGM_RSRC2:SCRATCH_EN: 0
; COMPUTE_PGM_RSRC2:USER_SGPR: 6
; COMPUTE_PGM_RSRC2:TRAP_HANDLER: 0
; COMPUTE_PGM_RSRC2:TGID_X_EN: 1
; COMPUTE_PGM_RSRC2:TGID_Y_EN: 1
; COMPUTE_PGM_RSRC2:TGID_Z_EN: 0
; COMPUTE_PGM_RSRC2:TIDIG_COMP_CNT: 0
	.section	.text._ZN9rocsparseL19gtsv_LBM_rhs_kernelILj256ELj256ELj2E21rocsparse_complex_numIdEEEviiiPKT2_S5_S5_PS3_S5_PKi,"axG",@progbits,_ZN9rocsparseL19gtsv_LBM_rhs_kernelILj256ELj256ELj2E21rocsparse_complex_numIdEEEviiiPKT2_S5_S5_PS3_S5_PKi,comdat
	.globl	_ZN9rocsparseL19gtsv_LBM_rhs_kernelILj256ELj256ELj2E21rocsparse_complex_numIdEEEviiiPKT2_S5_S5_PS3_S5_PKi ; -- Begin function _ZN9rocsparseL19gtsv_LBM_rhs_kernelILj256ELj256ELj2E21rocsparse_complex_numIdEEEviiiPKT2_S5_S5_PS3_S5_PKi
	.p2align	8
	.type	_ZN9rocsparseL19gtsv_LBM_rhs_kernelILj256ELj256ELj2E21rocsparse_complex_numIdEEEviiiPKT2_S5_S5_PS3_S5_PKi,@function
_ZN9rocsparseL19gtsv_LBM_rhs_kernelILj256ELj256ELj2E21rocsparse_complex_numIdEEEviiiPKT2_S5_S5_PS3_S5_PKi: ; @_ZN9rocsparseL19gtsv_LBM_rhs_kernelILj256ELj256ELj2E21rocsparse_complex_numIdEEEviiiPKT2_S5_S5_PS3_S5_PKi
; %bb.0:
	s_load_dword s25, s[4:5], 0x0
	v_lshl_or_b32 v24, s6, 8, v0
	s_waitcnt lgkmcnt(0)
	s_lshr_b32 s24, s25, 8
	v_cmp_gt_i32_e32 vcc, s24, v24
	s_and_saveexec_b64 s[0:1], vcc
	s_cbranch_execz .LBB350_29
; %bb.1:
	s_load_dwordx4 s[8:11], s[4:5], 0x28
	s_load_dwordx2 s[16:17], s[4:5], 0x38
	s_cmp_lt_i32 s25, 1
	v_add_u32_e32 v47, s24, v24
	s_mul_i32 s26, s7, s25
	s_cbranch_scc1 .LBB350_21
; %bb.2:
	s_load_dwordx4 s[12:15], s[4:5], 0x10
	s_load_dwordx2 s[18:19], s[4:5], 0x20
	v_ashrrev_i32_e32 v25, 31, v24
	v_lshlrev_b64 v[0:1], 4, v[24:25]
	s_lshl_b32 s30, s26, 1
	s_waitcnt lgkmcnt(0)
	v_mov_b32_e32 v2, s15
	v_add_co_u32_e32 v0, vcc, s14, v0
	v_addc_co_u32_e32 v1, vcc, v2, v1, vcc
	global_load_dwordx4 v[4:7], v[0:1], off
	s_mul_i32 s27, s24, 0xff
	s_mul_i32 s28, s24, 0xfe
	s_lshl_b32 s29, s24, 1
	v_add_u32_e32 v49, s24, v47
	s_add_i32 s31, s30, s25
	v_mov_b32_e32 v26, 0
	s_mov_b64 s[20:21], 0
	v_mov_b32_e32 v50, s19
	v_mov_b32_e32 v48, 0
	s_branch .LBB350_5
.LBB350_3:                              ;   in Loop: Header=BB350_5 Depth=1
	s_or_b64 exec, exec, s[4:5]
	v_fma_f64 v[2:3], v[2:3], v[8:9], v[29:30]
	v_fma_f64 v[0:1], v[0:1], v[8:9], v[27:28]
	v_mul_f64 v[4:5], v[20:21], -v[2:3]
	v_mul_f64 v[6:7], v[20:21], v[0:1]
	v_fma_f64 v[0:1], v[0:1], v[10:11], v[4:5]
	v_fma_f64 v[2:3], v[2:3], v[10:11], v[6:7]
	v_mov_b32_e32 v10, s24
	v_add_f64 v[4:5], v[12:13], -v[0:1]
	v_add_f64 v[6:7], v[14:15], -v[2:3]
.LBB350_4:                              ;   in Loop: Header=BB350_5 Depth=1
	s_or_b64 exec, exec, s[2:3]
	v_add_u32_e32 v48, v10, v48
	v_cmp_le_i32_e32 vcc, s25, v48
	s_or_b64 s[20:21], vcc, s[20:21]
	s_andn2_b64 exec, exec, s[20:21]
	s_cbranch_execz .LBB350_20
.LBB350_5:                              ; =>This Inner Loop Header: Depth=1
	v_add_u32_e32 v31, v48, v24
	v_ashrrev_i32_e32 v32, 31, v31
	v_lshlrev_b64 v[0:1], 4, v[31:32]
	v_mov_b32_e32 v12, 0
	v_add_co_u32_e32 v0, vcc, s18, v0
	v_addc_co_u32_e32 v1, vcc, v50, v1, vcc
	global_load_dwordx4 v[8:11], v[0:1], off
	v_mov_b32_e32 v0, 0
	v_mov_b32_e32 v2, 0
	v_mov_b32_e32 v13, 0
	v_mov_b32_e32 v1, 0
	v_mov_b32_e32 v3, 0
	v_cmp_gt_u32_e64 s[0:1], s27, v48
	s_and_saveexec_b64 s[2:3], s[0:1]
	s_cbranch_execz .LBB350_7
; %bb.6:                                ;   in Loop: Header=BB350_5 Depth=1
	v_add_u32_e32 v0, v47, v48
	v_ashrrev_i32_e32 v1, 31, v0
	v_lshlrev_b64 v[0:1], 4, v[0:1]
	v_mov_b32_e32 v2, s13
	v_add_co_u32_e32 v0, vcc, s12, v0
	v_addc_co_u32_e32 v1, vcc, v2, v1, vcc
	global_load_dwordx4 v[0:3], v[0:1], off
.LBB350_7:                              ;   in Loop: Header=BB350_5 Depth=1
	s_or_b64 exec, exec, s[2:3]
	v_mov_b32_e32 v14, 0
	v_mov_b32_e32 v15, 0
	s_and_saveexec_b64 s[2:3], s[0:1]
	s_cbranch_execz .LBB350_9
; %bb.8:                                ;   in Loop: Header=BB350_5 Depth=1
	v_add_u32_e32 v12, v47, v48
	v_ashrrev_i32_e32 v13, 31, v12
	v_lshlrev_b64 v[12:13], 4, v[12:13]
	v_mov_b32_e32 v14, s15
	v_add_co_u32_e32 v12, vcc, s14, v12
	v_addc_co_u32_e32 v13, vcc, v14, v13, vcc
	global_load_dwordx4 v[12:15], v[12:13], off
.LBB350_9:                              ;   in Loop: Header=BB350_5 Depth=1
	s_or_b64 exec, exec, s[2:3]
	v_mov_b32_e32 v20, 0
	v_mov_b32_e32 v16, 0
	;; [unrolled: 1-line block ×6, first 2 shown]
	s_and_saveexec_b64 s[2:3], s[0:1]
	s_cbranch_execz .LBB350_11
; %bb.10:                               ;   in Loop: Header=BB350_5 Depth=1
	v_add_u32_e32 v16, v47, v48
	v_ashrrev_i32_e32 v17, 31, v16
	v_lshlrev_b64 v[16:17], 4, v[16:17]
	v_mov_b32_e32 v18, s19
	v_add_co_u32_e32 v16, vcc, s18, v16
	v_addc_co_u32_e32 v17, vcc, v18, v17, vcc
	global_load_dwordx4 v[16:19], v[16:17], off
.LBB350_11:                             ;   in Loop: Header=BB350_5 Depth=1
	s_or_b64 exec, exec, s[2:3]
	v_mov_b32_e32 v22, 0
	v_mov_b32_e32 v23, 0
	v_cmp_gt_u32_e64 s[2:3], s28, v48
	s_and_saveexec_b64 s[4:5], s[2:3]
	s_cbranch_execz .LBB350_13
; %bb.12:                               ;   in Loop: Header=BB350_5 Depth=1
	v_add_u32_e32 v20, v49, v48
	v_ashrrev_i32_e32 v21, 31, v20
	v_lshlrev_b64 v[20:21], 4, v[20:21]
	v_mov_b32_e32 v22, s13
	v_add_co_u32_e32 v20, vcc, s12, v20
	v_addc_co_u32_e32 v21, vcc, v22, v21, vcc
	global_load_dwordx4 v[20:23], v[20:21], off
.LBB350_13:                             ;   in Loop: Header=BB350_5 Depth=1
	s_or_b64 exec, exec, s[4:5]
	v_lshlrev_b64 v[27:28], 2, v[31:32]
	v_mov_b32_e32 v25, s17
	v_add_co_u32_e32 v27, vcc, s16, v27
	v_addc_co_u32_e32 v28, vcc, v25, v28, vcc
	global_load_dword v32, v[27:28], off
	s_waitcnt vmcnt(1)
	v_mul_f64 v[27:28], v[10:11], -v[2:3]
	v_mul_f64 v[29:30], v[10:11], v[0:1]
	v_cmp_ne_u32_e32 vcc, s27, v48
	v_add_u32_e32 v25, s30, v31
	v_add_u32_e32 v31, s31, v31
	s_waitcnt vmcnt(0)
	v_cmp_ne_u32_e64 s[4:5], 1, v32
	s_and_b64 s[4:5], vcc, s[4:5]
	s_and_saveexec_b64 s[6:7], s[4:5]
	s_xor_b64 s[22:23], exec, s[6:7]
	s_cbranch_execz .LBB350_17
; %bb.14:                               ;   in Loop: Header=BB350_5 Depth=1
	v_mul_f64 v[32:33], v[4:5], v[14:15]
	v_mul_f64 v[34:35], v[14:15], -v[6:7]
	v_fma_f64 v[29:30], v[2:3], v[8:9], v[29:30]
	v_fma_f64 v[27:28], v[0:1], v[8:9], v[27:28]
	v_lshlrev_b64 v[39:40], 4, v[25:26]
	v_mov_b32_e32 v53, s9
	v_add_u32_e32 v54, v47, v48
	v_add_u32_e32 v25, s30, v54
	v_fma_f64 v[32:33], v[6:7], v[12:13], v[32:33]
	v_fma_f64 v[34:35], v[4:5], v[12:13], v[34:35]
	v_mov_b32_e32 v58, s9
	v_mov_b32_e32 v57, s9
	;; [unrolled: 1-line block ×3, first 2 shown]
	v_add_f64 v[29:30], v[32:33], -v[29:30]
	v_add_f64 v[27:28], v[34:35], -v[27:28]
	v_mul_f64 v[32:33], v[29:30], v[29:30]
	v_fma_f64 v[35:36], v[27:28], v[27:28], v[32:33]
	v_mov_b32_e32 v32, v26
	v_lshlrev_b64 v[43:44], 4, v[31:32]
	v_div_scale_f64 v[41:42], s[4:5], v[35:36], v[35:36], 1.0
	v_div_scale_f64 v[45:46], vcc, 1.0, v[35:36], 1.0
	v_add_co_u32_e64 v55, s[4:5], s8, v39
	v_addc_co_u32_e64 v56, s[4:5], v53, v40, s[4:5]
	v_lshlrev_b64 v[39:40], 4, v[25:26]
	v_add_u32_e32 v25, s31, v54
	v_add_co_u32_e64 v61, s[6:7], s8, v39
	v_addc_co_u32_e64 v62, s[6:7], v58, v40, s[6:7]
	v_add_co_u32_e64 v59, s[4:5], s8, v43
	v_rcp_f64_e32 v[33:34], v[41:42]
	v_addc_co_u32_e64 v60, s[4:5], v57, v44, s[4:5]
	v_lshlrev_b64 v[43:44], 4, v[25:26]
	v_add_co_u32_e64 v63, s[4:5], s8, v43
	v_addc_co_u32_e64 v64, s[4:5], v64, v44, s[4:5]
	v_fma_f64 v[37:38], -v[41:42], v[33:34], 1.0
	v_fma_f64 v[37:38], v[33:34], v[37:38], v[33:34]
	global_load_dwordx4 v[31:34], v[55:56], off
	v_fma_f64 v[51:52], -v[41:42], v[37:38], 1.0
	v_fma_f64 v[51:52], v[37:38], v[51:52], v[37:38]
	global_load_dwordx4 v[37:40], v[61:62], off
	v_mul_f64 v[53:54], v[45:46], v[51:52]
	v_fma_f64 v[45:46], -v[41:42], v[53:54], v[45:46]
	global_load_dwordx4 v[41:44], v[59:60], off
	v_div_fmas_f64 v[45:46], v[45:46], v[51:52], v[53:54]
	global_load_dwordx4 v[51:54], v[63:64], off
	v_div_fixup_f64 v[35:36], v[45:46], v[35:36], 1.0
	v_fma_f64 v[45:46], v[27:28], 0, -v[29:30]
	v_fma_f64 v[27:28], v[29:30], 0, v[27:28]
	v_mul_f64 v[29:30], v[45:46], v[35:36]
	v_mul_f64 v[27:28], v[27:28], v[35:36]
	s_waitcnt vmcnt(3)
	v_mul_f64 v[35:36], v[29:30], -v[33:34]
	v_mul_f64 v[45:46], v[29:30], v[31:32]
	v_fma_f64 v[31:32], v[31:32], v[27:28], v[35:36]
	v_fma_f64 v[35:36], v[33:34], v[27:28], v[45:46]
	s_waitcnt vmcnt(2)
	v_mul_f64 v[33:34], v[29:30], -v[39:40]
	v_mul_f64 v[45:46], v[29:30], v[37:38]
	v_fma_f64 v[33:34], v[37:38], v[27:28], v[33:34]
	v_fma_f64 v[37:38], v[39:40], v[27:28], v[45:46]
	;; [unrolled: 5-line block ×3, first 2 shown]
	s_waitcnt vmcnt(0)
	v_mul_f64 v[41:42], v[29:30], -v[53:54]
	v_mul_f64 v[45:46], v[29:30], v[51:52]
	v_mul_f64 v[57:58], v[43:44], -v[14:15]
	v_fma_f64 v[41:42], v[51:52], v[27:28], v[41:42]
	v_mul_f64 v[51:52], v[35:36], -v[14:15]
	v_fma_f64 v[45:46], v[53:54], v[27:28], v[45:46]
	v_mul_f64 v[53:54], v[12:13], v[35:36]
	v_fma_f64 v[57:58], v[12:13], v[39:40], v[57:58]
	v_fma_f64 v[51:52], v[12:13], v[31:32], v[51:52]
	v_mul_f64 v[12:13], v[12:13], v[43:44]
	v_fma_f64 v[53:54], v[14:15], v[31:32], v[53:54]
	v_fma_f64 v[65:66], v[14:15], v[39:40], v[12:13]
	v_mul_f64 v[12:13], v[37:38], -v[10:11]
	v_mul_f64 v[14:15], v[8:9], v[37:38]
	v_fma_f64 v[12:13], v[8:9], v[33:34], v[12:13]
	v_fma_f64 v[14:15], v[10:11], v[33:34], v[14:15]
	v_add_f64 v[12:13], v[51:52], -v[12:13]
	v_mul_f64 v[51:52], v[45:46], -v[10:11]
	v_add_f64 v[14:15], v[53:54], -v[14:15]
	v_mul_f64 v[53:54], v[35:36], -v[0:1]
	v_fma_f64 v[51:52], v[8:9], v[41:42], v[51:52]
	v_mul_f64 v[8:9], v[8:9], v[45:46]
	global_store_dwordx4 v[55:56], v[12:15], off
	v_mul_f64 v[55:56], v[37:38], -v[6:7]
	v_mul_f64 v[14:15], v[2:3], v[35:36]
	v_fma_f64 v[53:54], -v[2:3], v[31:32], v[53:54]
	v_fma_f64 v[8:9], v[10:11], v[41:42], v[8:9]
	v_add_f64 v[10:11], v[57:58], -v[51:52]
	v_fma_f64 v[51:52], v[4:5], v[33:34], v[55:56]
	v_fma_f64 v[14:15], -v[0:1], v[31:32], v[14:15]
	v_mul_f64 v[55:56], v[2:3], v[43:44]
	v_mul_f64 v[57:58], v[4:5], v[45:46]
	v_add_f64 v[12:13], v[65:66], -v[8:9]
	v_mul_f64 v[8:9], v[4:5], v[37:38]
	v_add_f64 v[51:52], v[14:15], v[51:52]
	v_mul_f64 v[14:15], v[45:46], -v[6:7]
	v_fma_f64 v[55:56], -v[0:1], v[39:40], v[55:56]
	v_fma_f64 v[57:58], v[6:7], v[41:42], v[57:58]
	global_store_dwordx4 v[59:60], v[10:13], off
	v_fma_f64 v[8:9], v[6:7], v[33:34], v[8:9]
	v_mov_b32_e32 v10, 0
	v_mov_b32_e32 v11, 0
	v_fma_f64 v[14:15], v[4:5], v[41:42], v[14:15]
	v_add_f64 v[53:54], v[53:54], v[8:9]
	v_mul_f64 v[8:9], v[43:44], -v[0:1]
	v_add_f64 v[55:56], v[55:56], v[14:15]
	v_fma_f64 v[8:9], -v[2:3], v[39:40], v[8:9]
	v_add_f64 v[57:58], v[8:9], v[57:58]
	v_mov_b32_e32 v8, 0
	v_mov_b32_e32 v9, 0
	global_store_dwordx4 v[61:62], v[51:54], off
	global_store_dwordx4 v[63:64], v[55:58], off
	s_and_saveexec_b64 s[4:5], s[2:3]
	s_cbranch_execz .LBB350_16
; %bb.15:                               ;   in Loop: Header=BB350_5 Depth=1
	v_add_u32_e32 v51, v49, v48
	v_add_u32_e32 v25, s30, v51
	v_lshlrev_b64 v[8:9], 4, v[25:26]
	v_mov_b32_e32 v10, s9
	v_add_co_u32_e32 v55, vcc, s8, v8
	v_add_u32_e32 v25, s31, v51
	v_addc_co_u32_e32 v56, vcc, v10, v9, vcc
	v_lshlrev_b64 v[8:9], 4, v[25:26]
	v_ashrrev_i32_e32 v52, 31, v51
	v_add_co_u32_e32 v57, vcc, s8, v8
	v_lshlrev_b64 v[51:52], 4, v[51:52]
	v_addc_co_u32_e32 v58, vcc, v10, v9, vcc
	v_mov_b32_e32 v25, s15
	v_add_co_u32_e32 v51, vcc, s14, v51
	v_addc_co_u32_e32 v52, vcc, v25, v52, vcc
	global_load_dwordx4 v[8:11], v[55:56], off
	global_load_dwordx4 v[12:15], v[57:58], off
	v_mul_f64 v[59:60], v[22:23], -v[0:1]
	global_load_dwordx4 v[51:54], v[51:52], off
	v_mul_f64 v[61:62], v[2:3], v[22:23]
	v_mul_f64 v[63:64], v[4:5], v[22:23]
	v_mul_f64 v[65:66], v[22:23], -v[6:7]
	v_mul_f64 v[67:68], v[6:7], -v[22:23]
	v_mul_f64 v[69:70], v[6:7], v[20:21]
	v_fma_f64 v[2:3], -v[2:3], v[20:21], v[59:60]
	v_fma_f64 v[0:1], -v[0:1], v[20:21], v[61:62]
	v_fma_f64 v[6:7], v[6:7], v[20:21], v[63:64]
	v_fma_f64 v[59:60], v[4:5], v[20:21], v[65:66]
	;; [unrolled: 1-line block ×4, first 2 shown]
	v_mul_f64 v[22:23], v[2:3], v[35:36]
	v_mul_f64 v[65:66], v[2:3], v[43:44]
	v_mul_f64 v[35:36], v[35:36], -v[0:1]
	v_mul_f64 v[61:62], v[37:38], -v[6:7]
	v_mul_f64 v[37:38], v[59:60], v[37:38]
	v_mul_f64 v[63:64], v[18:19], v[20:21]
	v_mul_f64 v[18:19], v[18:19], -v[4:5]
	v_mul_f64 v[43:44], v[43:44], -v[0:1]
	;; [unrolled: 1-line block ×3, first 2 shown]
	v_mul_f64 v[45:46], v[59:60], v[45:46]
	v_fma_f64 v[22:23], -v[0:1], v[31:32], v[22:23]
	v_fma_f64 v[31:32], -v[2:3], v[31:32], v[35:36]
	;; [unrolled: 1-line block ×3, first 2 shown]
	v_fma_f64 v[4:5], v[4:5], v[16:17], v[63:64]
	v_fma_f64 v[16:17], v[20:21], v[16:17], v[18:19]
	;; [unrolled: 1-line block ×4, first 2 shown]
	v_fma_f64 v[2:3], -v[2:3], v[39:40], v[43:44]
	v_fma_f64 v[33:34], v[59:60], v[41:42], v[67:68]
	v_fma_f64 v[6:7], v[6:7], v[41:42], v[45:46]
	v_mul_f64 v[35:36], v[29:30], -v[4:5]
	v_mul_f64 v[29:30], v[29:30], v[16:17]
	v_add_f64 v[18:19], v[22:23], -v[18:19]
	v_add_f64 v[20:21], v[31:32], -v[20:21]
	v_add_f64 v[22:23], v[0:1], -v[33:34]
	v_add_f64 v[6:7], v[2:3], -v[6:7]
	v_fma_f64 v[16:17], v[16:17], v[27:28], v[35:36]
	v_fma_f64 v[27:28], v[4:5], v[27:28], v[29:30]
	s_waitcnt vmcnt(2)
	v_add_f64 v[0:1], v[18:19], v[8:9]
	v_add_f64 v[2:3], v[20:21], v[10:11]
	s_waitcnt vmcnt(1)
	v_add_f64 v[4:5], v[22:23], v[12:13]
	s_waitcnt vmcnt(0)
	v_add_f64 v[10:11], v[51:52], -v[16:17]
	v_add_f64 v[8:9], v[53:54], -v[27:28]
	v_add_f64 v[6:7], v[6:7], v[14:15]
	global_store_dwordx4 v[55:56], v[0:3], off
	global_store_dwordx4 v[57:58], v[4:7], off
.LBB350_16:                             ;   in Loop: Header=BB350_5 Depth=1
	s_or_b64 exec, exec, s[4:5]
	v_mov_b32_e32 v6, v8
	v_mov_b32_e32 v4, v10
	v_mov_b32_e32 v7, v9
	v_mov_b32_e32 v5, v11
                                        ; implicit-def: $vgpr0_vgpr1
                                        ; implicit-def: $vgpr12_vgpr13
                                        ; implicit-def: $vgpr8_vgpr9
                                        ; implicit-def: $vgpr27_vgpr28
                                        ; implicit-def: $vgpr29_vgpr30
                                        ; implicit-def: $vgpr31
.LBB350_17:                             ;   in Loop: Header=BB350_5 Depth=1
	s_or_saveexec_b64 s[2:3], s[22:23]
	v_mov_b32_e32 v10, s29
	s_xor_b64 exec, exec, s[2:3]
	s_cbranch_execz .LBB350_4
; %bb.18:                               ;   in Loop: Header=BB350_5 Depth=1
	v_mul_f64 v[10:11], v[6:7], v[6:7]
	v_lshlrev_b64 v[16:17], 4, v[25:26]
	v_mov_b32_e32 v32, v26
	v_mov_b32_e32 v18, s9
	v_lshlrev_b64 v[31:32], 4, v[31:32]
	v_add_co_u32_e32 v35, vcc, s8, v16
	v_addc_co_u32_e32 v36, vcc, v18, v17, vcc
	v_fma_f64 v[10:11], v[4:5], v[4:5], v[10:11]
	v_mov_b32_e32 v25, s9
	v_add_co_u32_e32 v39, vcc, s8, v31
	v_addc_co_u32_e32 v40, vcc, v25, v32, vcc
	global_load_dwordx4 v[16:19], v[35:36], off
	global_load_dwordx4 v[31:34], v[39:40], off
	v_div_scale_f64 v[20:21], s[4:5], v[10:11], v[10:11], 1.0
	v_rcp_f64_e32 v[22:23], v[20:21]
	v_fma_f64 v[37:38], -v[20:21], v[22:23], 1.0
	v_fma_f64 v[22:23], v[22:23], v[37:38], v[22:23]
	v_div_scale_f64 v[37:38], vcc, 1.0, v[10:11], 1.0
	v_fma_f64 v[41:42], -v[20:21], v[22:23], 1.0
	v_fma_f64 v[22:23], v[22:23], v[41:42], v[22:23]
	v_mul_f64 v[41:42], v[37:38], v[22:23]
	v_fma_f64 v[20:21], -v[20:21], v[41:42], v[37:38]
	v_div_fmas_f64 v[20:21], v[20:21], v[22:23], v[41:42]
	v_fma_f64 v[22:23], v[4:5], 0, -v[6:7]
	v_fma_f64 v[4:5], v[6:7], 0, v[4:5]
	v_div_fixup_f64 v[10:11], v[20:21], v[10:11], 1.0
	v_mul_f64 v[20:21], v[22:23], v[10:11]
	v_mul_f64 v[10:11], v[4:5], v[10:11]
	s_waitcnt vmcnt(1)
	v_mul_f64 v[4:5], v[20:21], -v[18:19]
	v_mul_f64 v[6:7], v[20:21], v[16:17]
	s_waitcnt vmcnt(0)
	v_mul_f64 v[22:23], v[20:21], -v[33:34]
	v_mul_f64 v[37:38], v[20:21], v[31:32]
	v_fma_f64 v[16:17], v[16:17], v[10:11], v[4:5]
	v_fma_f64 v[18:19], v[18:19], v[10:11], v[6:7]
	;; [unrolled: 1-line block ×4, first 2 shown]
	global_store_dwordx4 v[35:36], v[16:19], off
	global_store_dwordx4 v[39:40], v[4:7], off
	s_and_saveexec_b64 s[4:5], s[0:1]
	s_cbranch_execz .LBB350_3
; %bb.19:                               ;   in Loop: Header=BB350_5 Depth=1
	v_add_u32_e32 v35, v47, v48
	v_add_u32_e32 v25, s30, v35
	v_lshlrev_b64 v[22:23], 4, v[25:26]
	v_mov_b32_e32 v25, s9
	v_add_co_u32_e32 v22, vcc, s8, v22
	v_addc_co_u32_e32 v23, vcc, v25, v23, vcc
	v_add_u32_e32 v25, s31, v35
	v_lshlrev_b64 v[35:36], 4, v[25:26]
	v_mov_b32_e32 v25, s9
	v_add_co_u32_e32 v39, vcc, s8, v35
	global_load_dwordx4 v[31:34], v[22:23], off
	v_addc_co_u32_e32 v40, vcc, v25, v36, vcc
	global_load_dwordx4 v[35:38], v[39:40], off
	s_waitcnt vmcnt(1)
	v_fma_f64 v[31:32], -v[0:1], v[16:17], v[31:32]
	v_fma_f64 v[33:34], -v[2:3], v[16:17], v[33:34]
	s_waitcnt vmcnt(0)
	v_fma_f64 v[35:36], -v[0:1], v[4:5], v[35:36]
	v_fma_f64 v[37:38], -v[2:3], v[4:5], v[37:38]
	v_fma_f64 v[16:17], v[2:3], v[18:19], v[31:32]
	v_fma_f64 v[18:19], -v[0:1], v[18:19], v[33:34]
	v_fma_f64 v[4:5], v[2:3], v[6:7], v[35:36]
	v_fma_f64 v[6:7], -v[0:1], v[6:7], v[37:38]
	global_store_dwordx4 v[22:23], v[16:19], off
	global_store_dwordx4 v[39:40], v[4:7], off
	s_branch .LBB350_3
.LBB350_20:
	s_or_b64 exec, exec, s[20:21]
	s_branch .LBB350_22
.LBB350_21:
	v_mov_b32_e32 v48, 0
.LBB350_22:
	v_subrev_u32_e32 v2, s24, v48
	v_add_u32_e32 v0, v2, v24
	v_ashrrev_i32_e32 v1, 31, v0
	v_lshlrev_b64 v[0:1], 2, v[0:1]
	s_waitcnt lgkmcnt(0)
	v_mov_b32_e32 v3, s17
	v_add_co_u32_e32 v0, vcc, s16, v0
	v_addc_co_u32_e32 v1, vcc, v3, v1, vcc
	s_waitcnt vmcnt(0)
	buffer_wbinvl1_vol
	global_load_dword v0, v[0:1], off
	s_waitcnt vmcnt(0)
	v_mul_lo_u32 v0, v0, s24
	v_sub_u32_e32 v8, v2, v0
	v_cmp_lt_i32_e32 vcc, -1, v8
	s_and_b64 exec, exec, vcc
	s_cbranch_execz .LBB350_29
; %bb.23:
	s_lshl_b32 s4, s26, 1
	s_add_i32 s5, s4, s25
	s_lshl_b32 s6, s24, 1
	s_mov_b64 s[0:1], 0
	v_mov_b32_e32 v9, s17
	v_mov_b32_e32 v10, s11
	;; [unrolled: 1-line block ×3, first 2 shown]
	s_branch .LBB350_25
.LBB350_24:                             ;   in Loop: Header=BB350_25 Depth=1
	s_or_b64 exec, exec, s[2:3]
	v_sub_u32_e32 v8, v8, v4
	v_cmp_gt_i32_e32 vcc, 0, v8
	s_or_b64 s[0:1], vcc, s[0:1]
	s_andn2_b64 exec, exec, s[0:1]
	s_cbranch_execz .LBB350_29
.LBB350_25:                             ; =>This Inner Loop Header: Depth=1
	v_add_u32_e32 v6, v8, v24
	v_ashrrev_i32_e32 v7, 31, v6
	s_waitcnt vmcnt(0)
	v_lshlrev_b64 v[0:1], 2, v[6:7]
	v_add_co_u32_e32 v0, vcc, s16, v0
	v_addc_co_u32_e32 v1, vcc, v9, v1, vcc
	global_load_dword v4, v[0:1], off
	v_lshlrev_b64 v[0:1], 4, v[6:7]
	v_add_co_u32_e32 v0, vcc, s10, v0
	v_addc_co_u32_e32 v1, vcc, v10, v1, vcc
	global_load_dwordx4 v[0:3], v[0:1], off
	s_waitcnt vmcnt(1)
	v_cmp_ne_u32_e32 vcc, 1, v4
	s_and_saveexec_b64 s[2:3], vcc
	s_xor_b64 s[2:3], exec, s[2:3]
	s_cbranch_execz .LBB350_27
; %bb.26:                               ;   in Loop: Header=BB350_25 Depth=1
	v_add_u32_e32 v7, v47, v8
	v_add_u32_e32 v4, s4, v7
	v_lshlrev_b64 v[11:12], 4, v[4:5]
	v_mov_b32_e32 v4, s9
	v_add_co_u32_e32 v11, vcc, s8, v11
	v_addc_co_u32_e32 v12, vcc, v4, v12, vcc
	v_add_u32_e32 v4, s5, v7
	v_lshlrev_b64 v[19:20], 4, v[4:5]
	v_add_u32_e32 v4, s4, v6
	v_lshlrev_b64 v[15:16], 4, v[4:5]
	v_mov_b32_e32 v4, s9
	v_add_co_u32_e32 v25, vcc, s8, v15
	v_addc_co_u32_e32 v26, vcc, v4, v16, vcc
	global_load_dwordx4 v[11:14], v[11:12], off
	v_add_co_u32_e32 v19, vcc, s8, v19
	global_load_dwordx4 v[15:18], v[25:26], off
	v_addc_co_u32_e32 v20, vcc, v4, v20, vcc
	global_load_dwordx4 v[19:22], v[19:20], off
	v_add_u32_e32 v4, s5, v6
	v_lshlrev_b64 v[6:7], 4, v[4:5]
	v_mov_b32_e32 v23, s9
	v_add_co_u32_e32 v6, vcc, s8, v6
	v_addc_co_u32_e32 v7, vcc, v23, v7, vcc
	v_subrev_u32_e32 v4, s24, v8
	v_mov_b32_e32 v23, s11
	v_mov_b32_e32 v28, s9
	s_waitcnt vmcnt(1)
	v_fma_f64 v[15:16], -v[0:1], v[11:12], v[15:16]
	v_fma_f64 v[17:18], -v[2:3], v[11:12], v[17:18]
	v_fma_f64 v[15:16], v[2:3], v[13:14], v[15:16]
	v_fma_f64 v[17:18], -v[0:1], v[13:14], v[17:18]
	global_store_dwordx4 v[25:26], v[15:18], off
	global_load_dwordx4 v[15:18], v[6:7], off
	v_add_u32_e32 v25, v4, v24
	v_ashrrev_i32_e32 v26, 31, v25
	v_lshlrev_b64 v[26:27], 4, v[25:26]
	v_add_u32_e32 v4, s4, v25
	v_add_co_u32_e32 v26, vcc, s10, v26
	v_addc_co_u32_e32 v27, vcc, v23, v27, vcc
	s_waitcnt vmcnt(0)
	v_fma_f64 v[15:16], -v[0:1], v[19:20], v[15:16]
	v_fma_f64 v[17:18], -v[2:3], v[19:20], v[17:18]
	v_fma_f64 v[15:16], v[2:3], v[21:22], v[15:16]
	v_fma_f64 v[17:18], -v[0:1], v[21:22], v[17:18]
	global_load_dwordx4 v[0:3], v[26:27], off
	v_lshlrev_b64 v[26:27], 4, v[4:5]
	v_add_u32_e32 v4, s5, v25
	v_add_co_u32_e32 v26, vcc, s8, v26
	v_addc_co_u32_e32 v27, vcc, v28, v27, vcc
	global_store_dwordx4 v[6:7], v[15:18], off
	global_load_dwordx4 v[15:18], v[26:27], off
	s_waitcnt vmcnt(0)
	v_fma_f64 v[6:7], -v[0:1], v[11:12], v[15:16]
	v_fma_f64 v[15:16], -v[2:3], v[11:12], v[17:18]
	v_fma_f64 v[11:12], v[2:3], v[13:14], v[6:7]
	v_fma_f64 v[13:14], -v[0:1], v[13:14], v[15:16]
	v_lshlrev_b64 v[6:7], 4, v[4:5]
	v_mov_b32_e32 v15, s9
	v_add_co_u32_e32 v6, vcc, s8, v6
	v_addc_co_u32_e32 v7, vcc, v15, v7, vcc
	global_store_dwordx4 v[26:27], v[11:14], off
	global_load_dwordx4 v[11:14], v[6:7], off
	s_waitcnt vmcnt(0)
	v_fma_f64 v[11:12], -v[0:1], v[19:20], v[11:12]
	v_fma_f64 v[13:14], -v[2:3], v[19:20], v[13:14]
	v_fma_f64 v[11:12], v[2:3], v[21:22], v[11:12]
	v_fma_f64 v[13:14], -v[0:1], v[21:22], v[13:14]
                                        ; implicit-def: $vgpr0_vgpr1
	global_store_dwordx4 v[6:7], v[11:14], off
                                        ; implicit-def: $vgpr6
.LBB350_27:                             ;   in Loop: Header=BB350_25 Depth=1
	s_or_saveexec_b64 s[2:3], s[2:3]
	v_mov_b32_e32 v4, s6
	s_xor_b64 exec, exec, s[2:3]
	s_cbranch_execz .LBB350_24
; %bb.28:                               ;   in Loop: Header=BB350_25 Depth=1
	v_add_u32_e32 v7, v47, v8
	v_add_u32_e32 v4, s4, v7
	v_lshlrev_b64 v[11:12], 4, v[4:5]
	v_mov_b32_e32 v4, s9
	v_add_co_u32_e32 v19, vcc, s8, v11
	v_addc_co_u32_e32 v20, vcc, v4, v12, vcc
	v_add_u32_e32 v4, s4, v6
	v_lshlrev_b64 v[11:12], 4, v[4:5]
	v_mov_b32_e32 v4, s9
	v_add_co_u32_e32 v21, vcc, s8, v11
	v_addc_co_u32_e32 v22, vcc, v4, v12, vcc
	global_load_dwordx4 v[11:14], v[19:20], off
	global_load_dwordx4 v[15:18], v[21:22], off
	v_add_u32_e32 v4, s5, v7
	v_lshlrev_b64 v[19:20], 4, v[4:5]
	v_add_u32_e32 v4, s5, v6
	v_mov_b32_e32 v23, s9
	v_lshlrev_b64 v[6:7], 4, v[4:5]
	v_add_co_u32_e32 v19, vcc, s8, v19
	v_addc_co_u32_e32 v20, vcc, v23, v20, vcc
	v_mov_b32_e32 v25, s9
	v_add_co_u32_e32 v6, vcc, s8, v6
	v_addc_co_u32_e32 v7, vcc, v25, v7, vcc
	v_mov_b32_e32 v4, s24
	s_waitcnt vmcnt(0)
	v_fma_f64 v[15:16], -v[0:1], v[11:12], v[15:16]
	v_fma_f64 v[17:18], -v[2:3], v[11:12], v[17:18]
	v_fma_f64 v[11:12], v[2:3], v[13:14], v[15:16]
	v_fma_f64 v[13:14], -v[0:1], v[13:14], v[17:18]
	global_store_dwordx4 v[21:22], v[11:14], off
	global_load_dwordx4 v[11:14], v[19:20], off
	s_nop 0
	global_load_dwordx4 v[15:18], v[6:7], off
	s_waitcnt vmcnt(0)
	v_fma_f64 v[15:16], -v[0:1], v[11:12], v[15:16]
	v_fma_f64 v[17:18], -v[2:3], v[11:12], v[17:18]
	v_fma_f64 v[11:12], v[2:3], v[13:14], v[15:16]
	v_fma_f64 v[13:14], -v[0:1], v[13:14], v[17:18]
	global_store_dwordx4 v[6:7], v[11:14], off
	s_branch .LBB350_24
.LBB350_29:
	s_endpgm
	.section	.rodata,"a",@progbits
	.p2align	6, 0x0
	.amdhsa_kernel _ZN9rocsparseL19gtsv_LBM_rhs_kernelILj256ELj256ELj2E21rocsparse_complex_numIdEEEviiiPKT2_S5_S5_PS3_S5_PKi
		.amdhsa_group_segment_fixed_size 0
		.amdhsa_private_segment_fixed_size 0
		.amdhsa_kernarg_size 64
		.amdhsa_user_sgpr_count 6
		.amdhsa_user_sgpr_private_segment_buffer 1
		.amdhsa_user_sgpr_dispatch_ptr 0
		.amdhsa_user_sgpr_queue_ptr 0
		.amdhsa_user_sgpr_kernarg_segment_ptr 1
		.amdhsa_user_sgpr_dispatch_id 0
		.amdhsa_user_sgpr_flat_scratch_init 0
		.amdhsa_user_sgpr_private_segment_size 0
		.amdhsa_uses_dynamic_stack 0
		.amdhsa_system_sgpr_private_segment_wavefront_offset 0
		.amdhsa_system_sgpr_workgroup_id_x 1
		.amdhsa_system_sgpr_workgroup_id_y 1
		.amdhsa_system_sgpr_workgroup_id_z 0
		.amdhsa_system_sgpr_workgroup_info 0
		.amdhsa_system_vgpr_workitem_id 0
		.amdhsa_next_free_vgpr 71
		.amdhsa_next_free_sgpr 32
		.amdhsa_reserve_vcc 1
		.amdhsa_reserve_flat_scratch 0
		.amdhsa_float_round_mode_32 0
		.amdhsa_float_round_mode_16_64 0
		.amdhsa_float_denorm_mode_32 3
		.amdhsa_float_denorm_mode_16_64 3
		.amdhsa_dx10_clamp 1
		.amdhsa_ieee_mode 1
		.amdhsa_fp16_overflow 0
		.amdhsa_exception_fp_ieee_invalid_op 0
		.amdhsa_exception_fp_denorm_src 0
		.amdhsa_exception_fp_ieee_div_zero 0
		.amdhsa_exception_fp_ieee_overflow 0
		.amdhsa_exception_fp_ieee_underflow 0
		.amdhsa_exception_fp_ieee_inexact 0
		.amdhsa_exception_int_div_zero 0
	.end_amdhsa_kernel
	.section	.text._ZN9rocsparseL19gtsv_LBM_rhs_kernelILj256ELj256ELj2E21rocsparse_complex_numIdEEEviiiPKT2_S5_S5_PS3_S5_PKi,"axG",@progbits,_ZN9rocsparseL19gtsv_LBM_rhs_kernelILj256ELj256ELj2E21rocsparse_complex_numIdEEEviiiPKT2_S5_S5_PS3_S5_PKi,comdat
.Lfunc_end350:
	.size	_ZN9rocsparseL19gtsv_LBM_rhs_kernelILj256ELj256ELj2E21rocsparse_complex_numIdEEEviiiPKT2_S5_S5_PS3_S5_PKi, .Lfunc_end350-_ZN9rocsparseL19gtsv_LBM_rhs_kernelILj256ELj256ELj2E21rocsparse_complex_numIdEEEviiiPKT2_S5_S5_PS3_S5_PKi
                                        ; -- End function
	.set _ZN9rocsparseL19gtsv_LBM_rhs_kernelILj256ELj256ELj2E21rocsparse_complex_numIdEEEviiiPKT2_S5_S5_PS3_S5_PKi.num_vgpr, 71
	.set _ZN9rocsparseL19gtsv_LBM_rhs_kernelILj256ELj256ELj2E21rocsparse_complex_numIdEEEviiiPKT2_S5_S5_PS3_S5_PKi.num_agpr, 0
	.set _ZN9rocsparseL19gtsv_LBM_rhs_kernelILj256ELj256ELj2E21rocsparse_complex_numIdEEEviiiPKT2_S5_S5_PS3_S5_PKi.numbered_sgpr, 32
	.set _ZN9rocsparseL19gtsv_LBM_rhs_kernelILj256ELj256ELj2E21rocsparse_complex_numIdEEEviiiPKT2_S5_S5_PS3_S5_PKi.num_named_barrier, 0
	.set _ZN9rocsparseL19gtsv_LBM_rhs_kernelILj256ELj256ELj2E21rocsparse_complex_numIdEEEviiiPKT2_S5_S5_PS3_S5_PKi.private_seg_size, 0
	.set _ZN9rocsparseL19gtsv_LBM_rhs_kernelILj256ELj256ELj2E21rocsparse_complex_numIdEEEviiiPKT2_S5_S5_PS3_S5_PKi.uses_vcc, 1
	.set _ZN9rocsparseL19gtsv_LBM_rhs_kernelILj256ELj256ELj2E21rocsparse_complex_numIdEEEviiiPKT2_S5_S5_PS3_S5_PKi.uses_flat_scratch, 0
	.set _ZN9rocsparseL19gtsv_LBM_rhs_kernelILj256ELj256ELj2E21rocsparse_complex_numIdEEEviiiPKT2_S5_S5_PS3_S5_PKi.has_dyn_sized_stack, 0
	.set _ZN9rocsparseL19gtsv_LBM_rhs_kernelILj256ELj256ELj2E21rocsparse_complex_numIdEEEviiiPKT2_S5_S5_PS3_S5_PKi.has_recursion, 0
	.set _ZN9rocsparseL19gtsv_LBM_rhs_kernelILj256ELj256ELj2E21rocsparse_complex_numIdEEEviiiPKT2_S5_S5_PS3_S5_PKi.has_indirect_call, 0
	.section	.AMDGPU.csdata,"",@progbits
; Kernel info:
; codeLenInByte = 3404
; TotalNumSgprs: 36
; NumVgprs: 71
; ScratchSize: 0
; MemoryBound: 1
; FloatMode: 240
; IeeeMode: 1
; LDSByteSize: 0 bytes/workgroup (compile time only)
; SGPRBlocks: 4
; VGPRBlocks: 17
; NumSGPRsForWavesPerEU: 36
; NumVGPRsForWavesPerEU: 71
; Occupancy: 3
; WaveLimiterHint : 0
; COMPUTE_PGM_RSRC2:SCRATCH_EN: 0
; COMPUTE_PGM_RSRC2:USER_SGPR: 6
; COMPUTE_PGM_RSRC2:TRAP_HANDLER: 0
; COMPUTE_PGM_RSRC2:TGID_X_EN: 1
; COMPUTE_PGM_RSRC2:TGID_Y_EN: 1
; COMPUTE_PGM_RSRC2:TGID_Z_EN: 0
; COMPUTE_PGM_RSRC2:TIDIG_COMP_CNT: 0
	.section	.text._ZN9rocsparseL19gtsv_LBM_rhs_kernelILj256ELj256ELj1E21rocsparse_complex_numIdEEEviiiPKT2_S5_S5_PS3_S5_PKi,"axG",@progbits,_ZN9rocsparseL19gtsv_LBM_rhs_kernelILj256ELj256ELj1E21rocsparse_complex_numIdEEEviiiPKT2_S5_S5_PS3_S5_PKi,comdat
	.globl	_ZN9rocsparseL19gtsv_LBM_rhs_kernelILj256ELj256ELj1E21rocsparse_complex_numIdEEEviiiPKT2_S5_S5_PS3_S5_PKi ; -- Begin function _ZN9rocsparseL19gtsv_LBM_rhs_kernelILj256ELj256ELj1E21rocsparse_complex_numIdEEEviiiPKT2_S5_S5_PS3_S5_PKi
	.p2align	8
	.type	_ZN9rocsparseL19gtsv_LBM_rhs_kernelILj256ELj256ELj1E21rocsparse_complex_numIdEEEviiiPKT2_S5_S5_PS3_S5_PKi,@function
_ZN9rocsparseL19gtsv_LBM_rhs_kernelILj256ELj256ELj1E21rocsparse_complex_numIdEEEviiiPKT2_S5_S5_PS3_S5_PKi: ; @_ZN9rocsparseL19gtsv_LBM_rhs_kernelILj256ELj256ELj1E21rocsparse_complex_numIdEEEviiiPKT2_S5_S5_PS3_S5_PKi
; %bb.0:
	s_load_dword s24, s[4:5], 0x0
	v_lshl_or_b32 v24, s6, 8, v0
	s_waitcnt lgkmcnt(0)
	s_lshr_b32 s22, s24, 8
	v_cmp_gt_i32_e32 vcc, s22, v24
	s_and_saveexec_b64 s[0:1], vcc
	s_cbranch_execz .LBB351_29
; %bb.1:
	s_load_dwordx4 s[8:11], s[4:5], 0x28
	s_load_dwordx2 s[16:17], s[4:5], 0x38
	s_cmp_lt_i32 s24, 1
	s_mul_i32 s23, s24, s7
	s_cbranch_scc1 .LBB351_21
; %bb.2:
	s_load_dwordx4 s[12:15], s[4:5], 0x10
	s_load_dwordx2 s[6:7], s[4:5], 0x20
	v_ashrrev_i32_e32 v25, 31, v24
	v_lshlrev_b64 v[0:1], 4, v[24:25]
	v_add_u32_e32 v40, s22, v24
	s_waitcnt lgkmcnt(0)
	v_mov_b32_e32 v2, s15
	v_add_co_u32_e32 v0, vcc, s14, v0
	v_addc_co_u32_e32 v1, vcc, v2, v1, vcc
	global_load_dwordx4 v[0:3], v[0:1], off
	s_mul_i32 s25, s22, 0xff
	s_mul_i32 s26, s22, 0xfe
	s_lshl_b32 s27, s22, 1
	v_add_u32_e32 v41, s22, v40
	v_add_u32_e32 v42, s23, v40
	v_mov_b32_e32 v26, 0
	s_mov_b64 s[18:19], 0
	v_mov_b32_e32 v43, s7
	v_mov_b32_e32 v39, 0
	s_branch .LBB351_5
.LBB351_3:                              ;   in Loop: Header=BB351_5 Depth=1
	s_or_b64 exec, exec, s[4:5]
	v_fma_f64 v[0:1], v[6:7], v[8:9], v[30:31]
	v_fma_f64 v[2:3], v[4:5], v[8:9], v[28:29]
	v_mul_f64 v[4:5], v[16:17], -v[0:1]
	v_mul_f64 v[6:7], v[16:17], v[2:3]
	v_fma_f64 v[2:3], v[2:3], v[10:11], v[4:5]
	v_fma_f64 v[4:5], v[0:1], v[10:11], v[6:7]
	v_mov_b32_e32 v10, s22
	v_add_f64 v[0:1], v[12:13], -v[2:3]
	v_add_f64 v[2:3], v[14:15], -v[4:5]
.LBB351_4:                              ;   in Loop: Header=BB351_5 Depth=1
	s_or_b64 exec, exec, s[2:3]
	v_add_u32_e32 v39, v10, v39
	v_cmp_le_i32_e32 vcc, s24, v39
	s_or_b64 s[18:19], vcc, s[18:19]
	s_andn2_b64 exec, exec, s[18:19]
	s_cbranch_execz .LBB351_20
.LBB351_5:                              ; =>This Inner Loop Header: Depth=1
	v_add_u32_e32 v27, v39, v24
	v_ashrrev_i32_e32 v28, 31, v27
	v_lshlrev_b64 v[4:5], 4, v[27:28]
	v_mov_b32_e32 v12, 0
	v_add_co_u32_e32 v4, vcc, s6, v4
	v_addc_co_u32_e32 v5, vcc, v43, v5, vcc
	global_load_dwordx4 v[8:11], v[4:5], off
	v_mov_b32_e32 v4, 0
	v_mov_b32_e32 v6, 0
	v_cmp_gt_u32_e64 s[0:1], s25, v39
	v_mov_b32_e32 v13, 0
	v_mov_b32_e32 v5, 0
	;; [unrolled: 1-line block ×3, first 2 shown]
	v_add_u32_e32 v22, v40, v39
	s_and_saveexec_b64 s[2:3], s[0:1]
	s_cbranch_execz .LBB351_7
; %bb.6:                                ;   in Loop: Header=BB351_5 Depth=1
	v_ashrrev_i32_e32 v23, 31, v22
	v_lshlrev_b64 v[4:5], 4, v[22:23]
	v_mov_b32_e32 v6, s13
	v_add_co_u32_e32 v4, vcc, s12, v4
	v_addc_co_u32_e32 v5, vcc, v6, v5, vcc
	global_load_dwordx4 v[4:7], v[4:5], off
.LBB351_7:                              ;   in Loop: Header=BB351_5 Depth=1
	s_or_b64 exec, exec, s[2:3]
	v_mov_b32_e32 v14, 0
	v_mov_b32_e32 v15, 0
	s_and_saveexec_b64 s[2:3], s[0:1]
	s_cbranch_execz .LBB351_9
; %bb.8:                                ;   in Loop: Header=BB351_5 Depth=1
	v_ashrrev_i32_e32 v23, 31, v22
	v_lshlrev_b64 v[12:13], 4, v[22:23]
	v_mov_b32_e32 v14, s15
	v_add_co_u32_e32 v12, vcc, s14, v12
	v_addc_co_u32_e32 v13, vcc, v14, v13, vcc
	global_load_dwordx4 v[12:15], v[12:13], off
.LBB351_9:                              ;   in Loop: Header=BB351_5 Depth=1
	s_or_b64 exec, exec, s[2:3]
	v_mov_b32_e32 v20, 0
	v_mov_b32_e32 v16, 0
	;; [unrolled: 1-line block ×6, first 2 shown]
	s_and_saveexec_b64 s[2:3], s[0:1]
	s_cbranch_execz .LBB351_11
; %bb.10:                               ;   in Loop: Header=BB351_5 Depth=1
	v_ashrrev_i32_e32 v23, 31, v22
	v_lshlrev_b64 v[16:17], 4, v[22:23]
	v_mov_b32_e32 v18, s7
	v_add_co_u32_e32 v16, vcc, s6, v16
	v_addc_co_u32_e32 v17, vcc, v18, v17, vcc
	global_load_dwordx4 v[16:19], v[16:17], off
.LBB351_11:                             ;   in Loop: Header=BB351_5 Depth=1
	s_or_b64 exec, exec, s[2:3]
	v_mov_b32_e32 v22, 0
	v_mov_b32_e32 v23, 0
	v_cmp_gt_u32_e64 s[2:3], s26, v39
	s_and_saveexec_b64 s[4:5], s[2:3]
	s_cbranch_execz .LBB351_13
; %bb.12:                               ;   in Loop: Header=BB351_5 Depth=1
	v_add_u32_e32 v20, v41, v39
	v_ashrrev_i32_e32 v21, 31, v20
	v_lshlrev_b64 v[20:21], 4, v[20:21]
	v_mov_b32_e32 v22, s13
	v_add_co_u32_e32 v20, vcc, s12, v20
	v_addc_co_u32_e32 v21, vcc, v22, v21, vcc
	global_load_dwordx4 v[20:23], v[20:21], off
.LBB351_13:                             ;   in Loop: Header=BB351_5 Depth=1
	s_or_b64 exec, exec, s[4:5]
	v_lshlrev_b64 v[28:29], 2, v[27:28]
	v_mov_b32_e32 v25, s17
	v_add_co_u32_e32 v28, vcc, s16, v28
	v_addc_co_u32_e32 v29, vcc, v25, v29, vcc
	global_load_dword v25, v[28:29], off
	s_waitcnt vmcnt(1)
	v_mul_f64 v[28:29], v[10:11], -v[6:7]
	v_mul_f64 v[30:31], v[10:11], v[4:5]
	v_cmp_ne_u32_e32 vcc, s25, v39
	s_waitcnt vmcnt(0)
	v_cmp_ne_u32_e64 s[4:5], 1, v25
	s_and_b64 s[4:5], vcc, s[4:5]
	v_add_u32_e32 v25, s23, v27
	s_and_saveexec_b64 s[20:21], s[4:5]
	s_xor_b64 s[20:21], exec, s[20:21]
	s_cbranch_execz .LBB351_17
; %bb.14:                               ;   in Loop: Header=BB351_5 Depth=1
	v_mul_f64 v[32:33], v[0:1], v[14:15]
	v_mul_f64 v[34:35], v[14:15], -v[2:3]
	v_fma_f64 v[30:31], v[6:7], v[8:9], v[30:31]
	v_fma_f64 v[27:28], v[4:5], v[8:9], v[28:29]
	v_lshlrev_b64 v[46:47], 4, v[25:26]
	v_add_u32_e32 v25, v42, v39
	v_mov_b32_e32 v51, s9
	v_fma_f64 v[32:33], v[2:3], v[12:13], v[32:33]
	v_fma_f64 v[34:35], v[0:1], v[12:13], v[34:35]
	v_add_f64 v[29:30], v[32:33], -v[30:31]
	v_add_f64 v[27:28], v[34:35], -v[27:28]
	v_mul_f64 v[31:32], v[29:30], v[29:30]
	v_fma_f64 v[31:32], v[27:28], v[27:28], v[31:32]
	v_div_scale_f64 v[37:38], s[4:5], v[31:32], v[31:32], 1.0
	v_div_scale_f64 v[44:45], vcc, 1.0, v[31:32], 1.0
	v_add_co_u32_e64 v50, s[4:5], s8, v46
	v_addc_co_u32_e64 v51, s[4:5], v51, v47, s[4:5]
	v_rcp_f64_e32 v[33:34], v[37:38]
	v_fma_f64 v[35:36], -v[37:38], v[33:34], 1.0
	v_fma_f64 v[33:34], v[33:34], v[35:36], v[33:34]
	v_fma_f64 v[35:36], -v[37:38], v[33:34], 1.0
	v_fma_f64 v[48:49], v[33:34], v[35:36], v[33:34]
	v_lshlrev_b64 v[33:34], 4, v[25:26]
	v_mov_b32_e32 v35, s9
	v_add_co_u32_e64 v54, s[4:5], s8, v33
	v_addc_co_u32_e64 v55, s[4:5], v35, v34, s[4:5]
	global_load_dwordx4 v[33:36], v[50:51], off
	v_mul_f64 v[52:53], v[44:45], v[48:49]
	v_fma_f64 v[37:38], -v[37:38], v[52:53], v[44:45]
	global_load_dwordx4 v[44:47], v[54:55], off
	v_div_fmas_f64 v[37:38], v[37:38], v[48:49], v[52:53]
	v_fma_f64 v[48:49], v[27:28], 0, -v[29:30]
	v_fma_f64 v[29:30], v[29:30], 0, v[27:28]
	v_div_fixup_f64 v[31:32], v[37:38], v[31:32], 1.0
	v_mul_f64 v[27:28], v[48:49], v[31:32]
	v_mul_f64 v[29:30], v[29:30], v[31:32]
	s_waitcnt vmcnt(1)
	v_mul_f64 v[31:32], v[27:28], v[33:34]
	v_mul_f64 v[48:49], v[27:28], -v[35:36]
	v_fma_f64 v[31:32], v[35:36], v[29:30], v[31:32]
	v_fma_f64 v[33:34], v[33:34], v[29:30], v[48:49]
	s_waitcnt vmcnt(0)
	v_mul_f64 v[37:38], v[27:28], v[44:45]
	v_mul_f64 v[52:53], v[27:28], -v[46:47]
	v_mul_f64 v[48:49], v[12:13], v[31:32]
	v_fma_f64 v[35:36], v[46:47], v[29:30], v[37:38]
	v_mul_f64 v[46:47], v[31:32], -v[14:15]
	v_fma_f64 v[37:38], v[44:45], v[29:30], v[52:53]
	v_fma_f64 v[14:15], v[14:15], v[33:34], v[48:49]
	v_mul_f64 v[48:49], v[31:32], -v[4:5]
	v_mul_f64 v[44:45], v[35:36], -v[10:11]
	v_mul_f64 v[52:53], v[8:9], v[35:36]
	v_fma_f64 v[12:13], v[12:13], v[33:34], v[46:47]
	v_mul_f64 v[46:47], v[6:7], v[31:32]
	v_fma_f64 v[48:49], -v[6:7], v[33:34], v[48:49]
	v_fma_f64 v[8:9], v[8:9], v[37:38], v[44:45]
	v_fma_f64 v[10:11], v[10:11], v[37:38], v[52:53]
	v_mul_f64 v[44:45], v[35:36], -v[2:3]
	v_mul_f64 v[52:53], v[0:1], v[35:36]
	v_fma_f64 v[46:47], -v[4:5], v[33:34], v[46:47]
	v_add_f64 v[12:13], v[12:13], -v[8:9]
	v_add_f64 v[14:15], v[14:15], -v[10:11]
	v_fma_f64 v[44:45], v[0:1], v[37:38], v[44:45]
	v_fma_f64 v[52:53], v[2:3], v[37:38], v[52:53]
	v_mov_b32_e32 v10, 0
	v_mov_b32_e32 v8, 0
	;; [unrolled: 1-line block ×4, first 2 shown]
	v_add_f64 v[44:45], v[46:47], v[44:45]
	v_add_f64 v[46:47], v[48:49], v[52:53]
	global_store_dwordx4 v[50:51], v[12:15], off
	global_store_dwordx4 v[54:55], v[44:47], off
	s_and_saveexec_b64 s[4:5], s[2:3]
	s_cbranch_execz .LBB351_16
; %bb.15:                               ;   in Loop: Header=BB351_5 Depth=1
	v_add_u32_e32 v12, v41, v39
	v_add_u32_e32 v25, s23, v12
	v_lshlrev_b64 v[8:9], 4, v[25:26]
	v_ashrrev_i32_e32 v13, 31, v12
	v_mov_b32_e32 v10, s9
	v_add_co_u32_e32 v44, vcc, s8, v8
	v_lshlrev_b64 v[12:13], 4, v[12:13]
	v_addc_co_u32_e32 v45, vcc, v10, v9, vcc
	v_mov_b32_e32 v14, s15
	v_add_co_u32_e32 v12, vcc, s14, v12
	v_addc_co_u32_e32 v13, vcc, v14, v13, vcc
	global_load_dwordx4 v[8:11], v[44:45], off
	v_mul_f64 v[46:47], v[2:3], -v[22:23]
	global_load_dwordx4 v[12:15], v[12:13], off
	v_mul_f64 v[48:49], v[2:3], v[20:21]
	v_mul_f64 v[50:51], v[22:23], -v[4:5]
	v_mul_f64 v[52:53], v[6:7], v[22:23]
	v_mul_f64 v[54:55], v[0:1], v[22:23]
	v_mul_f64 v[56:57], v[22:23], -v[2:3]
	v_fma_f64 v[46:47], v[20:21], v[0:1], v[46:47]
	v_fma_f64 v[22:23], v[22:23], v[0:1], v[48:49]
	v_fma_f64 v[6:7], -v[6:7], v[20:21], v[50:51]
	v_fma_f64 v[4:5], -v[4:5], v[20:21], v[52:53]
	v_fma_f64 v[2:3], v[2:3], v[20:21], v[54:55]
	v_fma_f64 v[0:1], v[0:1], v[20:21], v[56:57]
	v_mul_f64 v[20:21], v[18:19], v[46:47]
	v_mul_f64 v[18:19], v[18:19], -v[22:23]
	v_mul_f64 v[48:49], v[6:7], v[31:32]
	v_mul_f64 v[31:32], v[31:32], -v[4:5]
	v_mul_f64 v[50:51], v[35:36], -v[2:3]
	v_mul_f64 v[35:36], v[0:1], v[35:36]
	v_fma_f64 v[20:21], v[22:23], v[16:17], v[20:21]
	v_fma_f64 v[16:17], v[46:47], v[16:17], v[18:19]
	v_fma_f64 v[4:5], -v[4:5], v[33:34], v[48:49]
	v_fma_f64 v[6:7], -v[6:7], v[33:34], v[31:32]
	v_fma_f64 v[0:1], v[0:1], v[37:38], v[50:51]
	v_fma_f64 v[2:3], v[2:3], v[37:38], v[35:36]
	v_mul_f64 v[18:19], v[27:28], -v[20:21]
	v_mul_f64 v[22:23], v[27:28], v[16:17]
	v_add_f64 v[0:1], v[4:5], -v[0:1]
	v_add_f64 v[2:3], v[6:7], -v[2:3]
	v_fma_f64 v[4:5], v[16:17], v[29:30], v[18:19]
	v_fma_f64 v[6:7], v[20:21], v[29:30], v[22:23]
	s_waitcnt vmcnt(1)
	v_add_f64 v[0:1], v[0:1], v[8:9]
	v_add_f64 v[2:3], v[2:3], v[10:11]
	s_waitcnt vmcnt(0)
	v_add_f64 v[8:9], v[12:13], -v[4:5]
	v_add_f64 v[10:11], v[14:15], -v[6:7]
	global_store_dwordx4 v[44:45], v[0:3], off
.LBB351_16:                             ;   in Loop: Header=BB351_5 Depth=1
	s_or_b64 exec, exec, s[4:5]
	v_mov_b32_e32 v2, v10
	v_mov_b32_e32 v0, v8
	;; [unrolled: 1-line block ×4, first 2 shown]
                                        ; implicit-def: $vgpr4_vgpr5
                                        ; implicit-def: $vgpr12_vgpr13
                                        ; implicit-def: $vgpr8_vgpr9
                                        ; implicit-def: $vgpr28_vgpr29
                                        ; implicit-def: $vgpr30_vgpr31
.LBB351_17:                             ;   in Loop: Header=BB351_5 Depth=1
	s_or_saveexec_b64 s[2:3], s[20:21]
	v_mov_b32_e32 v10, s27
	s_xor_b64 exec, exec, s[2:3]
	s_cbranch_execz .LBB351_4
; %bb.18:                               ;   in Loop: Header=BB351_5 Depth=1
	v_mul_f64 v[10:11], v[2:3], v[2:3]
	v_lshlrev_b64 v[18:19], 4, v[25:26]
	v_mov_b32_e32 v20, s9
	v_add_co_u32_e32 v32, vcc, s8, v18
	v_addc_co_u32_e32 v33, vcc, v20, v19, vcc
	global_load_dwordx4 v[18:21], v[32:33], off
	v_fma_f64 v[10:11], v[0:1], v[0:1], v[10:11]
	v_div_scale_f64 v[16:17], s[4:5], v[10:11], v[10:11], 1.0
	v_rcp_f64_e32 v[22:23], v[16:17]
	v_fma_f64 v[34:35], -v[16:17], v[22:23], 1.0
	v_fma_f64 v[22:23], v[22:23], v[34:35], v[22:23]
	v_div_scale_f64 v[34:35], vcc, 1.0, v[10:11], 1.0
	v_fma_f64 v[36:37], -v[16:17], v[22:23], 1.0
	v_fma_f64 v[22:23], v[22:23], v[36:37], v[22:23]
	v_mul_f64 v[36:37], v[34:35], v[22:23]
	v_fma_f64 v[16:17], -v[16:17], v[36:37], v[34:35]
	v_div_fmas_f64 v[16:17], v[16:17], v[22:23], v[36:37]
	v_fma_f64 v[22:23], v[0:1], 0, -v[2:3]
	v_fma_f64 v[0:1], v[2:3], 0, v[0:1]
	v_div_fixup_f64 v[10:11], v[16:17], v[10:11], 1.0
	v_mul_f64 v[16:17], v[22:23], v[10:11]
	v_mul_f64 v[10:11], v[0:1], v[10:11]
	s_waitcnt vmcnt(0)
	v_mul_f64 v[0:1], v[16:17], -v[20:21]
	v_mul_f64 v[2:3], v[16:17], v[18:19]
	v_fma_f64 v[0:1], v[18:19], v[10:11], v[0:1]
	v_fma_f64 v[2:3], v[20:21], v[10:11], v[2:3]
	global_store_dwordx4 v[32:33], v[0:3], off
	s_and_saveexec_b64 s[4:5], s[0:1]
	s_cbranch_execz .LBB351_3
; %bb.19:                               ;   in Loop: Header=BB351_5 Depth=1
	v_add_u32_e32 v25, v42, v39
	v_lshlrev_b64 v[18:19], 4, v[25:26]
	v_mov_b32_e32 v20, s9
	v_add_co_u32_e32 v22, vcc, s8, v18
	v_addc_co_u32_e32 v23, vcc, v20, v19, vcc
	global_load_dwordx4 v[18:21], v[22:23], off
	s_waitcnt vmcnt(0)
	v_fma_f64 v[18:19], -v[4:5], v[0:1], v[18:19]
	v_fma_f64 v[20:21], -v[6:7], v[0:1], v[20:21]
	v_fma_f64 v[0:1], v[6:7], v[2:3], v[18:19]
	v_fma_f64 v[2:3], -v[4:5], v[2:3], v[20:21]
	global_store_dwordx4 v[22:23], v[0:3], off
	s_branch .LBB351_3
.LBB351_20:
	s_or_b64 exec, exec, s[18:19]
	s_branch .LBB351_22
.LBB351_21:
	v_mov_b32_e32 v39, 0
.LBB351_22:
	v_subrev_u32_e32 v2, s22, v39
	v_add_u32_e32 v0, v2, v24
	v_ashrrev_i32_e32 v1, 31, v0
	v_lshlrev_b64 v[0:1], 2, v[0:1]
	s_waitcnt lgkmcnt(0)
	v_mov_b32_e32 v3, s17
	v_add_co_u32_e32 v0, vcc, s16, v0
	v_addc_co_u32_e32 v1, vcc, v3, v1, vcc
	s_waitcnt vmcnt(0)
	buffer_wbinvl1_vol
	global_load_dword v0, v[0:1], off
	s_waitcnt vmcnt(0)
	v_mul_lo_u32 v0, v0, s22
	v_sub_u32_e32 v8, v2, v0
	v_cmp_lt_i32_e32 vcc, -1, v8
	s_and_b64 exec, exec, vcc
	s_cbranch_execz .LBB351_29
; %bb.23:
	s_add_i32 s0, s23, s22
	v_add_u32_e32 v9, s0, v24
	s_lshl_b32 s4, s22, 1
	s_mov_b64 s[0:1], 0
	v_mov_b32_e32 v10, s17
	v_mov_b32_e32 v11, s11
	;; [unrolled: 1-line block ×3, first 2 shown]
	s_branch .LBB351_25
.LBB351_24:                             ;   in Loop: Header=BB351_25 Depth=1
	s_or_b64 exec, exec, s[2:3]
	v_sub_u32_e32 v8, v8, v4
	v_cmp_gt_i32_e32 vcc, 0, v8
	s_or_b64 s[0:1], vcc, s[0:1]
	s_andn2_b64 exec, exec, s[0:1]
	s_cbranch_execz .LBB351_29
.LBB351_25:                             ; =>This Inner Loop Header: Depth=1
	v_add_u32_e32 v6, v8, v24
	v_ashrrev_i32_e32 v7, 31, v6
	s_waitcnt vmcnt(0)
	v_lshlrev_b64 v[0:1], 2, v[6:7]
	v_add_co_u32_e32 v0, vcc, s16, v0
	v_addc_co_u32_e32 v1, vcc, v10, v1, vcc
	global_load_dword v4, v[0:1], off
	v_lshlrev_b64 v[0:1], 4, v[6:7]
	v_add_co_u32_e32 v0, vcc, s10, v0
	v_addc_co_u32_e32 v1, vcc, v11, v1, vcc
	global_load_dwordx4 v[0:3], v[0:1], off
	s_waitcnt vmcnt(1)
	v_cmp_ne_u32_e32 vcc, 1, v4
	s_and_saveexec_b64 s[2:3], vcc
	s_xor_b64 s[2:3], exec, s[2:3]
	s_cbranch_execz .LBB351_27
; %bb.26:                               ;   in Loop: Header=BB351_25 Depth=1
	v_add_u32_e32 v4, v9, v8
	v_lshlrev_b64 v[12:13], 4, v[4:5]
	v_mov_b32_e32 v4, s9
	v_add_co_u32_e32 v20, vcc, s8, v12
	v_addc_co_u32_e32 v21, vcc, v4, v13, vcc
	v_add_u32_e32 v4, s23, v6
	v_lshlrev_b64 v[6:7], 4, v[4:5]
	v_mov_b32_e32 v4, s9
	v_add_co_u32_e32 v6, vcc, s8, v6
	v_addc_co_u32_e32 v7, vcc, v4, v7, vcc
	global_load_dwordx4 v[12:15], v[20:21], off
	global_load_dwordx4 v[16:19], v[6:7], off
	v_subrev_u32_e32 v4, s22, v8
	v_add_u32_e32 v20, v4, v24
	v_ashrrev_i32_e32 v21, 31, v20
	v_add_u32_e32 v4, s23, v20
	v_lshlrev_b64 v[20:21], 4, v[20:21]
	v_mov_b32_e32 v25, s11
	v_lshlrev_b64 v[22:23], 4, v[4:5]
	v_mov_b32_e32 v26, s9
	s_waitcnt vmcnt(0)
	v_fma_f64 v[16:17], -v[0:1], v[12:13], v[16:17]
	v_fma_f64 v[18:19], -v[2:3], v[12:13], v[18:19]
	v_fma_f64 v[16:17], v[2:3], v[14:15], v[16:17]
	v_fma_f64 v[18:19], -v[0:1], v[14:15], v[18:19]
	v_add_co_u32_e32 v0, vcc, s10, v20
	v_addc_co_u32_e32 v1, vcc, v25, v21, vcc
	v_add_co_u32_e32 v20, vcc, s8, v22
	v_addc_co_u32_e32 v21, vcc, v26, v23, vcc
	global_store_dwordx4 v[6:7], v[16:19], off
	global_load_dwordx4 v[0:3], v[0:1], off
	s_nop 0
	global_load_dwordx4 v[16:19], v[20:21], off
	s_waitcnt vmcnt(0)
	v_fma_f64 v[6:7], -v[0:1], v[12:13], v[16:17]
	v_fma_f64 v[16:17], -v[2:3], v[12:13], v[18:19]
	v_fma_f64 v[12:13], v[2:3], v[14:15], v[6:7]
	v_fma_f64 v[14:15], -v[0:1], v[14:15], v[16:17]
                                        ; implicit-def: $vgpr6
                                        ; implicit-def: $vgpr0_vgpr1
	global_store_dwordx4 v[20:21], v[12:15], off
.LBB351_27:                             ;   in Loop: Header=BB351_25 Depth=1
	s_or_saveexec_b64 s[2:3], s[2:3]
	v_mov_b32_e32 v4, s4
	s_xor_b64 exec, exec, s[2:3]
	s_cbranch_execz .LBB351_24
; %bb.28:                               ;   in Loop: Header=BB351_25 Depth=1
	v_add_u32_e32 v4, v9, v8
	v_lshlrev_b64 v[12:13], 4, v[4:5]
	v_mov_b32_e32 v4, s9
	v_add_co_u32_e32 v20, vcc, s8, v12
	v_addc_co_u32_e32 v21, vcc, v4, v13, vcc
	v_add_u32_e32 v4, s23, v6
	v_lshlrev_b64 v[6:7], 4, v[4:5]
	v_mov_b32_e32 v4, s9
	v_add_co_u32_e32 v6, vcc, s8, v6
	v_addc_co_u32_e32 v7, vcc, v4, v7, vcc
	global_load_dwordx4 v[12:15], v[20:21], off
	global_load_dwordx4 v[16:19], v[6:7], off
	v_mov_b32_e32 v4, s22
	s_waitcnt vmcnt(0)
	v_fma_f64 v[16:17], -v[0:1], v[12:13], v[16:17]
	v_fma_f64 v[18:19], -v[2:3], v[12:13], v[18:19]
	v_fma_f64 v[12:13], v[2:3], v[14:15], v[16:17]
	v_fma_f64 v[14:15], -v[0:1], v[14:15], v[18:19]
	global_store_dwordx4 v[6:7], v[12:15], off
	s_branch .LBB351_24
.LBB351_29:
	s_endpgm
	.section	.rodata,"a",@progbits
	.p2align	6, 0x0
	.amdhsa_kernel _ZN9rocsparseL19gtsv_LBM_rhs_kernelILj256ELj256ELj1E21rocsparse_complex_numIdEEEviiiPKT2_S5_S5_PS3_S5_PKi
		.amdhsa_group_segment_fixed_size 0
		.amdhsa_private_segment_fixed_size 0
		.amdhsa_kernarg_size 64
		.amdhsa_user_sgpr_count 6
		.amdhsa_user_sgpr_private_segment_buffer 1
		.amdhsa_user_sgpr_dispatch_ptr 0
		.amdhsa_user_sgpr_queue_ptr 0
		.amdhsa_user_sgpr_kernarg_segment_ptr 1
		.amdhsa_user_sgpr_dispatch_id 0
		.amdhsa_user_sgpr_flat_scratch_init 0
		.amdhsa_user_sgpr_private_segment_size 0
		.amdhsa_uses_dynamic_stack 0
		.amdhsa_system_sgpr_private_segment_wavefront_offset 0
		.amdhsa_system_sgpr_workgroup_id_x 1
		.amdhsa_system_sgpr_workgroup_id_y 1
		.amdhsa_system_sgpr_workgroup_id_z 0
		.amdhsa_system_sgpr_workgroup_info 0
		.amdhsa_system_vgpr_workitem_id 0
		.amdhsa_next_free_vgpr 58
		.amdhsa_next_free_sgpr 28
		.amdhsa_reserve_vcc 1
		.amdhsa_reserve_flat_scratch 0
		.amdhsa_float_round_mode_32 0
		.amdhsa_float_round_mode_16_64 0
		.amdhsa_float_denorm_mode_32 3
		.amdhsa_float_denorm_mode_16_64 3
		.amdhsa_dx10_clamp 1
		.amdhsa_ieee_mode 1
		.amdhsa_fp16_overflow 0
		.amdhsa_exception_fp_ieee_invalid_op 0
		.amdhsa_exception_fp_denorm_src 0
		.amdhsa_exception_fp_ieee_div_zero 0
		.amdhsa_exception_fp_ieee_overflow 0
		.amdhsa_exception_fp_ieee_underflow 0
		.amdhsa_exception_fp_ieee_inexact 0
		.amdhsa_exception_int_div_zero 0
	.end_amdhsa_kernel
	.section	.text._ZN9rocsparseL19gtsv_LBM_rhs_kernelILj256ELj256ELj1E21rocsparse_complex_numIdEEEviiiPKT2_S5_S5_PS3_S5_PKi,"axG",@progbits,_ZN9rocsparseL19gtsv_LBM_rhs_kernelILj256ELj256ELj1E21rocsparse_complex_numIdEEEviiiPKT2_S5_S5_PS3_S5_PKi,comdat
.Lfunc_end351:
	.size	_ZN9rocsparseL19gtsv_LBM_rhs_kernelILj256ELj256ELj1E21rocsparse_complex_numIdEEEviiiPKT2_S5_S5_PS3_S5_PKi, .Lfunc_end351-_ZN9rocsparseL19gtsv_LBM_rhs_kernelILj256ELj256ELj1E21rocsparse_complex_numIdEEEviiiPKT2_S5_S5_PS3_S5_PKi
                                        ; -- End function
	.set _ZN9rocsparseL19gtsv_LBM_rhs_kernelILj256ELj256ELj1E21rocsparse_complex_numIdEEEviiiPKT2_S5_S5_PS3_S5_PKi.num_vgpr, 58
	.set _ZN9rocsparseL19gtsv_LBM_rhs_kernelILj256ELj256ELj1E21rocsparse_complex_numIdEEEviiiPKT2_S5_S5_PS3_S5_PKi.num_agpr, 0
	.set _ZN9rocsparseL19gtsv_LBM_rhs_kernelILj256ELj256ELj1E21rocsparse_complex_numIdEEEviiiPKT2_S5_S5_PS3_S5_PKi.numbered_sgpr, 28
	.set _ZN9rocsparseL19gtsv_LBM_rhs_kernelILj256ELj256ELj1E21rocsparse_complex_numIdEEEviiiPKT2_S5_S5_PS3_S5_PKi.num_named_barrier, 0
	.set _ZN9rocsparseL19gtsv_LBM_rhs_kernelILj256ELj256ELj1E21rocsparse_complex_numIdEEEviiiPKT2_S5_S5_PS3_S5_PKi.private_seg_size, 0
	.set _ZN9rocsparseL19gtsv_LBM_rhs_kernelILj256ELj256ELj1E21rocsparse_complex_numIdEEEviiiPKT2_S5_S5_PS3_S5_PKi.uses_vcc, 1
	.set _ZN9rocsparseL19gtsv_LBM_rhs_kernelILj256ELj256ELj1E21rocsparse_complex_numIdEEEviiiPKT2_S5_S5_PS3_S5_PKi.uses_flat_scratch, 0
	.set _ZN9rocsparseL19gtsv_LBM_rhs_kernelILj256ELj256ELj1E21rocsparse_complex_numIdEEEviiiPKT2_S5_S5_PS3_S5_PKi.has_dyn_sized_stack, 0
	.set _ZN9rocsparseL19gtsv_LBM_rhs_kernelILj256ELj256ELj1E21rocsparse_complex_numIdEEEviiiPKT2_S5_S5_PS3_S5_PKi.has_recursion, 0
	.set _ZN9rocsparseL19gtsv_LBM_rhs_kernelILj256ELj256ELj1E21rocsparse_complex_numIdEEEviiiPKT2_S5_S5_PS3_S5_PKi.has_indirect_call, 0
	.section	.AMDGPU.csdata,"",@progbits
; Kernel info:
; codeLenInByte = 2468
; TotalNumSgprs: 32
; NumVgprs: 58
; ScratchSize: 0
; MemoryBound: 1
; FloatMode: 240
; IeeeMode: 1
; LDSByteSize: 0 bytes/workgroup (compile time only)
; SGPRBlocks: 3
; VGPRBlocks: 14
; NumSGPRsForWavesPerEU: 32
; NumVGPRsForWavesPerEU: 58
; Occupancy: 4
; WaveLimiterHint : 0
; COMPUTE_PGM_RSRC2:SCRATCH_EN: 0
; COMPUTE_PGM_RSRC2:USER_SGPR: 6
; COMPUTE_PGM_RSRC2:TRAP_HANDLER: 0
; COMPUTE_PGM_RSRC2:TGID_X_EN: 1
; COMPUTE_PGM_RSRC2:TGID_Y_EN: 1
; COMPUTE_PGM_RSRC2:TGID_Z_EN: 0
; COMPUTE_PGM_RSRC2:TIDIG_COMP_CNT: 0
	.section	.text._ZN9rocsparseL29gtsv_spike_block_level_kernelILj256ELj256E21rocsparse_complex_numIdEEEviiiPT1_PKS3_S6_S4_S4_S4_S4_S4_,"axG",@progbits,_ZN9rocsparseL29gtsv_spike_block_level_kernelILj256ELj256E21rocsparse_complex_numIdEEEviiiPT1_PKS3_S6_S4_S4_S4_S4_S4_,comdat
	.globl	_ZN9rocsparseL29gtsv_spike_block_level_kernelILj256ELj256E21rocsparse_complex_numIdEEEviiiPT1_PKS3_S6_S4_S4_S4_S4_S4_ ; -- Begin function _ZN9rocsparseL29gtsv_spike_block_level_kernelILj256ELj256E21rocsparse_complex_numIdEEEviiiPT1_PKS3_S6_S4_S4_S4_S4_S4_
	.p2align	8
	.type	_ZN9rocsparseL29gtsv_spike_block_level_kernelILj256ELj256E21rocsparse_complex_numIdEEEviiiPT1_PKS3_S6_S4_S4_S4_S4_S4_,@function
_ZN9rocsparseL29gtsv_spike_block_level_kernelILj256ELj256E21rocsparse_complex_numIdEEEviiiPT1_PKS3_S6_S4_S4_S4_S4_S4_: ; @_ZN9rocsparseL29gtsv_spike_block_level_kernelILj256ELj256E21rocsparse_complex_numIdEEEviiiPT1_PKS3_S6_S4_S4_S4_S4_S4_
; %bb.0:
	s_load_dword s12, s[4:5], 0x0
	s_load_dwordx2 s[8:9], s[4:5], 0x18
	v_lshl_or_b32 v13, s6, 8, v0
	v_mov_b32_e32 v1, 0
	v_mov_b32_e32 v3, 0
	s_waitcnt lgkmcnt(0)
	s_lshr_b32 s21, s12, 8
	v_mov_b32_e32 v5, 0
	v_mov_b32_e32 v2, 0
	;; [unrolled: 1-line block ×4, first 2 shown]
	v_cmp_gt_i32_e64 s[0:1], s21, v13
	s_and_saveexec_b64 s[2:3], s[0:1]
	s_cbranch_execz .LBB352_2
; %bb.1:
	v_ashrrev_i32_e32 v14, 31, v13
	v_lshlrev_b64 v[3:4], 4, v[13:14]
	v_mov_b32_e32 v5, s9
	v_add_co_u32_e32 v3, vcc, s8, v3
	v_addc_co_u32_e32 v4, vcc, v5, v4, vcc
	global_load_dwordx4 v[3:6], v[3:4], off
.LBB352_2:
	s_or_b64 exec, exec, s[2:3]
	s_load_dwordx2 s[2:3], s[4:5], 0x20
	v_lshlrev_b32_e32 v15, 4, v0
	s_waitcnt vmcnt(0)
	ds_write_b128 v15, v[3:6] offset:8192
	v_mov_b32_e32 v3, 0
	v_or_b32_e32 v16, 0x2000, v15
	v_mov_b32_e32 v4, 0
	s_mul_i32 s20, s21, 0xff
	s_and_saveexec_b64 s[10:11], s[0:1]
	s_cbranch_execz .LBB352_4
; %bb.3:
	s_mul_i32 s13, s21, 0xff
	v_add_u32_e32 v1, s13, v13
	v_mov_b32_e32 v2, 0
	v_lshlrev_b64 v[1:2], 4, v[1:2]
	v_mov_b32_e32 v3, s9
	v_add_co_u32_e32 v1, vcc, s8, v1
	v_addc_co_u32_e32 v2, vcc, v3, v2, vcc
	global_load_dwordx4 v[1:4], v[1:2], off
.LBB352_4:
	s_or_b64 exec, exec, s[10:11]
	v_mov_b32_e32 v5, 0
	v_mov_b32_e32 v9, 0
	;; [unrolled: 1-line block ×6, first 2 shown]
	s_waitcnt vmcnt(0)
	ds_write_b128 v16, v[1:4] offset:4096
	s_and_saveexec_b64 s[8:9], s[0:1]
	s_cbranch_execz .LBB352_6
; %bb.5:
	v_ashrrev_i32_e32 v14, 31, v13
	v_lshlrev_b64 v[1:2], 4, v[13:14]
	s_waitcnt lgkmcnt(0)
	v_mov_b32_e32 v3, s3
	v_add_co_u32_e32 v1, vcc, s2, v1
	v_addc_co_u32_e32 v2, vcc, v3, v2, vcc
	global_load_dwordx4 v[9:12], v[1:2], off
.LBB352_6:
	s_or_b64 exec, exec, s[8:9]
	s_load_dwordx2 s[16:17], s[4:5], 0x10
	v_mov_b32_e32 v7, 0
	v_mov_b32_e32 v8, 0
	s_waitcnt vmcnt(0)
	ds_write_b128 v15, v[9:12]
	s_and_saveexec_b64 s[8:9], s[0:1]
	s_cbranch_execz .LBB352_8
; %bb.7:
	s_mul_i32 s10, s21, 0xff
	v_add_u32_e32 v1, s10, v13
	v_mov_b32_e32 v2, 0
	v_lshlrev_b64 v[1:2], 4, v[1:2]
	s_waitcnt lgkmcnt(0)
	v_mov_b32_e32 v3, s3
	v_add_co_u32_e32 v1, vcc, s2, v1
	v_addc_co_u32_e32 v2, vcc, v3, v2, vcc
	global_load_dwordx4 v[5:8], v[1:2], off
.LBB352_8:
	s_or_b64 exec, exec, s[8:9]
	s_waitcnt vmcnt(0)
	ds_write_b128 v15, v[5:8] offset:4096
	v_mov_b32_e32 v1, 0
	s_mul_i32 s22, s12, s7
	v_mov_b32_e32 v5, 0
	v_mov_b32_e32 v7, 0
	;; [unrolled: 1-line block ×5, first 2 shown]
	v_add_u32_e32 v9, s22, v13
	s_waitcnt lgkmcnt(0)
	s_and_saveexec_b64 s[2:3], s[0:1]
	s_cbranch_execz .LBB352_10
; %bb.9:
	v_ashrrev_i32_e32 v10, 31, v9
	v_lshlrev_b64 v[3:4], 4, v[9:10]
	v_mov_b32_e32 v5, s17
	v_add_co_u32_e32 v3, vcc, s16, v3
	v_addc_co_u32_e32 v4, vcc, v5, v4, vcc
	global_load_dwordx4 v[5:8], v[3:4], off
.LBB352_10:
	s_or_b64 exec, exec, s[2:3]
	s_load_dwordx2 s[2:3], s[4:5], 0x48
	s_load_dwordx8 s[8:15], s[4:5], 0x28
	v_mov_b32_e32 v3, 0
	v_or_b32_e32 v11, 0x4000, v15
	v_mov_b32_e32 v4, 0
	s_waitcnt vmcnt(0)
	ds_write_b128 v15, v[5:8] offset:16384
	s_and_saveexec_b64 s[18:19], s[0:1]
	s_cbranch_execz .LBB352_12
; %bb.11:
	s_mul_i32 s23, s21, 0xff
	s_add_i32 s23, s23, s22
	v_add_u32_e32 v1, s23, v13
	v_mov_b32_e32 v2, 0
	v_lshlrev_b64 v[1:2], 4, v[1:2]
	v_mov_b32_e32 v3, s17
	v_add_co_u32_e32 v1, vcc, s16, v1
	v_addc_co_u32_e32 v2, vcc, v3, v2, vcc
	global_load_dwordx4 v[1:4], v[1:2], off
.LBB352_12:
	s_or_b64 exec, exec, s[18:19]
	v_add_u32_e32 v7, 0x1000, v16
	v_or_b32_e32 v6, 0x1000, v15
	v_add_u32_e32 v5, 0x1000, v11
	s_mov_b32 s22, 2
	s_waitcnt vmcnt(0)
	ds_write_b128 v11, v[1:4] offset:4096
	s_waitcnt lgkmcnt(0)
	s_barrier
	s_branch .LBB352_14
.LBB352_13:                             ;   in Loop: Header=BB352_14 Depth=1
	s_or_b64 exec, exec, s[18:19]
	s_lshl_b32 s18, s22, 1
	s_cmpk_lt_u32 s22, 0x81
	s_mov_b32 s22, s18
	s_waitcnt lgkmcnt(0)
	s_barrier
	s_cbranch_scc0 .LBB352_16
.LBB352_14:                             ; =>This Inner Loop Header: Depth=1
	s_ff1_i32_b32 s18, s22
	s_lshr_b32 s18, 0x100, s18
	v_cmp_gt_u32_e32 vcc, s18, v0
	s_and_saveexec_b64 s[18:19], vcc
	s_cbranch_execz .LBB352_13
; %bb.15:                               ;   in Loop: Header=BB352_14 Depth=1
	v_mul_lo_u32 v8, s22, v0
	s_lshr_b32 s23, s22, 1
	v_add_u32_e32 v10, s23, v8
	v_lshlrev_b32_e32 v12, 4, v10
	ds_read_b128 v[1:4], v12 offset:8192
	ds_read_b128 v[17:20], v12 offset:4080
	ds_read_b128 v[21:24], v12
	ds_read_b128 v[25:28], v12 offset:12272
	v_add_lshl_u32 v10, v10, s23, 4
	v_lshlrev_b32_e32 v8, 4, v8
	s_waitcnt lgkmcnt(2)
	v_mul_f64 v[29:30], v[19:20], v[1:2]
	v_mul_f64 v[31:32], v[19:20], -v[3:4]
	s_waitcnt lgkmcnt(1)
	v_mul_f64 v[57:58], v[23:24], -v[19:20]
	v_mul_f64 v[59:60], v[17:18], v[23:24]
	s_waitcnt lgkmcnt(0)
	v_mul_f64 v[61:62], v[3:4], -v[27:28]
	v_fma_f64 v[29:30], v[3:4], v[17:18], v[29:30]
	v_fma_f64 v[31:32], v[1:2], v[17:18], v[31:32]
	v_add_f64 v[41:42], -v[29:30], 0
	v_add_f64 v[43:44], -v[31:32], 1.0
	v_mul_f64 v[29:30], v[41:42], v[41:42]
	v_fma_f64 v[63:64], v[43:44], 0, -v[41:42]
	v_fma_f64 v[41:42], v[41:42], 0, v[43:44]
	v_fma_f64 v[45:46], v[43:44], v[43:44], v[29:30]
	;; [unrolled: 1-line block ×3, first 2 shown]
	v_div_scale_f64 v[29:30], s[24:25], v[45:46], v[45:46], 1.0
	v_rcp_f64_e32 v[31:32], v[29:30]
	v_fma_f64 v[33:34], -v[29:30], v[31:32], 1.0
	v_fma_f64 v[31:32], v[31:32], v[33:34], v[31:32]
	v_div_scale_f64 v[33:34], vcc, 1.0, v[45:46], 1.0
	v_fma_f64 v[35:36], -v[29:30], v[31:32], 1.0
	v_fma_f64 v[31:32], v[31:32], v[35:36], v[31:32]
	v_mul_f64 v[35:36], v[33:34], v[31:32]
	v_fma_f64 v[29:30], -v[29:30], v[35:36], v[33:34]
	v_div_fmas_f64 v[47:48], v[29:30], v[31:32], v[35:36]
	ds_read_b128 v[29:32], v12 offset:16384
	ds_read_b128 v[33:36], v12 offset:20464
	;; [unrolled: 1-line block ×3, first 2 shown]
	s_waitcnt lgkmcnt(2)
	v_mul_f64 v[49:50], v[17:18], v[31:32]
	v_mul_f64 v[51:52], v[31:32], -v[19:20]
	s_waitcnt lgkmcnt(1)
	v_mul_f64 v[53:54], v[3:4], -v[35:36]
	v_mul_f64 v[55:56], v[3:4], v[33:34]
	v_mul_f64 v[3:4], v[3:4], v[25:26]
	v_fma_f64 v[49:50], v[19:20], v[29:30], v[49:50]
	v_fma_f64 v[19:20], v[19:20], v[21:22], v[59:60]
	;; [unrolled: 1-line block ×3, first 2 shown]
	v_div_fixup_f64 v[45:46], v[47:48], v[45:46], 1.0
	v_fma_f64 v[47:48], v[17:18], v[29:30], v[51:52]
	v_fma_f64 v[51:52], v[35:36], v[1:2], v[55:56]
	;; [unrolled: 1-line block ×3, first 2 shown]
	v_add_f64 v[17:18], v[35:36], -v[49:50]
	v_add_f64 v[49:50], v[29:30], -v[53:54]
	v_mul_f64 v[35:36], v[63:64], v[45:46]
	v_add_f64 v[33:34], v[33:34], -v[47:48]
	v_mul_f64 v[45:46], v[41:42], v[45:46]
	v_add_f64 v[47:48], v[31:32], -v[51:52]
	v_fma_f64 v[29:30], v[25:26], v[1:2], v[61:62]
	v_mul_f64 v[53:54], v[35:36], v[19:20]
	v_mul_f64 v[31:32], v[35:36], v[33:34]
	v_mul_f64 v[55:56], v[19:20], -v[45:46]
	v_mul_f64 v[19:20], v[35:36], v[3:4]
	v_mul_f64 v[57:58], v[3:4], -v[45:46]
	v_mul_f64 v[59:60], v[27:28], -v[35:36]
	v_mul_f64 v[27:28], v[45:46], v[27:28]
	v_mul_f64 v[1:2], v[35:36], -v[17:18]
	;; [unrolled: 3-line block ×3, first 2 shown]
	v_mul_f64 v[51:52], v[49:50], v[35:36]
	v_fma_f64 v[3:4], v[17:18], v[45:46], v[31:32]
	v_fma_f64 v[17:18], -v[45:46], v[29:30], v[19:20]
	v_fma_f64 v[19:20], -v[35:36], v[29:30], v[57:58]
	v_fma_f64 v[23:24], v[45:46], v[25:26], v[59:60]
	v_fma_f64 v[25:26], v[35:36], v[25:26], v[27:28]
	v_fma_f64 v[27:28], -v[45:46], v[43:44], v[53:54]
	v_fma_f64 v[29:30], -v[35:36], v[43:44], v[55:56]
	v_fma_f64 v[1:2], v[33:34], v[45:46], v[1:2]
	v_fma_f64 v[31:32], v[45:46], v[21:22], v[61:62]
	;; [unrolled: 1-line block ×5, first 2 shown]
	ds_write_b128 v12, v[17:20] offset:8192
	ds_write_b128 v12, v[23:26] offset:12272
	ds_read_b128 v[21:24], v8
	ds_read_b128 v[45:48], v8 offset:8192
	ds_write_b128 v12, v[27:30] offset:4080
	ds_write_b128 v12, v[31:34]
	ds_read_b128 v[25:28], v8
	ds_write_b128 v12, v[1:4] offset:20464
	ds_write_b128 v12, v[41:44] offset:16384
	s_waitcnt lgkmcnt(6)
	v_mul_f64 v[29:30], v[43:44], -v[23:24]
	v_mul_f64 v[35:36], v[43:44], v[21:22]
	ds_read_b128 v[1:4], v8 offset:16384
	s_waitcnt lgkmcnt(3)
	v_mul_f64 v[49:50], v[19:20], -v[27:28]
	v_mul_f64 v[19:20], v[19:20], v[25:26]
	v_mul_f64 v[43:44], v[33:34], v[27:28]
	v_mul_f64 v[33:34], v[33:34], -v[25:26]
	v_fma_f64 v[21:22], v[21:22], v[41:42], v[29:30]
	v_fma_f64 v[23:24], v[23:24], v[41:42], v[35:36]
	;; [unrolled: 1-line block ×4, first 2 shown]
	v_fma_f64 v[17:18], -v[25:26], v[31:32], v[43:44]
	v_fma_f64 v[19:20], -v[27:28], v[31:32], v[33:34]
	s_waitcnt lgkmcnt(0)
	v_add_f64 v[1:2], v[1:2], -v[21:22]
	v_add_f64 v[3:4], v[3:4], -v[23:24]
	ds_write_b128 v8, v[17:20]
	ds_write_b128 v8, v[1:4] offset:16384
	v_add_f64 v[21:22], v[45:46], -v[29:30]
	v_add_f64 v[23:24], v[47:48], -v[35:36]
	ds_read_b128 v[1:4], v12 offset:20464
	ds_read_b128 v[17:20], v12 offset:4080
	s_waitcnt lgkmcnt(1)
	v_mul_f64 v[41:42], v[3:4], -v[39:40]
	v_mul_f64 v[3:4], v[3:4], v[37:38]
	ds_write_b128 v8, v[21:24] offset:8192
	ds_read_b128 v[21:24], v10 offset:12272
	ds_read_b128 v[25:28], v10 offset:4080
	;; [unrolled: 1-line block ×4, first 2 shown]
	s_waitcnt lgkmcnt(3)
	v_mul_f64 v[43:44], v[23:24], -v[19:20]
	v_mul_f64 v[45:46], v[23:24], v[17:18]
	v_fma_f64 v[37:38], v[37:38], v[1:2], v[41:42]
	v_fma_f64 v[3:4], v[39:40], v[1:2], v[3:4]
	s_waitcnt lgkmcnt(1)
	v_mul_f64 v[47:48], v[23:24], v[31:32]
	v_mul_f64 v[31:32], v[31:32], -v[21:22]
	v_fma_f64 v[39:40], v[17:18], v[21:22], v[43:44]
	v_fma_f64 v[41:42], v[19:20], v[21:22], v[45:46]
	s_waitcnt lgkmcnt(0)
	v_add_f64 v[17:18], v[33:34], -v[37:38]
	v_add_f64 v[19:20], v[35:36], -v[3:4]
	v_fma_f64 v[1:2], -v[21:22], v[29:30], v[47:48]
	v_fma_f64 v[3:4], -v[23:24], v[29:30], v[31:32]
	v_add_f64 v[25:26], v[25:26], -v[39:40]
	v_add_f64 v[27:28], v[27:28], -v[41:42]
	ds_write_b128 v10, v[17:20] offset:20464
	ds_write_b128 v10, v[25:28] offset:4080
	;; [unrolled: 1-line block ×3, first 2 shown]
	s_branch .LBB352_13
.LBB352_16:
	s_and_saveexec_b64 s[18:19], s[0:1]
	s_cbranch_execnz .LBB352_19
; %bb.17:
	s_or_b64 exec, exec, s[18:19]
	v_cmp_eq_u32_e32 vcc, 0, v0
	s_and_saveexec_b64 s[0:1], vcc
	s_cbranch_execnz .LBB352_23
.LBB352_18:
	s_endpgm
.LBB352_19:
	s_cmp_eq_u32 s7, 0
	s_cbranch_scc1 .LBB352_27
; %bb.20:
	s_mulk_i32 s21, 0xff
	s_cbranch_execnz .LBB352_22
.LBB352_21:
	v_ashrrev_i32_e32 v14, 31, v13
	ds_read2_b64 v[1:4], v16 offset1:1
	v_lshlrev_b64 v[20:21], 4, v[13:14]
	v_mov_b32_e32 v8, s9
	v_add_co_u32_e32 v22, vcc, s8, v20
	v_addc_co_u32_e32 v23, vcc, v8, v21, vcc
	ds_read2_b64 v[16:19], v7 offset1:1
	s_waitcnt lgkmcnt(1)
	global_store_dwordx4 v[22:23], v[1:4], off
	v_mov_b32_e32 v10, s11
	v_add_u32_e32 v1, s20, v13
	v_mov_b32_e32 v2, 0
	v_lshlrev_b64 v[7:8], 4, v[1:2]
	v_mov_b32_e32 v2, s9
	v_add_co_u32_e32 v1, vcc, s8, v7
	v_addc_co_u32_e32 v2, vcc, v2, v8, vcc
	s_waitcnt lgkmcnt(0)
	global_store_dwordx4 v[1:2], v[16:19], off
	ds_read2_b64 v[1:4], v15 offset1:1
	ds_read2_b64 v[12:15], v6 offset1:1
	v_add_co_u32_e32 v16, vcc, s10, v20
	v_addc_co_u32_e32 v17, vcc, v10, v21, vcc
	s_waitcnt lgkmcnt(1)
	global_store_dwordx4 v[16:17], v[1:4], off
	s_mov_b32 s21, s20
	v_mov_b32_e32 v2, s11
	v_add_co_u32_e32 v1, vcc, s10, v7
	v_addc_co_u32_e32 v2, vcc, v2, v8, vcc
	s_waitcnt lgkmcnt(0)
	global_store_dwordx4 v[1:2], v[12:15], off
.LBB352_22:
	v_ashrrev_i32_e32 v10, 31, v9
	ds_read2_b64 v[1:4], v11 offset1:1
	v_lshlrev_b64 v[6:7], 4, v[9:10]
	v_mov_b32_e32 v8, s17
	v_add_co_u32_e32 v10, vcc, s16, v6
	v_addc_co_u32_e32 v11, vcc, v8, v7, vcc
	ds_read2_b64 v[5:8], v5 offset1:1
	s_waitcnt lgkmcnt(1)
	global_store_dwordx4 v[10:11], v[1:4], off
	s_nop 0
	v_add_u32_e32 v1, s21, v9
	v_mov_b32_e32 v2, 0
	v_lshlrev_b64 v[1:2], 4, v[1:2]
	v_mov_b32_e32 v3, s17
	v_add_co_u32_e32 v1, vcc, s16, v1
	v_addc_co_u32_e32 v2, vcc, v3, v2, vcc
	s_waitcnt lgkmcnt(0)
	global_store_dwordx4 v[1:2], v[5:8], off
	s_or_b64 exec, exec, s[18:19]
	v_cmp_eq_u32_e32 vcc, 0, v0
	s_and_saveexec_b64 s[0:1], vcc
	s_cbranch_execz .LBB352_18
.LBB352_23:
	s_cmp_eq_u32 s7, 0
	s_cbranch_scc1 .LBB352_28
; %bb.24:
	s_load_dword s8, s[4:5], 0x50
	s_cbranch_execnz .LBB352_26
.LBB352_25:
	v_mov_b32_e32 v8, 0
	ds_read_b128 v[0:3], v8 offset:8192
	ds_read_b128 v[4:7], v8 offset:16368
	s_waitcnt lgkmcnt(0)
	s_load_dword s8, s[4:5], 0x50
	s_mov_b32 s0, s7
	s_ashr_i32 s7, s6, 31
	s_lshl_b64 s[10:11], s[6:7], 4
	s_mov_b32 s7, s0
	s_add_u32 s0, s14, s10
	s_addc_u32 s1, s15, s11
	global_store_dwordx4 v8, v[0:3], s[0:1]
	s_waitcnt lgkmcnt(0)
	s_add_i32 s0, s8, s6
	s_mov_b32 s1, 0
	s_lshl_b64 s[0:1], s[0:1], 4
	s_add_u32 s4, s14, s0
	s_addc_u32 s5, s15, s1
	ds_read_b128 v[0:3], v8
	global_store_dwordx4 v8, v[4:7], s[4:5]
	ds_read_b128 v[4:7], v8 offset:8176
	s_add_u32 s4, s2, s10
	s_addc_u32 s5, s3, s11
	s_add_u32 s0, s2, s0
	s_addc_u32 s1, s3, s1
	s_waitcnt lgkmcnt(1)
	global_store_dwordx4 v8, v[0:3], s[4:5]
	s_waitcnt lgkmcnt(0)
	global_store_dwordx4 v8, v[4:7], s[0:1]
.LBB352_26:
	s_waitcnt lgkmcnt(0)
	s_mul_i32 s0, s8, s7
	s_lshl_b32 s0, s0, 1
	s_add_i32 s0, s0, s6
	s_mov_b32 s1, 0
	v_mov_b32_e32 v8, 0
	s_lshl_b64 s[2:3], s[0:1], 4
	ds_read_b128 v[0:3], v8 offset:16384
	ds_read_b128 v[4:7], v8 offset:24560
	s_add_u32 s2, s12, s2
	s_addc_u32 s3, s13, s3
	s_add_i32 s0, s0, s8
	s_lshl_b64 s[0:1], s[0:1], 4
	s_add_u32 s0, s12, s0
	s_addc_u32 s1, s13, s1
	s_waitcnt lgkmcnt(1)
	global_store_dwordx4 v8, v[0:3], s[2:3]
	s_waitcnt lgkmcnt(0)
	global_store_dwordx4 v8, v[4:7], s[0:1]
	s_endpgm
.LBB352_27:
                                        ; implicit-def: $sgpr21
	s_branch .LBB352_21
.LBB352_28:
                                        ; implicit-def: $sgpr8
	s_branch .LBB352_25
	.section	.rodata,"a",@progbits
	.p2align	6, 0x0
	.amdhsa_kernel _ZN9rocsparseL29gtsv_spike_block_level_kernelILj256ELj256E21rocsparse_complex_numIdEEEviiiPT1_PKS3_S6_S4_S4_S4_S4_S4_
		.amdhsa_group_segment_fixed_size 24576
		.amdhsa_private_segment_fixed_size 0
		.amdhsa_kernarg_size 336
		.amdhsa_user_sgpr_count 6
		.amdhsa_user_sgpr_private_segment_buffer 1
		.amdhsa_user_sgpr_dispatch_ptr 0
		.amdhsa_user_sgpr_queue_ptr 0
		.amdhsa_user_sgpr_kernarg_segment_ptr 1
		.amdhsa_user_sgpr_dispatch_id 0
		.amdhsa_user_sgpr_flat_scratch_init 0
		.amdhsa_user_sgpr_private_segment_size 0
		.amdhsa_uses_dynamic_stack 0
		.amdhsa_system_sgpr_private_segment_wavefront_offset 0
		.amdhsa_system_sgpr_workgroup_id_x 1
		.amdhsa_system_sgpr_workgroup_id_y 1
		.amdhsa_system_sgpr_workgroup_id_z 0
		.amdhsa_system_sgpr_workgroup_info 0
		.amdhsa_system_vgpr_workitem_id 0
		.amdhsa_next_free_vgpr 85
		.amdhsa_next_free_sgpr 98
		.amdhsa_reserve_vcc 1
		.amdhsa_reserve_flat_scratch 0
		.amdhsa_float_round_mode_32 0
		.amdhsa_float_round_mode_16_64 0
		.amdhsa_float_denorm_mode_32 3
		.amdhsa_float_denorm_mode_16_64 3
		.amdhsa_dx10_clamp 1
		.amdhsa_ieee_mode 1
		.amdhsa_fp16_overflow 0
		.amdhsa_exception_fp_ieee_invalid_op 0
		.amdhsa_exception_fp_denorm_src 0
		.amdhsa_exception_fp_ieee_div_zero 0
		.amdhsa_exception_fp_ieee_overflow 0
		.amdhsa_exception_fp_ieee_underflow 0
		.amdhsa_exception_fp_ieee_inexact 0
		.amdhsa_exception_int_div_zero 0
	.end_amdhsa_kernel
	.section	.text._ZN9rocsparseL29gtsv_spike_block_level_kernelILj256ELj256E21rocsparse_complex_numIdEEEviiiPT1_PKS3_S6_S4_S4_S4_S4_S4_,"axG",@progbits,_ZN9rocsparseL29gtsv_spike_block_level_kernelILj256ELj256E21rocsparse_complex_numIdEEEviiiPT1_PKS3_S6_S4_S4_S4_S4_S4_,comdat
.Lfunc_end352:
	.size	_ZN9rocsparseL29gtsv_spike_block_level_kernelILj256ELj256E21rocsparse_complex_numIdEEEviiiPT1_PKS3_S6_S4_S4_S4_S4_S4_, .Lfunc_end352-_ZN9rocsparseL29gtsv_spike_block_level_kernelILj256ELj256E21rocsparse_complex_numIdEEEviiiPT1_PKS3_S6_S4_S4_S4_S4_S4_
                                        ; -- End function
	.set _ZN9rocsparseL29gtsv_spike_block_level_kernelILj256ELj256E21rocsparse_complex_numIdEEEviiiPT1_PKS3_S6_S4_S4_S4_S4_S4_.num_vgpr, 65
	.set _ZN9rocsparseL29gtsv_spike_block_level_kernelILj256ELj256E21rocsparse_complex_numIdEEEviiiPT1_PKS3_S6_S4_S4_S4_S4_S4_.num_agpr, 0
	.set _ZN9rocsparseL29gtsv_spike_block_level_kernelILj256ELj256E21rocsparse_complex_numIdEEEviiiPT1_PKS3_S6_S4_S4_S4_S4_S4_.numbered_sgpr, 26
	.set _ZN9rocsparseL29gtsv_spike_block_level_kernelILj256ELj256E21rocsparse_complex_numIdEEEviiiPT1_PKS3_S6_S4_S4_S4_S4_S4_.num_named_barrier, 0
	.set _ZN9rocsparseL29gtsv_spike_block_level_kernelILj256ELj256E21rocsparse_complex_numIdEEEviiiPT1_PKS3_S6_S4_S4_S4_S4_S4_.private_seg_size, 0
	.set _ZN9rocsparseL29gtsv_spike_block_level_kernelILj256ELj256E21rocsparse_complex_numIdEEEviiiPT1_PKS3_S6_S4_S4_S4_S4_S4_.uses_vcc, 1
	.set _ZN9rocsparseL29gtsv_spike_block_level_kernelILj256ELj256E21rocsparse_complex_numIdEEEviiiPT1_PKS3_S6_S4_S4_S4_S4_S4_.uses_flat_scratch, 0
	.set _ZN9rocsparseL29gtsv_spike_block_level_kernelILj256ELj256E21rocsparse_complex_numIdEEEviiiPT1_PKS3_S6_S4_S4_S4_S4_S4_.has_dyn_sized_stack, 0
	.set _ZN9rocsparseL29gtsv_spike_block_level_kernelILj256ELj256E21rocsparse_complex_numIdEEEviiiPT1_PKS3_S6_S4_S4_S4_S4_S4_.has_recursion, 0
	.set _ZN9rocsparseL29gtsv_spike_block_level_kernelILj256ELj256E21rocsparse_complex_numIdEEEviiiPT1_PKS3_S6_S4_S4_S4_S4_S4_.has_indirect_call, 0
	.section	.AMDGPU.csdata,"",@progbits
; Kernel info:
; codeLenInByte = 2380
; TotalNumSgprs: 30
; NumVgprs: 65
; ScratchSize: 0
; MemoryBound: 1
; FloatMode: 240
; IeeeMode: 1
; LDSByteSize: 24576 bytes/workgroup (compile time only)
; SGPRBlocks: 12
; VGPRBlocks: 21
; NumSGPRsForWavesPerEU: 102
; NumVGPRsForWavesPerEU: 85
; Occupancy: 2
; WaveLimiterHint : 0
; COMPUTE_PGM_RSRC2:SCRATCH_EN: 0
; COMPUTE_PGM_RSRC2:USER_SGPR: 6
; COMPUTE_PGM_RSRC2:TRAP_HANDLER: 0
; COMPUTE_PGM_RSRC2:TGID_X_EN: 1
; COMPUTE_PGM_RSRC2:TGID_Y_EN: 1
; COMPUTE_PGM_RSRC2:TGID_Z_EN: 0
; COMPUTE_PGM_RSRC2:TIDIG_COMP_CNT: 0
	.section	.text._ZN9rocsparseL33gtsv_solve_spike_propagate_kernelILj256ELj256E21rocsparse_complex_numIdEEEviiiPT1_PKS3_S6_S6_,"axG",@progbits,_ZN9rocsparseL33gtsv_solve_spike_propagate_kernelILj256ELj256E21rocsparse_complex_numIdEEEviiiPT1_PKS3_S6_S6_,comdat
	.globl	_ZN9rocsparseL33gtsv_solve_spike_propagate_kernelILj256ELj256E21rocsparse_complex_numIdEEEviiiPT1_PKS3_S6_S6_ ; -- Begin function _ZN9rocsparseL33gtsv_solve_spike_propagate_kernelILj256ELj256E21rocsparse_complex_numIdEEEviiiPT1_PKS3_S6_S6_
	.p2align	8
	.type	_ZN9rocsparseL33gtsv_solve_spike_propagate_kernelILj256ELj256E21rocsparse_complex_numIdEEEviiiPT1_PKS3_S6_S6_,@function
_ZN9rocsparseL33gtsv_solve_spike_propagate_kernelILj256ELj256E21rocsparse_complex_numIdEEEviiiPT1_PKS3_S6_S6_: ; @_ZN9rocsparseL33gtsv_solve_spike_propagate_kernelILj256ELj256E21rocsparse_complex_numIdEEEviiiPT1_PKS3_S6_S6_
; %bb.0:
	s_load_dword s10, s[4:5], 0x0
	v_lshl_or_b32 v9, s6, 8, v0
	v_lshlrev_b32_e32 v11, 4, v0
	s_waitcnt lgkmcnt(0)
	s_lshr_b32 s20, s10, 8
	v_cmp_gt_i32_e32 vcc, s20, v9
	v_cmp_le_i32_e64 s[0:1], s20, v9
	s_and_saveexec_b64 s[2:3], s[0:1]
	s_xor_b64 s[2:3], exec, s[2:3]
; %bb.1:
	v_mov_b32_e32 v1, 0
	v_mov_b32_e32 v2, v1
	;; [unrolled: 1-line block ×4, first 2 shown]
	ds_write_b128 v11, v[1:4] offset:16416
; %bb.2:
	s_or_saveexec_b64 s[8:9], s[2:3]
	v_mov_b32_e32 v1, 0
	v_mov_b32_e32 v3, 0
	;; [unrolled: 1-line block ×3, first 2 shown]
	v_ashrrev_i32_e32 v10, 31, v9
	v_mov_b32_e32 v4, 0
	s_mulk_i32 s20, 0xff
	s_xor_b64 exec, exec, s[8:9]
	s_cbranch_execz .LBB353_4
; %bb.3:
	s_load_dwordx2 s[12:13], s[4:5], 0x18
	v_lshlrev_b64 v[1:2], 4, v[9:10]
	s_waitcnt lgkmcnt(0)
	v_mov_b32_e32 v3, s13
	v_add_co_u32_e64 v12, s[2:3], s12, v1
	v_addc_co_u32_e64 v13, s[2:3], v3, v2, s[2:3]
	v_add_u32_e32 v1, s20, v9
	v_mov_b32_e32 v2, 0
	v_lshlrev_b64 v[1:2], 4, v[1:2]
	v_add_co_u32_e64 v14, s[2:3], s12, v1
	v_addc_co_u32_e64 v15, s[2:3], v3, v2, s[2:3]
	global_load_dwordx4 v[5:8], v[12:13], off
	global_load_dwordx4 v[1:4], v[14:15], off
	s_waitcnt vmcnt(1)
	ds_write_b128 v11, v[5:8] offset:16416
.LBB353_4:
	s_or_b64 exec, exec, s[8:9]
	s_waitcnt vmcnt(0)
	ds_write_b128 v11, v[1:4] offset:20512
	s_and_saveexec_b64 s[2:3], s[0:1]
	s_xor_b64 s[0:1], exec, s[2:3]
; %bb.5:
	v_mov_b32_e32 v1, 0
	v_mov_b32_e32 v2, v1
	v_mov_b32_e32 v3, v1
	v_mov_b32_e32 v4, v1
	ds_write_b128 v11, v[1:4] offset:8224
; %bb.6:
	s_or_saveexec_b64 s[8:9], s[0:1]
	s_load_dwordx2 s[2:3], s[4:5], 0x10
	v_mov_b32_e32 v3, 0
	v_mov_b32_e32 v5, 0
	;; [unrolled: 1-line block ×6, first 2 shown]
	s_xor_b64 exec, exec, s[8:9]
	s_cbranch_execz .LBB353_8
; %bb.7:
	s_load_dwordx2 s[12:13], s[4:5], 0x20
	v_lshlrev_b64 v[1:2], 4, v[9:10]
	v_mov_b32_e32 v6, 0
	s_waitcnt lgkmcnt(0)
	v_mov_b32_e32 v5, s13
	v_add_co_u32_e64 v1, s[0:1], s12, v1
	v_addc_co_u32_e64 v2, s[0:1], v5, v2, s[0:1]
	v_add_u32_e32 v5, s20, v9
	v_lshlrev_b64 v[5:6], 4, v[5:6]
	v_mov_b32_e32 v7, s13
	v_add_co_u32_e64 v16, s[0:1], s12, v5
	v_addc_co_u32_e64 v17, s[0:1], v7, v6, s[0:1]
	global_load_dwordx4 v[12:15], v[1:2], off
	global_load_dwordx4 v[5:8], v[16:17], off
	s_waitcnt vmcnt(1)
	ds_write_b128 v11, v[12:15] offset:8224
.LBB353_8:
	s_or_b64 exec, exec, s[8:9]
	v_mov_b32_e32 v1, 0
	v_mov_b32_e32 v2, 0
	s_mul_i32 s10, s10, s7
	s_waitcnt vmcnt(0)
	ds_write_b128 v11, v[5:8] offset:12320
	s_and_saveexec_b64 s[8:9], vcc
	s_cbranch_execz .LBB353_10
; %bb.9:
	s_add_i32 s0, s20, s10
	v_add_u32_e32 v1, s0, v9
	v_mov_b32_e32 v2, 0
	v_lshlrev_b64 v[1:2], 4, v[1:2]
	s_waitcnt lgkmcnt(0)
	v_mov_b32_e32 v3, s3
	v_add_co_u32_e64 v1, s[0:1], s2, v1
	v_addc_co_u32_e64 v2, s[0:1], v3, v2, s[0:1]
	global_load_dwordx4 v[1:4], v[1:2], off
.LBB353_10:
	s_or_b64 exec, exec, s[8:9]
	s_waitcnt vmcnt(0)
	ds_write_b128 v11, v[1:4] offset:16
	v_mov_b32_e32 v3, 0
	v_mov_b32_e32 v1, 0
	;; [unrolled: 1-line block ×4, first 2 shown]
	v_add_u32_e32 v5, s10, v9
	s_and_saveexec_b64 s[8:9], vcc
	s_cbranch_execz .LBB353_12
; %bb.11:
	v_ashrrev_i32_e32 v6, 31, v5
	v_lshlrev_b64 v[1:2], 4, v[5:6]
	s_waitcnt lgkmcnt(0)
	v_mov_b32_e32 v3, s3
	v_add_co_u32_e64 v1, s[0:1], s2, v1
	v_addc_co_u32_e64 v2, s[0:1], v3, v2, s[0:1]
	global_load_dwordx4 v[1:4], v[1:2], off
.LBB353_12:
	s_or_b64 exec, exec, s[8:9]
	v_cmp_eq_u32_e64 s[0:1], 0, v0
	s_waitcnt vmcnt(0)
	ds_write_b128 v11, v[1:4] offset:4112
	s_waitcnt lgkmcnt(0)
	s_barrier
	s_and_saveexec_b64 s[16:17], s[0:1]
	s_cbranch_execz .LBB353_18
; %bb.13:
	s_load_dword s21, s[4:5], 0x30
	s_load_dwordx2 s[18:19], s[4:5], 0x28
	s_cmp_lt_i32 s6, 1
	s_mov_b64 s[10:11], 0
	s_mov_b64 s[14:15], 0
	s_waitcnt lgkmcnt(0)
	s_mul_i32 s7, s7, s21
	s_mov_b64 s[12:13], 0
	s_cbranch_scc1 .LBB353_15
; %bb.14:
	s_lshl_b32 s4, s7, 1
	s_add_i32 s5, s6, s21
	s_add_i32 s4, s5, s4
	s_add_i32 s4, s4, -1
	s_mov_b32 s5, 0
	s_lshl_b64 s[4:5], s[4:5], 4
	s_add_u32 s4, s18, s4
	s_addc_u32 s5, s19, s5
	s_load_dwordx4 s[12:15], s[4:5], 0x0
.LBB353_15:
	s_add_i32 s4, s21, -1
	s_waitcnt lgkmcnt(0)
	v_mov_b32_e32 v6, s12
	v_mov_b32_e32 v7, s13
	;; [unrolled: 1-line block ×5, first 2 shown]
	s_cmp_ge_u32 s6, s4
	s_mov_b64 s[8:9], 0
	ds_write_b128 v1, v[6:9]
	s_cbranch_scc1 .LBB353_17
; %bb.16:
	s_lshl_b32 s4, s7, 1
	s_add_i32 s4, s6, s4
	s_add_i32 s4, s4, 1
	s_mov_b32 s5, 0
	s_lshl_b64 s[4:5], s[4:5], 4
	s_add_u32 s4, s18, s4
	s_addc_u32 s5, s19, s5
	s_load_dwordx4 s[8:11], s[4:5], 0x0
.LBB353_17:
	s_lshl_b32 s4, s7, 1
	s_add_i32 s4, s4, s6
	s_mov_b32 s5, 0
	s_lshl_b64 s[6:7], s[4:5], 4
	s_add_u32 s6, s18, s6
	s_addc_u32 s7, s19, s7
	s_add_i32 s4, s4, s21
	s_lshl_b64 s[4:5], s[4:5], 4
	s_add_u32 s4, s18, s4
	s_addc_u32 s5, s19, s5
	global_load_dwordx4 v[6:9], v1, s[6:7]
	global_load_dwordx4 v[12:15], v1, s[4:5]
	s_waitcnt lgkmcnt(0)
	v_mov_b32_e32 v16, s8
	v_mov_b32_e32 v17, s9
	v_mov_b32_e32 v18, s10
	v_mov_b32_e32 v19, s11
	ds_write_b128 v1, v[16:19] offset:8208
	s_waitcnt vmcnt(1)
	ds_write_b128 v1, v[6:9] offset:4112
	s_waitcnt vmcnt(0)
	ds_write_b128 v1, v[12:15] offset:4096
.LBB353_18:
	s_or_b64 exec, exec, s[16:17]
	v_add_u32_e32 v1, 16, v11
	v_add_u32_e32 v2, 0x1010, v11
	s_waitcnt lgkmcnt(0)
	s_barrier
	s_and_saveexec_b64 s[4:5], s[0:1]
	s_cbranch_execz .LBB353_20
; %bb.19:
	v_mov_b32_e32 v42, 0
	ds_read_b128 v[6:9], v42 offset:8208
	ds_read_b128 v[10:13], v42 offset:14352
	ds_read_b128 v[14:17], v42 offset:10272
	ds_read_b128 v[18:21], v42 offset:6160
	ds_read_b128 v[22:25], v42 offset:2048
	ds_read_b128 v[26:29], v42
	ds_read_b128 v[30:33], v42 offset:22544
	ds_read_b128 v[34:37], v42 offset:18464
	s_waitcnt lgkmcnt(6)
	v_mul_f64 v[3:4], v[8:9], -v[12:13]
	v_mul_f64 v[38:39], v[8:9], v[10:11]
	s_waitcnt lgkmcnt(5)
	v_mul_f64 v[40:41], v[8:9], -v[16:17]
	v_mul_f64 v[8:9], v[8:9], v[14:15]
	v_fma_f64 v[3:4], v[10:11], v[6:7], v[3:4]
	v_fma_f64 v[10:11], v[12:13], v[6:7], v[38:39]
	s_waitcnt lgkmcnt(1)
	v_mul_f64 v[12:13], v[28:29], -v[32:33]
	v_mul_f64 v[38:39], v[28:29], v[30:31]
	v_fma_f64 v[14:15], v[14:15], v[6:7], v[40:41]
	s_waitcnt lgkmcnt(0)
	v_mul_f64 v[40:41], v[28:29], -v[36:37]
	v_mul_f64 v[28:29], v[28:29], v[34:35]
	v_fma_f64 v[6:7], v[16:17], v[6:7], v[8:9]
	v_add_f64 v[3:4], v[22:23], -v[3:4]
	v_add_f64 v[8:9], v[24:25], -v[10:11]
	v_fma_f64 v[10:11], v[30:31], v[26:27], v[12:13]
	v_fma_f64 v[12:13], v[32:33], v[26:27], v[38:39]
	v_add_f64 v[14:15], v[18:19], -v[14:15]
	v_fma_f64 v[16:17], v[34:35], v[26:27], v[40:41]
	v_fma_f64 v[18:19], v[36:37], v[26:27], v[28:29]
	v_add_f64 v[20:21], v[20:21], -v[6:7]
	v_add_f64 v[6:7], v[3:4], -v[10:11]
	;; [unrolled: 1-line block ×5, first 2 shown]
	ds_write_b128 v42, v[6:9] offset:2048
	ds_write_b128 v42, v[10:13] offset:6160
.LBB353_20:
	s_or_b64 exec, exec, s[4:5]
	v_cmp_gt_u32_e64 s[0:1], 2, v0
	s_waitcnt lgkmcnt(0)
	s_barrier
	s_and_saveexec_b64 s[4:5], s[0:1]
	s_cbranch_execz .LBB353_22
; %bb.21:
	v_lshlrev_b32_e32 v42, 11, v0
	ds_read_b128 v[6:9], v42 offset:6160
	ds_read_b128 v[10:13], v42 offset:13328
	ds_read_b128 v[14:17], v42 offset:9248
	ds_read_b128 v[18:21], v42 offset:5136
	ds_read_b128 v[22:25], v42 offset:1024
	ds_read_b128 v[26:29], v42
	ds_read_b128 v[30:33], v42 offset:21520
	ds_read_b128 v[34:37], v42 offset:17440
	s_waitcnt lgkmcnt(6)
	v_mul_f64 v[3:4], v[8:9], -v[12:13]
	v_mul_f64 v[38:39], v[8:9], v[10:11]
	s_waitcnt lgkmcnt(5)
	v_mul_f64 v[40:41], v[8:9], -v[16:17]
	v_mul_f64 v[8:9], v[8:9], v[14:15]
	v_fma_f64 v[3:4], v[10:11], v[6:7], v[3:4]
	v_fma_f64 v[10:11], v[12:13], v[6:7], v[38:39]
	s_waitcnt lgkmcnt(1)
	v_mul_f64 v[12:13], v[28:29], -v[32:33]
	v_mul_f64 v[38:39], v[28:29], v[30:31]
	v_fma_f64 v[14:15], v[14:15], v[6:7], v[40:41]
	s_waitcnt lgkmcnt(0)
	v_mul_f64 v[40:41], v[28:29], -v[36:37]
	v_mul_f64 v[28:29], v[28:29], v[34:35]
	v_fma_f64 v[6:7], v[16:17], v[6:7], v[8:9]
	v_add_f64 v[3:4], v[22:23], -v[3:4]
	v_add_f64 v[8:9], v[24:25], -v[10:11]
	v_fma_f64 v[10:11], v[30:31], v[26:27], v[12:13]
	v_fma_f64 v[12:13], v[32:33], v[26:27], v[38:39]
	v_add_f64 v[14:15], v[18:19], -v[14:15]
	v_fma_f64 v[16:17], v[34:35], v[26:27], v[40:41]
	v_fma_f64 v[18:19], v[36:37], v[26:27], v[28:29]
	v_add_f64 v[20:21], v[20:21], -v[6:7]
	v_add_f64 v[6:7], v[3:4], -v[10:11]
	v_add_f64 v[8:9], v[8:9], -v[12:13]
	v_add_f64 v[10:11], v[14:15], -v[16:17]
	v_add_f64 v[12:13], v[20:21], -v[18:19]
	ds_write_b128 v42, v[6:9] offset:1024
	ds_write_b128 v42, v[10:13] offset:5136
.LBB353_22:
	s_or_b64 exec, exec, s[4:5]
	v_cmp_gt_u32_e64 s[0:1], 4, v0
	s_waitcnt lgkmcnt(0)
	s_barrier
	s_and_saveexec_b64 s[4:5], s[0:1]
	s_cbranch_execz .LBB353_24
; %bb.23:
	v_lshlrev_b32_e32 v42, 10, v0
	ds_read_b128 v[6:9], v42 offset:5136
	ds_read_b128 v[10:13], v42 offset:12816
	ds_read_b128 v[14:17], v42 offset:8736
	ds_read_b128 v[18:21], v42 offset:4624
	ds_read_b128 v[22:25], v42 offset:512
	ds_read_b128 v[26:29], v42
	ds_read_b128 v[30:33], v42 offset:21008
	ds_read_b128 v[34:37], v42 offset:16928
	s_waitcnt lgkmcnt(6)
	v_mul_f64 v[3:4], v[8:9], -v[12:13]
	v_mul_f64 v[38:39], v[8:9], v[10:11]
	s_waitcnt lgkmcnt(5)
	v_mul_f64 v[40:41], v[8:9], -v[16:17]
	v_mul_f64 v[8:9], v[8:9], v[14:15]
	v_fma_f64 v[3:4], v[10:11], v[6:7], v[3:4]
	v_fma_f64 v[10:11], v[12:13], v[6:7], v[38:39]
	s_waitcnt lgkmcnt(1)
	v_mul_f64 v[12:13], v[28:29], -v[32:33]
	v_mul_f64 v[38:39], v[28:29], v[30:31]
	v_fma_f64 v[14:15], v[14:15], v[6:7], v[40:41]
	s_waitcnt lgkmcnt(0)
	v_mul_f64 v[40:41], v[28:29], -v[36:37]
	v_mul_f64 v[28:29], v[28:29], v[34:35]
	v_fma_f64 v[6:7], v[16:17], v[6:7], v[8:9]
	v_add_f64 v[3:4], v[22:23], -v[3:4]
	v_add_f64 v[8:9], v[24:25], -v[10:11]
	v_fma_f64 v[10:11], v[30:31], v[26:27], v[12:13]
	v_fma_f64 v[12:13], v[32:33], v[26:27], v[38:39]
	v_add_f64 v[14:15], v[18:19], -v[14:15]
	v_fma_f64 v[16:17], v[34:35], v[26:27], v[40:41]
	v_fma_f64 v[18:19], v[36:37], v[26:27], v[28:29]
	v_add_f64 v[20:21], v[20:21], -v[6:7]
	v_add_f64 v[6:7], v[3:4], -v[10:11]
	v_add_f64 v[8:9], v[8:9], -v[12:13]
	v_add_f64 v[10:11], v[14:15], -v[16:17]
	v_add_f64 v[12:13], v[20:21], -v[18:19]
	ds_write_b128 v42, v[6:9] offset:512
	ds_write_b128 v42, v[10:13] offset:4624
.LBB353_24:
	s_or_b64 exec, exec, s[4:5]
	v_cmp_gt_u32_e64 s[0:1], 8, v0
	s_waitcnt lgkmcnt(0)
	s_barrier
	s_and_saveexec_b64 s[4:5], s[0:1]
	s_cbranch_execz .LBB353_26
; %bb.25:
	v_lshlrev_b32_e32 v42, 9, v0
	ds_read_b128 v[6:9], v42 offset:4624
	ds_read_b128 v[10:13], v42 offset:12560
	ds_read_b128 v[14:17], v42 offset:8480
	ds_read_b128 v[18:21], v42 offset:4368
	ds_read_b128 v[22:25], v42 offset:256
	ds_read_b128 v[26:29], v42
	ds_read_b128 v[30:33], v42 offset:20752
	ds_read_b128 v[34:37], v42 offset:16672
	s_waitcnt lgkmcnt(6)
	v_mul_f64 v[3:4], v[8:9], -v[12:13]
	v_mul_f64 v[38:39], v[8:9], v[10:11]
	s_waitcnt lgkmcnt(5)
	v_mul_f64 v[40:41], v[8:9], -v[16:17]
	v_mul_f64 v[8:9], v[8:9], v[14:15]
	v_fma_f64 v[3:4], v[10:11], v[6:7], v[3:4]
	v_fma_f64 v[10:11], v[12:13], v[6:7], v[38:39]
	s_waitcnt lgkmcnt(1)
	v_mul_f64 v[12:13], v[28:29], -v[32:33]
	v_mul_f64 v[38:39], v[28:29], v[30:31]
	v_fma_f64 v[14:15], v[14:15], v[6:7], v[40:41]
	s_waitcnt lgkmcnt(0)
	v_mul_f64 v[40:41], v[28:29], -v[36:37]
	v_mul_f64 v[28:29], v[28:29], v[34:35]
	v_fma_f64 v[6:7], v[16:17], v[6:7], v[8:9]
	v_add_f64 v[3:4], v[22:23], -v[3:4]
	v_add_f64 v[8:9], v[24:25], -v[10:11]
	v_fma_f64 v[10:11], v[30:31], v[26:27], v[12:13]
	v_fma_f64 v[12:13], v[32:33], v[26:27], v[38:39]
	v_add_f64 v[14:15], v[18:19], -v[14:15]
	v_fma_f64 v[16:17], v[34:35], v[26:27], v[40:41]
	v_fma_f64 v[18:19], v[36:37], v[26:27], v[28:29]
	v_add_f64 v[20:21], v[20:21], -v[6:7]
	v_add_f64 v[6:7], v[3:4], -v[10:11]
	v_add_f64 v[8:9], v[8:9], -v[12:13]
	v_add_f64 v[10:11], v[14:15], -v[16:17]
	v_add_f64 v[12:13], v[20:21], -v[18:19]
	ds_write_b128 v42, v[6:9] offset:256
	ds_write_b128 v42, v[10:13] offset:4368
.LBB353_26:
	s_or_b64 exec, exec, s[4:5]
	v_cmp_gt_u32_e64 s[0:1], 16, v0
	s_waitcnt lgkmcnt(0)
	s_barrier
	s_and_saveexec_b64 s[4:5], s[0:1]
	s_cbranch_execz .LBB353_28
; %bb.27:
	v_lshlrev_b32_e32 v42, 8, v0
	ds_read_b128 v[6:9], v42 offset:4368
	ds_read_b128 v[10:13], v42 offset:12432
	ds_read_b128 v[14:17], v42 offset:8352
	ds_read_b128 v[18:21], v42 offset:4240
	ds_read_b128 v[22:25], v42 offset:128
	ds_read_b128 v[26:29], v42
	ds_read_b128 v[30:33], v42 offset:20624
	ds_read_b128 v[34:37], v42 offset:16544
	s_waitcnt lgkmcnt(6)
	v_mul_f64 v[3:4], v[8:9], -v[12:13]
	v_mul_f64 v[38:39], v[8:9], v[10:11]
	s_waitcnt lgkmcnt(5)
	v_mul_f64 v[40:41], v[8:9], -v[16:17]
	v_mul_f64 v[8:9], v[8:9], v[14:15]
	v_fma_f64 v[3:4], v[10:11], v[6:7], v[3:4]
	v_fma_f64 v[10:11], v[12:13], v[6:7], v[38:39]
	s_waitcnt lgkmcnt(1)
	v_mul_f64 v[12:13], v[28:29], -v[32:33]
	v_mul_f64 v[38:39], v[28:29], v[30:31]
	v_fma_f64 v[14:15], v[14:15], v[6:7], v[40:41]
	s_waitcnt lgkmcnt(0)
	v_mul_f64 v[40:41], v[28:29], -v[36:37]
	v_mul_f64 v[28:29], v[28:29], v[34:35]
	v_fma_f64 v[6:7], v[16:17], v[6:7], v[8:9]
	v_add_f64 v[3:4], v[22:23], -v[3:4]
	v_add_f64 v[8:9], v[24:25], -v[10:11]
	v_fma_f64 v[10:11], v[30:31], v[26:27], v[12:13]
	v_fma_f64 v[12:13], v[32:33], v[26:27], v[38:39]
	v_add_f64 v[14:15], v[18:19], -v[14:15]
	v_fma_f64 v[16:17], v[34:35], v[26:27], v[40:41]
	v_fma_f64 v[18:19], v[36:37], v[26:27], v[28:29]
	v_add_f64 v[20:21], v[20:21], -v[6:7]
	v_add_f64 v[6:7], v[3:4], -v[10:11]
	v_add_f64 v[8:9], v[8:9], -v[12:13]
	v_add_f64 v[10:11], v[14:15], -v[16:17]
	v_add_f64 v[12:13], v[20:21], -v[18:19]
	ds_write_b128 v42, v[6:9] offset:128
	ds_write_b128 v42, v[10:13] offset:4240
.LBB353_28:
	s_or_b64 exec, exec, s[4:5]
	v_cmp_gt_u32_e64 s[0:1], 32, v0
	s_waitcnt lgkmcnt(0)
	s_barrier
	s_and_saveexec_b64 s[4:5], s[0:1]
	s_cbranch_execz .LBB353_30
; %bb.29:
	v_lshlrev_b32_e32 v42, 7, v0
	ds_read_b128 v[6:9], v42 offset:4240
	ds_read_b128 v[10:13], v42 offset:12368
	ds_read_b128 v[14:17], v42 offset:8288
	ds_read_b128 v[18:21], v42 offset:4176
	ds_read_b128 v[22:25], v42 offset:64
	ds_read_b128 v[26:29], v42
	ds_read_b128 v[30:33], v42 offset:20560
	ds_read_b128 v[34:37], v42 offset:16480
	s_waitcnt lgkmcnt(6)
	v_mul_f64 v[3:4], v[8:9], -v[12:13]
	v_mul_f64 v[38:39], v[8:9], v[10:11]
	s_waitcnt lgkmcnt(5)
	v_mul_f64 v[40:41], v[8:9], -v[16:17]
	v_mul_f64 v[8:9], v[8:9], v[14:15]
	v_fma_f64 v[3:4], v[10:11], v[6:7], v[3:4]
	v_fma_f64 v[10:11], v[12:13], v[6:7], v[38:39]
	s_waitcnt lgkmcnt(1)
	v_mul_f64 v[12:13], v[28:29], -v[32:33]
	v_mul_f64 v[38:39], v[28:29], v[30:31]
	v_fma_f64 v[14:15], v[14:15], v[6:7], v[40:41]
	s_waitcnt lgkmcnt(0)
	v_mul_f64 v[40:41], v[28:29], -v[36:37]
	v_mul_f64 v[28:29], v[28:29], v[34:35]
	v_fma_f64 v[6:7], v[16:17], v[6:7], v[8:9]
	v_add_f64 v[3:4], v[22:23], -v[3:4]
	v_add_f64 v[8:9], v[24:25], -v[10:11]
	v_fma_f64 v[10:11], v[30:31], v[26:27], v[12:13]
	v_fma_f64 v[12:13], v[32:33], v[26:27], v[38:39]
	v_add_f64 v[14:15], v[18:19], -v[14:15]
	v_fma_f64 v[16:17], v[34:35], v[26:27], v[40:41]
	v_fma_f64 v[18:19], v[36:37], v[26:27], v[28:29]
	v_add_f64 v[20:21], v[20:21], -v[6:7]
	v_add_f64 v[6:7], v[3:4], -v[10:11]
	v_add_f64 v[8:9], v[8:9], -v[12:13]
	v_add_f64 v[10:11], v[14:15], -v[16:17]
	v_add_f64 v[12:13], v[20:21], -v[18:19]
	ds_write_b128 v42, v[6:9] offset:64
	ds_write_b128 v42, v[10:13] offset:4176
.LBB353_30:
	s_or_b64 exec, exec, s[4:5]
	v_cmp_gt_u32_e64 s[0:1], 64, v0
	s_waitcnt lgkmcnt(0)
	s_barrier
	s_and_saveexec_b64 s[4:5], s[0:1]
	s_cbranch_execz .LBB353_32
; %bb.31:
	v_lshlrev_b32_e32 v42, 6, v0
	ds_read_b128 v[6:9], v42 offset:4176
	ds_read_b128 v[10:13], v42 offset:12336
	;; [unrolled: 1-line block ×4, first 2 shown]
	ds_read_b128 v[22:25], v42
	ds_read_b128 v[26:29], v42 offset:32
	ds_read_b128 v[30:33], v42 offset:20528
	;; [unrolled: 1-line block ×3, first 2 shown]
	s_waitcnt lgkmcnt(6)
	v_mul_f64 v[3:4], v[8:9], -v[12:13]
	v_mul_f64 v[38:39], v[8:9], v[10:11]
	s_waitcnt lgkmcnt(5)
	v_mul_f64 v[40:41], v[8:9], -v[16:17]
	v_mul_f64 v[8:9], v[8:9], v[14:15]
	v_fma_f64 v[3:4], v[10:11], v[6:7], v[3:4]
	v_fma_f64 v[10:11], v[12:13], v[6:7], v[38:39]
	s_waitcnt lgkmcnt(1)
	v_mul_f64 v[12:13], v[24:25], -v[32:33]
	v_mul_f64 v[38:39], v[24:25], v[30:31]
	v_fma_f64 v[14:15], v[14:15], v[6:7], v[40:41]
	s_waitcnt lgkmcnt(0)
	v_mul_f64 v[40:41], v[24:25], -v[36:37]
	v_mul_f64 v[24:25], v[24:25], v[34:35]
	v_fma_f64 v[6:7], v[16:17], v[6:7], v[8:9]
	v_add_f64 v[3:4], v[26:27], -v[3:4]
	v_add_f64 v[8:9], v[28:29], -v[10:11]
	v_fma_f64 v[10:11], v[30:31], v[22:23], v[12:13]
	v_fma_f64 v[12:13], v[32:33], v[22:23], v[38:39]
	v_add_f64 v[14:15], v[18:19], -v[14:15]
	v_fma_f64 v[16:17], v[34:35], v[22:23], v[40:41]
	v_fma_f64 v[18:19], v[36:37], v[22:23], v[24:25]
	v_add_f64 v[20:21], v[20:21], -v[6:7]
	v_add_f64 v[6:7], v[3:4], -v[10:11]
	;; [unrolled: 1-line block ×5, first 2 shown]
	ds_write_b128 v42, v[6:9] offset:32
	ds_write_b128 v42, v[10:13] offset:4144
.LBB353_32:
	s_or_b64 exec, exec, s[4:5]
	s_movk_i32 s0, 0x80
	v_cmp_gt_u32_e64 s[0:1], s0, v0
	s_waitcnt lgkmcnt(0)
	s_barrier
	s_and_saveexec_b64 s[4:5], s[0:1]
	s_cbranch_execz .LBB353_34
; %bb.33:
	v_lshlrev_b32_e32 v0, 5, v0
	ds_read_b128 v[6:9], v0 offset:4144
	ds_read_b128 v[10:13], v0 offset:12320
	ds_read_b128 v[14:17], v0 offset:8240
	ds_read_b128 v[18:21], v0 offset:4128
	ds_read_b128 v[22:25], v0
	ds_read_b128 v[26:29], v0 offset:16
	ds_read_b128 v[30:33], v0 offset:20512
	;; [unrolled: 1-line block ×3, first 2 shown]
	s_waitcnt lgkmcnt(6)
	v_mul_f64 v[3:4], v[8:9], -v[12:13]
	v_mul_f64 v[38:39], v[8:9], v[10:11]
	s_waitcnt lgkmcnt(5)
	v_mul_f64 v[40:41], v[8:9], -v[16:17]
	v_mul_f64 v[8:9], v[8:9], v[14:15]
	v_fma_f64 v[3:4], v[10:11], v[6:7], v[3:4]
	v_fma_f64 v[10:11], v[12:13], v[6:7], v[38:39]
	s_waitcnt lgkmcnt(1)
	v_mul_f64 v[12:13], v[24:25], -v[32:33]
	v_mul_f64 v[38:39], v[24:25], v[30:31]
	v_fma_f64 v[14:15], v[14:15], v[6:7], v[40:41]
	s_waitcnt lgkmcnt(0)
	v_mul_f64 v[40:41], v[24:25], -v[36:37]
	v_mul_f64 v[24:25], v[24:25], v[34:35]
	v_fma_f64 v[6:7], v[16:17], v[6:7], v[8:9]
	v_add_f64 v[3:4], v[26:27], -v[3:4]
	v_add_f64 v[8:9], v[28:29], -v[10:11]
	v_fma_f64 v[10:11], v[30:31], v[22:23], v[12:13]
	v_fma_f64 v[12:13], v[32:33], v[22:23], v[38:39]
	v_add_f64 v[14:15], v[18:19], -v[14:15]
	v_fma_f64 v[16:17], v[34:35], v[22:23], v[40:41]
	v_fma_f64 v[18:19], v[36:37], v[22:23], v[24:25]
	v_add_f64 v[20:21], v[20:21], -v[6:7]
	v_add_f64 v[6:7], v[3:4], -v[10:11]
	;; [unrolled: 1-line block ×5, first 2 shown]
	ds_write_b128 v0, v[6:9] offset:16
	ds_write_b128 v0, v[10:13] offset:4128
.LBB353_34:
	s_or_b64 exec, exec, s[4:5]
	s_waitcnt lgkmcnt(0)
	s_barrier
	s_and_saveexec_b64 s[0:1], vcc
	s_cbranch_execz .LBB353_36
; %bb.35:
	v_ashrrev_i32_e32 v6, 31, v5
	v_lshlrev_b64 v[3:4], 4, v[5:6]
	ds_read2_b64 v[6:9], v2 offset1:1
	v_mov_b32_e32 v0, s3
	v_add_co_u32_e32 v10, vcc, s2, v3
	v_addc_co_u32_e32 v11, vcc, v0, v4, vcc
	ds_read2_b64 v[0:3], v1 offset1:1
	v_add_u32_e32 v4, s20, v5
	v_mov_b32_e32 v5, 0
	v_lshlrev_b64 v[4:5], 4, v[4:5]
	s_waitcnt lgkmcnt(1)
	global_store_dwordx4 v[10:11], v[6:9], off
	v_add_co_u32_e32 v4, vcc, s2, v4
	v_mov_b32_e32 v6, s3
	v_addc_co_u32_e32 v5, vcc, v6, v5, vcc
	s_waitcnt lgkmcnt(0)
	global_store_dwordx4 v[4:5], v[0:3], off
.LBB353_36:
	s_endpgm
	.section	.rodata,"a",@progbits
	.p2align	6, 0x0
	.amdhsa_kernel _ZN9rocsparseL33gtsv_solve_spike_propagate_kernelILj256ELj256E21rocsparse_complex_numIdEEEviiiPT1_PKS3_S6_S6_
		.amdhsa_group_segment_fixed_size 24608
		.amdhsa_private_segment_fixed_size 0
		.amdhsa_kernarg_size 304
		.amdhsa_user_sgpr_count 6
		.amdhsa_user_sgpr_private_segment_buffer 1
		.amdhsa_user_sgpr_dispatch_ptr 0
		.amdhsa_user_sgpr_queue_ptr 0
		.amdhsa_user_sgpr_kernarg_segment_ptr 1
		.amdhsa_user_sgpr_dispatch_id 0
		.amdhsa_user_sgpr_flat_scratch_init 0
		.amdhsa_user_sgpr_private_segment_size 0
		.amdhsa_uses_dynamic_stack 0
		.amdhsa_system_sgpr_private_segment_wavefront_offset 0
		.amdhsa_system_sgpr_workgroup_id_x 1
		.amdhsa_system_sgpr_workgroup_id_y 1
		.amdhsa_system_sgpr_workgroup_id_z 0
		.amdhsa_system_sgpr_workgroup_info 0
		.amdhsa_system_vgpr_workitem_id 0
		.amdhsa_next_free_vgpr 85
		.amdhsa_next_free_sgpr 98
		.amdhsa_reserve_vcc 1
		.amdhsa_reserve_flat_scratch 0
		.amdhsa_float_round_mode_32 0
		.amdhsa_float_round_mode_16_64 0
		.amdhsa_float_denorm_mode_32 3
		.amdhsa_float_denorm_mode_16_64 3
		.amdhsa_dx10_clamp 1
		.amdhsa_ieee_mode 1
		.amdhsa_fp16_overflow 0
		.amdhsa_exception_fp_ieee_invalid_op 0
		.amdhsa_exception_fp_denorm_src 0
		.amdhsa_exception_fp_ieee_div_zero 0
		.amdhsa_exception_fp_ieee_overflow 0
		.amdhsa_exception_fp_ieee_underflow 0
		.amdhsa_exception_fp_ieee_inexact 0
		.amdhsa_exception_int_div_zero 0
	.end_amdhsa_kernel
	.section	.text._ZN9rocsparseL33gtsv_solve_spike_propagate_kernelILj256ELj256E21rocsparse_complex_numIdEEEviiiPT1_PKS3_S6_S6_,"axG",@progbits,_ZN9rocsparseL33gtsv_solve_spike_propagate_kernelILj256ELj256E21rocsparse_complex_numIdEEEviiiPT1_PKS3_S6_S6_,comdat
.Lfunc_end353:
	.size	_ZN9rocsparseL33gtsv_solve_spike_propagate_kernelILj256ELj256E21rocsparse_complex_numIdEEEviiiPT1_PKS3_S6_S6_, .Lfunc_end353-_ZN9rocsparseL33gtsv_solve_spike_propagate_kernelILj256ELj256E21rocsparse_complex_numIdEEEviiiPT1_PKS3_S6_S6_
                                        ; -- End function
	.set _ZN9rocsparseL33gtsv_solve_spike_propagate_kernelILj256ELj256E21rocsparse_complex_numIdEEEviiiPT1_PKS3_S6_S6_.num_vgpr, 43
	.set _ZN9rocsparseL33gtsv_solve_spike_propagate_kernelILj256ELj256E21rocsparse_complex_numIdEEEviiiPT1_PKS3_S6_S6_.num_agpr, 0
	.set _ZN9rocsparseL33gtsv_solve_spike_propagate_kernelILj256ELj256E21rocsparse_complex_numIdEEEviiiPT1_PKS3_S6_S6_.numbered_sgpr, 22
	.set _ZN9rocsparseL33gtsv_solve_spike_propagate_kernelILj256ELj256E21rocsparse_complex_numIdEEEviiiPT1_PKS3_S6_S6_.num_named_barrier, 0
	.set _ZN9rocsparseL33gtsv_solve_spike_propagate_kernelILj256ELj256E21rocsparse_complex_numIdEEEviiiPT1_PKS3_S6_S6_.private_seg_size, 0
	.set _ZN9rocsparseL33gtsv_solve_spike_propagate_kernelILj256ELj256E21rocsparse_complex_numIdEEEviiiPT1_PKS3_S6_S6_.uses_vcc, 1
	.set _ZN9rocsparseL33gtsv_solve_spike_propagate_kernelILj256ELj256E21rocsparse_complex_numIdEEEviiiPT1_PKS3_S6_S6_.uses_flat_scratch, 0
	.set _ZN9rocsparseL33gtsv_solve_spike_propagate_kernelILj256ELj256E21rocsparse_complex_numIdEEEviiiPT1_PKS3_S6_S6_.has_dyn_sized_stack, 0
	.set _ZN9rocsparseL33gtsv_solve_spike_propagate_kernelILj256ELj256E21rocsparse_complex_numIdEEEviiiPT1_PKS3_S6_S6_.has_recursion, 0
	.set _ZN9rocsparseL33gtsv_solve_spike_propagate_kernelILj256ELj256E21rocsparse_complex_numIdEEEviiiPT1_PKS3_S6_S6_.has_indirect_call, 0
	.section	.AMDGPU.csdata,"",@progbits
; Kernel info:
; codeLenInByte = 3580
; TotalNumSgprs: 26
; NumVgprs: 43
; ScratchSize: 0
; MemoryBound: 0
; FloatMode: 240
; IeeeMode: 1
; LDSByteSize: 24608 bytes/workgroup (compile time only)
; SGPRBlocks: 12
; VGPRBlocks: 21
; NumSGPRsForWavesPerEU: 102
; NumVGPRsForWavesPerEU: 85
; Occupancy: 2
; WaveLimiterHint : 0
; COMPUTE_PGM_RSRC2:SCRATCH_EN: 0
; COMPUTE_PGM_RSRC2:USER_SGPR: 6
; COMPUTE_PGM_RSRC2:TRAP_HANDLER: 0
; COMPUTE_PGM_RSRC2:TGID_X_EN: 1
; COMPUTE_PGM_RSRC2:TGID_Y_EN: 1
; COMPUTE_PGM_RSRC2:TGID_Z_EN: 0
; COMPUTE_PGM_RSRC2:TIDIG_COMP_CNT: 0
	.section	.text._ZN9rocsparseL39gtsv_spike_backward_substitution_kernelILj256ELj256E21rocsparse_complex_numIdEEEviiiPT1_PKS3_S6_,"axG",@progbits,_ZN9rocsparseL39gtsv_spike_backward_substitution_kernelILj256ELj256E21rocsparse_complex_numIdEEEviiiPT1_PKS3_S6_,comdat
	.globl	_ZN9rocsparseL39gtsv_spike_backward_substitution_kernelILj256ELj256E21rocsparse_complex_numIdEEEviiiPT1_PKS3_S6_ ; -- Begin function _ZN9rocsparseL39gtsv_spike_backward_substitution_kernelILj256ELj256E21rocsparse_complex_numIdEEEviiiPT1_PKS3_S6_
	.p2align	8
	.type	_ZN9rocsparseL39gtsv_spike_backward_substitution_kernelILj256ELj256E21rocsparse_complex_numIdEEEviiiPT1_PKS3_S6_,@function
_ZN9rocsparseL39gtsv_spike_backward_substitution_kernelILj256ELj256E21rocsparse_complex_numIdEEEviiiPT1_PKS3_S6_: ; @_ZN9rocsparseL39gtsv_spike_backward_substitution_kernelILj256ELj256E21rocsparse_complex_numIdEEEviiiPT1_PKS3_S6_
; %bb.0:
	s_load_dword s12, s[4:5], 0x0
	s_lshl_b32 s6, s6, 8
	v_or_b32_e32 v9, s6, v0
	s_waitcnt lgkmcnt(0)
	s_lshr_b32 s10, s12, 8
	v_cmp_gt_i32_e32 vcc, s10, v9
	s_and_saveexec_b64 s[0:1], vcc
	s_cbranch_execz .LBB354_7
; %bb.1:
	s_load_dwordx2 s[8:9], s[4:5], 0x10
	v_mov_b32_e32 v1, 0
	v_mov_b32_e32 v3, 0
	v_cmp_lt_i32_e32 vcc, 0, v9
	v_mov_b32_e32 v2, 0
	v_mov_b32_e32 v4, 0
	s_mul_i32 s11, s12, s7
	s_and_saveexec_b64 s[0:1], vcc
	s_cbranch_execz .LBB354_3
; %bb.2:
	s_mul_i32 s2, s10, 0xff
	s_mul_i32 s3, s12, s7
	s_add_i32 s2, s2, s3
	v_add3_u32 v1, v9, s2, -1
	v_mov_b32_e32 v2, 0
	v_lshlrev_b64 v[1:2], 4, v[1:2]
	s_waitcnt lgkmcnt(0)
	v_mov_b32_e32 v3, s9
	v_add_co_u32_e32 v1, vcc, s8, v1
	v_addc_co_u32_e32 v2, vcc, v3, v2, vcc
	global_load_dwordx4 v[1:4], v[1:2], off
.LBB354_3:
	s_or_b64 exec, exec, s[0:1]
	s_load_dwordx4 s[0:3], s[4:5], 0x18
	v_add_u32_e32 v5, 0x100, v9
	v_cmp_le_u32_e32 vcc, s12, v5
	s_and_saveexec_b64 s[4:5], vcc
	s_xor_b64 s[4:5], exec, s[4:5]
	s_or_saveexec_b64 s[4:5], s[4:5]
	v_mov_b32_e32 v5, 0
	v_mov_b32_e32 v7, 0
	;; [unrolled: 1-line block ×5, first 2 shown]
	s_xor_b64 exec, exec, s[4:5]
	s_cbranch_execz .LBB354_5
; %bb.4:
	s_ashr_i32 s7, s11, 31
	v_ashrrev_i32_e32 v6, 31, v9
	v_mov_b32_e32 v7, s7
	v_add_co_u32_e32 v5, vcc, s11, v9
	v_addc_co_u32_e32 v6, vcc, v6, v7, vcc
	v_lshlrev_b64 v[5:6], 4, v[5:6]
	s_waitcnt lgkmcnt(0)
	v_mov_b32_e32 v7, s9
	v_add_co_u32_e32 v5, vcc, s8, v5
	v_addc_co_u32_e32 v6, vcc, v7, v6, vcc
	global_load_dwordx4 v[5:8], v[5:6], off offset:16
	v_mov_b32_e32 v13, s11
.LBB354_5:
	s_or_b64 exec, exec, s[4:5]
	s_lshl_b32 s4, s10, 1
	s_add_i32 s6, s6, s10
	v_add_u32_e32 v9, s4, v9
	v_add_u32_e32 v11, s6, v0
	s_movk_i32 s5, 0xfe
	s_waitcnt lgkmcnt(0)
	v_mov_b32_e32 v0, s9
	v_mov_b32_e32 v14, s1
	;; [unrolled: 1-line block ×3, first 2 shown]
.LBB354_6:                              ; =>This Inner Loop Header: Depth=1
	v_add_u32_e32 v16, v13, v11
	v_ashrrev_i32_e32 v17, 31, v16
	v_lshlrev_b64 v[16:17], 4, v[16:17]
	v_ashrrev_i32_e32 v12, 31, v11
	v_add_co_u32_e32 v20, vcc, s8, v16
	v_lshlrev_b64 v[22:23], 4, v[11:12]
	v_addc_co_u32_e32 v21, vcc, v0, v17, vcc
	v_add_co_u32_e32 v16, vcc, s0, v22
	v_addc_co_u32_e32 v17, vcc, v14, v23, vcc
	global_load_dwordx4 v[16:19], v[16:17], off
	v_ashrrev_i32_e32 v10, 31, v9
	s_add_i32 s5, s5, -2
	v_add_u32_e32 v11, s4, v11
	s_cmp_lg_u32 s5, 0
	s_waitcnt vmcnt(0)
	v_mul_f64 v[24:25], v[3:4], -v[18:19]
	v_fma_f64 v[24:25], v[16:17], v[1:2], v[24:25]
	v_mul_f64 v[16:17], v[3:4], v[16:17]
	v_fma_f64 v[26:27], v[18:19], v[1:2], v[16:17]
	global_load_dwordx4 v[16:19], v[20:21], off
	s_waitcnt vmcnt(0)
	v_add_f64 v[24:25], v[16:17], -v[24:25]
	v_add_co_u32_e32 v16, vcc, s2, v22
	v_addc_co_u32_e32 v17, vcc, v15, v23, vcc
	v_add_f64 v[26:27], v[18:19], -v[26:27]
	global_load_dwordx4 v[16:19], v[16:17], off
	s_waitcnt vmcnt(0)
	v_mul_f64 v[22:23], v[7:8], -v[18:19]
	v_fma_f64 v[22:23], v[16:17], v[5:6], v[22:23]
	v_mul_f64 v[16:17], v[7:8], v[16:17]
	v_fma_f64 v[18:19], v[18:19], v[5:6], v[16:17]
	v_add_f64 v[16:17], v[24:25], -v[22:23]
	v_lshlrev_b64 v[22:23], 4, v[9:10]
	v_add_f64 v[18:19], v[26:27], -v[18:19]
	global_store_dwordx4 v[20:21], v[16:19], off
	s_nop 0
	v_add_u32_e32 v16, v13, v9
	v_ashrrev_i32_e32 v17, 31, v16
	v_lshlrev_b64 v[16:17], 4, v[16:17]
	v_add_u32_e32 v9, s4, v9
	v_add_co_u32_e32 v20, vcc, s8, v16
	v_addc_co_u32_e32 v21, vcc, v0, v17, vcc
	v_add_co_u32_e32 v16, vcc, s0, v22
	v_addc_co_u32_e32 v17, vcc, v14, v23, vcc
	global_load_dwordx4 v[16:19], v[16:17], off
	s_waitcnt vmcnt(0)
	v_mul_f64 v[24:25], v[3:4], -v[18:19]
	v_fma_f64 v[24:25], v[16:17], v[1:2], v[24:25]
	v_mul_f64 v[16:17], v[3:4], v[16:17]
	v_fma_f64 v[26:27], v[18:19], v[1:2], v[16:17]
	global_load_dwordx4 v[16:19], v[20:21], off
	s_waitcnt vmcnt(0)
	v_add_f64 v[24:25], v[16:17], -v[24:25]
	v_add_co_u32_e32 v16, vcc, s2, v22
	v_addc_co_u32_e32 v17, vcc, v15, v23, vcc
	v_add_f64 v[26:27], v[18:19], -v[26:27]
	global_load_dwordx4 v[16:19], v[16:17], off
	s_waitcnt vmcnt(0)
	v_mul_f64 v[22:23], v[7:8], -v[18:19]
	v_fma_f64 v[22:23], v[16:17], v[5:6], v[22:23]
	v_mul_f64 v[16:17], v[7:8], v[16:17]
	v_fma_f64 v[18:19], v[18:19], v[5:6], v[16:17]
	v_add_f64 v[16:17], v[24:25], -v[22:23]
	v_add_f64 v[18:19], v[26:27], -v[18:19]
	global_store_dwordx4 v[20:21], v[16:19], off
	s_cbranch_scc1 .LBB354_6
.LBB354_7:
	s_endpgm
	.section	.rodata,"a",@progbits
	.p2align	6, 0x0
	.amdhsa_kernel _ZN9rocsparseL39gtsv_spike_backward_substitution_kernelILj256ELj256E21rocsparse_complex_numIdEEEviiiPT1_PKS3_S6_
		.amdhsa_group_segment_fixed_size 0
		.amdhsa_private_segment_fixed_size 0
		.amdhsa_kernarg_size 40
		.amdhsa_user_sgpr_count 6
		.amdhsa_user_sgpr_private_segment_buffer 1
		.amdhsa_user_sgpr_dispatch_ptr 0
		.amdhsa_user_sgpr_queue_ptr 0
		.amdhsa_user_sgpr_kernarg_segment_ptr 1
		.amdhsa_user_sgpr_dispatch_id 0
		.amdhsa_user_sgpr_flat_scratch_init 0
		.amdhsa_user_sgpr_private_segment_size 0
		.amdhsa_uses_dynamic_stack 0
		.amdhsa_system_sgpr_private_segment_wavefront_offset 0
		.amdhsa_system_sgpr_workgroup_id_x 1
		.amdhsa_system_sgpr_workgroup_id_y 1
		.amdhsa_system_sgpr_workgroup_id_z 0
		.amdhsa_system_sgpr_workgroup_info 0
		.amdhsa_system_vgpr_workitem_id 0
		.amdhsa_next_free_vgpr 28
		.amdhsa_next_free_sgpr 13
		.amdhsa_reserve_vcc 1
		.amdhsa_reserve_flat_scratch 0
		.amdhsa_float_round_mode_32 0
		.amdhsa_float_round_mode_16_64 0
		.amdhsa_float_denorm_mode_32 3
		.amdhsa_float_denorm_mode_16_64 3
		.amdhsa_dx10_clamp 1
		.amdhsa_ieee_mode 1
		.amdhsa_fp16_overflow 0
		.amdhsa_exception_fp_ieee_invalid_op 0
		.amdhsa_exception_fp_denorm_src 0
		.amdhsa_exception_fp_ieee_div_zero 0
		.amdhsa_exception_fp_ieee_overflow 0
		.amdhsa_exception_fp_ieee_underflow 0
		.amdhsa_exception_fp_ieee_inexact 0
		.amdhsa_exception_int_div_zero 0
	.end_amdhsa_kernel
	.section	.text._ZN9rocsparseL39gtsv_spike_backward_substitution_kernelILj256ELj256E21rocsparse_complex_numIdEEEviiiPT1_PKS3_S6_,"axG",@progbits,_ZN9rocsparseL39gtsv_spike_backward_substitution_kernelILj256ELj256E21rocsparse_complex_numIdEEEviiiPT1_PKS3_S6_,comdat
.Lfunc_end354:
	.size	_ZN9rocsparseL39gtsv_spike_backward_substitution_kernelILj256ELj256E21rocsparse_complex_numIdEEEviiiPT1_PKS3_S6_, .Lfunc_end354-_ZN9rocsparseL39gtsv_spike_backward_substitution_kernelILj256ELj256E21rocsparse_complex_numIdEEEviiiPT1_PKS3_S6_
                                        ; -- End function
	.set _ZN9rocsparseL39gtsv_spike_backward_substitution_kernelILj256ELj256E21rocsparse_complex_numIdEEEviiiPT1_PKS3_S6_.num_vgpr, 28
	.set _ZN9rocsparseL39gtsv_spike_backward_substitution_kernelILj256ELj256E21rocsparse_complex_numIdEEEviiiPT1_PKS3_S6_.num_agpr, 0
	.set _ZN9rocsparseL39gtsv_spike_backward_substitution_kernelILj256ELj256E21rocsparse_complex_numIdEEEviiiPT1_PKS3_S6_.numbered_sgpr, 13
	.set _ZN9rocsparseL39gtsv_spike_backward_substitution_kernelILj256ELj256E21rocsparse_complex_numIdEEEviiiPT1_PKS3_S6_.num_named_barrier, 0
	.set _ZN9rocsparseL39gtsv_spike_backward_substitution_kernelILj256ELj256E21rocsparse_complex_numIdEEEviiiPT1_PKS3_S6_.private_seg_size, 0
	.set _ZN9rocsparseL39gtsv_spike_backward_substitution_kernelILj256ELj256E21rocsparse_complex_numIdEEEviiiPT1_PKS3_S6_.uses_vcc, 1
	.set _ZN9rocsparseL39gtsv_spike_backward_substitution_kernelILj256ELj256E21rocsparse_complex_numIdEEEviiiPT1_PKS3_S6_.uses_flat_scratch, 0
	.set _ZN9rocsparseL39gtsv_spike_backward_substitution_kernelILj256ELj256E21rocsparse_complex_numIdEEEviiiPT1_PKS3_S6_.has_dyn_sized_stack, 0
	.set _ZN9rocsparseL39gtsv_spike_backward_substitution_kernelILj256ELj256E21rocsparse_complex_numIdEEEviiiPT1_PKS3_S6_.has_recursion, 0
	.set _ZN9rocsparseL39gtsv_spike_backward_substitution_kernelILj256ELj256E21rocsparse_complex_numIdEEEviiiPT1_PKS3_S6_.has_indirect_call, 0
	.section	.AMDGPU.csdata,"",@progbits
; Kernel info:
; codeLenInByte = 708
; TotalNumSgprs: 17
; NumVgprs: 28
; ScratchSize: 0
; MemoryBound: 0
; FloatMode: 240
; IeeeMode: 1
; LDSByteSize: 0 bytes/workgroup (compile time only)
; SGPRBlocks: 2
; VGPRBlocks: 6
; NumSGPRsForWavesPerEU: 17
; NumVGPRsForWavesPerEU: 28
; Occupancy: 9
; WaveLimiterHint : 0
; COMPUTE_PGM_RSRC2:SCRATCH_EN: 0
; COMPUTE_PGM_RSRC2:USER_SGPR: 6
; COMPUTE_PGM_RSRC2:TRAP_HANDLER: 0
; COMPUTE_PGM_RSRC2:TGID_X_EN: 1
; COMPUTE_PGM_RSRC2:TGID_Y_EN: 1
; COMPUTE_PGM_RSRC2:TGID_Z_EN: 0
; COMPUTE_PGM_RSRC2:TIDIG_COMP_CNT: 0
	.section	.text._ZN9rocsparseL32gtsv_transpose_back_array_kernelILj256ELj256E21rocsparse_complex_numIdEEEviiiPKT1_PS3_,"axG",@progbits,_ZN9rocsparseL32gtsv_transpose_back_array_kernelILj256ELj256E21rocsparse_complex_numIdEEEviiiPKT1_PS3_,comdat
	.globl	_ZN9rocsparseL32gtsv_transpose_back_array_kernelILj256ELj256E21rocsparse_complex_numIdEEEviiiPKT1_PS3_ ; -- Begin function _ZN9rocsparseL32gtsv_transpose_back_array_kernelILj256ELj256E21rocsparse_complex_numIdEEEviiiPKT1_PS3_
	.p2align	8
	.type	_ZN9rocsparseL32gtsv_transpose_back_array_kernelILj256ELj256E21rocsparse_complex_numIdEEEviiiPKT1_PS3_,@function
_ZN9rocsparseL32gtsv_transpose_back_array_kernelILj256ELj256E21rocsparse_complex_numIdEEEviiiPKT1_PS3_: ; @_ZN9rocsparseL32gtsv_transpose_back_array_kernelILj256ELj256E21rocsparse_complex_numIdEEEviiiPKT1_PS3_
; %bb.0:
	s_load_dwordx4 s[0:3], s[4:5], 0x0
	s_waitcnt lgkmcnt(0)
	v_cvt_f32_u32_e32 v1, s1
	s_sub_i32 s3, 0, s1
	v_rcp_iflag_f32_e32 v1, v1
	v_mul_f32_e32 v1, 0x4f7ffffe, v1
	v_cvt_u32_f32_e32 v2, v1
	v_mul_lo_u32 v1, s3, v2
	v_mul_hi_u32 v3, v2, v1
	v_lshl_or_b32 v1, s6, 8, v0
	v_lshlrev_b32_e32 v0, 8, v1
	v_add_u32_e32 v2, v2, v3
	v_mul_hi_u32 v2, v0, v2
	v_mul_lo_u32 v3, v2, s1
	v_add_u32_e32 v4, 1, v2
	v_sub_u32_e32 v3, v0, v3
	v_cmp_le_u32_e32 vcc, s1, v3
	v_cndmask_b32_e32 v2, v2, v4, vcc
	v_subrev_u32_e32 v4, s1, v3
	v_cndmask_b32_e32 v3, v3, v4, vcc
	v_add_u32_e32 v4, 1, v2
	v_cmp_le_u32_e32 vcc, s1, v3
	v_cndmask_b32_e32 v2, v2, v4, vcc
	v_mul_lo_u32 v3, v2, s1
	v_sub_u32_e32 v0, v0, v3
	v_add_u32_e32 v0, v2, v0
	v_cmp_gt_i32_e32 vcc, s0, v0
	s_and_saveexec_b64 s[8:9], vcc
	s_cbranch_execz .LBB355_2
; %bb.1:
	s_load_dwordx4 s[8:11], s[4:5], 0x10
	s_mul_i32 s0, s1, s7
	v_add_u32_e32 v1, s0, v1
	v_ashrrev_i32_e32 v2, 31, v1
	v_lshlrev_b64 v[1:2], 4, v[1:2]
	s_waitcnt lgkmcnt(0)
	v_mov_b32_e32 v3, s9
	v_add_co_u32_e32 v1, vcc, s8, v1
	v_addc_co_u32_e32 v2, vcc, v3, v2, vcc
	global_load_dwordx4 v[1:4], v[1:2], off
	s_mul_i32 s0, s2, s7
	v_add_u32_e32 v5, s0, v0
	v_ashrrev_i32_e32 v6, 31, v5
	v_lshlrev_b64 v[5:6], 4, v[5:6]
	v_mov_b32_e32 v0, s11
	v_add_co_u32_e32 v5, vcc, s10, v5
	v_addc_co_u32_e32 v6, vcc, v0, v6, vcc
	s_waitcnt vmcnt(0)
	global_store_dwordx4 v[5:6], v[1:4], off
.LBB355_2:
	s_endpgm
	.section	.rodata,"a",@progbits
	.p2align	6, 0x0
	.amdhsa_kernel _ZN9rocsparseL32gtsv_transpose_back_array_kernelILj256ELj256E21rocsparse_complex_numIdEEEviiiPKT1_PS3_
		.amdhsa_group_segment_fixed_size 0
		.amdhsa_private_segment_fixed_size 0
		.amdhsa_kernarg_size 32
		.amdhsa_user_sgpr_count 6
		.amdhsa_user_sgpr_private_segment_buffer 1
		.amdhsa_user_sgpr_dispatch_ptr 0
		.amdhsa_user_sgpr_queue_ptr 0
		.amdhsa_user_sgpr_kernarg_segment_ptr 1
		.amdhsa_user_sgpr_dispatch_id 0
		.amdhsa_user_sgpr_flat_scratch_init 0
		.amdhsa_user_sgpr_private_segment_size 0
		.amdhsa_uses_dynamic_stack 0
		.amdhsa_system_sgpr_private_segment_wavefront_offset 0
		.amdhsa_system_sgpr_workgroup_id_x 1
		.amdhsa_system_sgpr_workgroup_id_y 1
		.amdhsa_system_sgpr_workgroup_id_z 0
		.amdhsa_system_sgpr_workgroup_info 0
		.amdhsa_system_vgpr_workitem_id 0
		.amdhsa_next_free_vgpr 7
		.amdhsa_next_free_sgpr 12
		.amdhsa_reserve_vcc 1
		.amdhsa_reserve_flat_scratch 0
		.amdhsa_float_round_mode_32 0
		.amdhsa_float_round_mode_16_64 0
		.amdhsa_float_denorm_mode_32 3
		.amdhsa_float_denorm_mode_16_64 3
		.amdhsa_dx10_clamp 1
		.amdhsa_ieee_mode 1
		.amdhsa_fp16_overflow 0
		.amdhsa_exception_fp_ieee_invalid_op 0
		.amdhsa_exception_fp_denorm_src 0
		.amdhsa_exception_fp_ieee_div_zero 0
		.amdhsa_exception_fp_ieee_overflow 0
		.amdhsa_exception_fp_ieee_underflow 0
		.amdhsa_exception_fp_ieee_inexact 0
		.amdhsa_exception_int_div_zero 0
	.end_amdhsa_kernel
	.section	.text._ZN9rocsparseL32gtsv_transpose_back_array_kernelILj256ELj256E21rocsparse_complex_numIdEEEviiiPKT1_PS3_,"axG",@progbits,_ZN9rocsparseL32gtsv_transpose_back_array_kernelILj256ELj256E21rocsparse_complex_numIdEEEviiiPKT1_PS3_,comdat
.Lfunc_end355:
	.size	_ZN9rocsparseL32gtsv_transpose_back_array_kernelILj256ELj256E21rocsparse_complex_numIdEEEviiiPKT1_PS3_, .Lfunc_end355-_ZN9rocsparseL32gtsv_transpose_back_array_kernelILj256ELj256E21rocsparse_complex_numIdEEEviiiPKT1_PS3_
                                        ; -- End function
	.set _ZN9rocsparseL32gtsv_transpose_back_array_kernelILj256ELj256E21rocsparse_complex_numIdEEEviiiPKT1_PS3_.num_vgpr, 7
	.set _ZN9rocsparseL32gtsv_transpose_back_array_kernelILj256ELj256E21rocsparse_complex_numIdEEEviiiPKT1_PS3_.num_agpr, 0
	.set _ZN9rocsparseL32gtsv_transpose_back_array_kernelILj256ELj256E21rocsparse_complex_numIdEEEviiiPKT1_PS3_.numbered_sgpr, 12
	.set _ZN9rocsparseL32gtsv_transpose_back_array_kernelILj256ELj256E21rocsparse_complex_numIdEEEviiiPKT1_PS3_.num_named_barrier, 0
	.set _ZN9rocsparseL32gtsv_transpose_back_array_kernelILj256ELj256E21rocsparse_complex_numIdEEEviiiPKT1_PS3_.private_seg_size, 0
	.set _ZN9rocsparseL32gtsv_transpose_back_array_kernelILj256ELj256E21rocsparse_complex_numIdEEEviiiPKT1_PS3_.uses_vcc, 1
	.set _ZN9rocsparseL32gtsv_transpose_back_array_kernelILj256ELj256E21rocsparse_complex_numIdEEEviiiPKT1_PS3_.uses_flat_scratch, 0
	.set _ZN9rocsparseL32gtsv_transpose_back_array_kernelILj256ELj256E21rocsparse_complex_numIdEEEviiiPKT1_PS3_.has_dyn_sized_stack, 0
	.set _ZN9rocsparseL32gtsv_transpose_back_array_kernelILj256ELj256E21rocsparse_complex_numIdEEEviiiPKT1_PS3_.has_recursion, 0
	.set _ZN9rocsparseL32gtsv_transpose_back_array_kernelILj256ELj256E21rocsparse_complex_numIdEEEviiiPKT1_PS3_.has_indirect_call, 0
	.section	.AMDGPU.csdata,"",@progbits
; Kernel info:
; codeLenInByte = 248
; TotalNumSgprs: 16
; NumVgprs: 7
; ScratchSize: 0
; MemoryBound: 0
; FloatMode: 240
; IeeeMode: 1
; LDSByteSize: 0 bytes/workgroup (compile time only)
; SGPRBlocks: 1
; VGPRBlocks: 1
; NumSGPRsForWavesPerEU: 16
; NumVGPRsForWavesPerEU: 7
; Occupancy: 10
; WaveLimiterHint : 0
; COMPUTE_PGM_RSRC2:SCRATCH_EN: 0
; COMPUTE_PGM_RSRC2:USER_SGPR: 6
; COMPUTE_PGM_RSRC2:TRAP_HANDLER: 0
; COMPUTE_PGM_RSRC2:TGID_X_EN: 1
; COMPUTE_PGM_RSRC2:TGID_Y_EN: 1
; COMPUTE_PGM_RSRC2:TGID_Z_EN: 0
; COMPUTE_PGM_RSRC2:TIDIG_COMP_CNT: 0
	.section	.AMDGPU.gpr_maximums,"",@progbits
	.set amdgpu.max_num_vgpr, 0
	.set amdgpu.max_num_agpr, 0
	.set amdgpu.max_num_sgpr, 0
	.section	.AMDGPU.csdata,"",@progbits
	.type	__hip_cuid_cfca3d7833aeca2c,@object ; @__hip_cuid_cfca3d7833aeca2c
	.section	.bss,"aw",@nobits
	.globl	__hip_cuid_cfca3d7833aeca2c
__hip_cuid_cfca3d7833aeca2c:
	.byte	0                               ; 0x0
	.size	__hip_cuid_cfca3d7833aeca2c, 1

	.ident	"AMD clang version 22.0.0git (https://github.com/RadeonOpenCompute/llvm-project roc-7.2.4 26084 f58b06dce1f9c15707c5f808fd002e18c2accf7e)"
	.section	".note.GNU-stack","",@progbits
	.addrsig
	.addrsig_sym __hip_cuid_cfca3d7833aeca2c
	.amdgpu_metadata
---
amdhsa.kernels:
  - .args:
      - .offset:         0
        .size:           4
        .value_kind:     by_value
      - .offset:         4
        .size:           4
        .value_kind:     by_value
      - .offset:         8
        .size:           4
        .value_kind:     by_value
      - .actual_access:  read_only
        .address_space:  global
        .offset:         16
        .size:           8
        .value_kind:     global_buffer
      - .actual_access:  write_only
        .address_space:  global
        .offset:         24
        .size:           8
        .value_kind:     global_buffer
      - .offset:         32
        .size:           4
        .value_kind:     by_value
    .group_segment_fixed_size: 1024
    .kernarg_segment_align: 8
    .kernarg_segment_size: 36
    .language:       OpenCL C
    .language_version:
      - 2
      - 0
    .max_flat_workgroup_size: 256
    .name:           _ZN9rocsparseL42gtsv_transpose_and_pad_array_shared_kernelILj256ELj2EfEEviiiPKT1_PS1_S1_
    .private_segment_fixed_size: 0
    .sgpr_count:     16
    .sgpr_spill_count: 0
    .symbol:         _ZN9rocsparseL42gtsv_transpose_and_pad_array_shared_kernelILj256ELj2EfEEviiiPKT1_PS1_S1_.kd
    .uniform_work_group_size: 1
    .uses_dynamic_stack: false
    .vgpr_count:     4
    .vgpr_spill_count: 0
    .wavefront_size: 64
  - .args:
      - .offset:         0
        .size:           4
        .value_kind:     by_value
      - .offset:         4
        .size:           4
        .value_kind:     by_value
      - .offset:         8
        .size:           4
        .value_kind:     by_value
      - .actual_access:  read_only
        .address_space:  global
        .offset:         16
        .size:           8
        .value_kind:     global_buffer
      - .actual_access:  read_only
        .address_space:  global
        .offset:         24
        .size:           8
        .value_kind:     global_buffer
      - .actual_access:  read_only
        .address_space:  global
        .offset:         32
        .size:           8
        .value_kind:     global_buffer
      - .address_space:  global
        .offset:         40
        .size:           8
        .value_kind:     global_buffer
      - .address_space:  global
        .offset:         48
        .size:           8
        .value_kind:     global_buffer
      - .address_space:  global
        .offset:         56
        .size:           8
        .value_kind:     global_buffer
      - .address_space:  global
        .offset:         64
        .size:           8
        .value_kind:     global_buffer
    .group_segment_fixed_size: 0
    .kernarg_segment_align: 8
    .kernarg_segment_size: 72
    .language:       OpenCL C
    .language_version:
      - 2
      - 0
    .max_flat_workgroup_size: 256
    .name:           _ZN9rocsparseL18gtsv_LBM_wv_kernelILj256ELj2EfEEviiiPKT1_S3_S3_PS1_S4_S4_Pi
    .private_segment_fixed_size: 0
    .sgpr_count:     31
    .sgpr_spill_count: 0
    .symbol:         _ZN9rocsparseL18gtsv_LBM_wv_kernelILj256ELj2EfEEviiiPKT1_S3_S3_PS1_S4_S4_Pi.kd
    .uniform_work_group_size: 1
    .uses_dynamic_stack: false
    .vgpr_count:     31
    .vgpr_spill_count: 0
    .wavefront_size: 64
  - .args:
      - .offset:         0
        .size:           4
        .value_kind:     by_value
      - .offset:         4
        .size:           4
        .value_kind:     by_value
      - .offset:         8
        .size:           4
        .value_kind:     by_value
      - .actual_access:  read_only
        .address_space:  global
        .offset:         16
        .size:           8
        .value_kind:     global_buffer
      - .actual_access:  read_only
        .address_space:  global
        .offset:         24
        .size:           8
        .value_kind:     global_buffer
      - .actual_access:  read_only
        .address_space:  global
        .offset:         32
        .size:           8
        .value_kind:     global_buffer
      - .address_space:  global
        .offset:         40
        .size:           8
        .value_kind:     global_buffer
      - .actual_access:  read_only
        .address_space:  global
        .offset:         48
        .size:           8
        .value_kind:     global_buffer
      - .actual_access:  read_only
        .address_space:  global
        .offset:         56
        .size:           8
        .value_kind:     global_buffer
    .group_segment_fixed_size: 0
    .kernarg_segment_align: 8
    .kernarg_segment_size: 64
    .language:       OpenCL C
    .language_version:
      - 2
      - 0
    .max_flat_workgroup_size: 256
    .name:           _ZN9rocsparseL19gtsv_LBM_rhs_kernelILj256ELj2ELj8EfEEviiiPKT2_S3_S3_PS1_S3_PKi
    .private_segment_fixed_size: 0
    .sgpr_count:     36
    .sgpr_spill_count: 0
    .symbol:         _ZN9rocsparseL19gtsv_LBM_rhs_kernelILj256ELj2ELj8EfEEviiiPKT2_S3_S3_PS1_S3_PKi.kd
    .uniform_work_group_size: 1
    .uses_dynamic_stack: false
    .vgpr_count:     61
    .vgpr_spill_count: 0
    .wavefront_size: 64
  - .args:
      - .offset:         0
        .size:           4
        .value_kind:     by_value
      - .offset:         4
        .size:           4
        .value_kind:     by_value
      - .offset:         8
        .size:           4
        .value_kind:     by_value
      - .actual_access:  read_only
        .address_space:  global
        .offset:         16
        .size:           8
        .value_kind:     global_buffer
      - .actual_access:  read_only
        .address_space:  global
        .offset:         24
        .size:           8
        .value_kind:     global_buffer
      - .actual_access:  read_only
        .address_space:  global
        .offset:         32
        .size:           8
        .value_kind:     global_buffer
      - .address_space:  global
        .offset:         40
        .size:           8
        .value_kind:     global_buffer
      - .actual_access:  read_only
        .address_space:  global
        .offset:         48
        .size:           8
        .value_kind:     global_buffer
      - .actual_access:  read_only
        .address_space:  global
        .offset:         56
        .size:           8
        .value_kind:     global_buffer
    .group_segment_fixed_size: 0
    .kernarg_segment_align: 8
    .kernarg_segment_size: 64
    .language:       OpenCL C
    .language_version:
      - 2
      - 0
    .max_flat_workgroup_size: 256
    .name:           _ZN9rocsparseL19gtsv_LBM_rhs_kernelILj256ELj2ELj4EfEEviiiPKT2_S3_S3_PS1_S3_PKi
    .private_segment_fixed_size: 0
    .sgpr_count:     32
    .sgpr_spill_count: 0
    .symbol:         _ZN9rocsparseL19gtsv_LBM_rhs_kernelILj256ELj2ELj4EfEEviiiPKT2_S3_S3_PS1_S3_PKi.kd
    .uniform_work_group_size: 1
    .uses_dynamic_stack: false
    .vgpr_count:     35
    .vgpr_spill_count: 0
    .wavefront_size: 64
  - .args:
      - .offset:         0
        .size:           4
        .value_kind:     by_value
      - .offset:         4
        .size:           4
        .value_kind:     by_value
      - .offset:         8
        .size:           4
        .value_kind:     by_value
      - .actual_access:  read_only
        .address_space:  global
        .offset:         16
        .size:           8
        .value_kind:     global_buffer
      - .actual_access:  read_only
        .address_space:  global
        .offset:         24
        .size:           8
        .value_kind:     global_buffer
      - .actual_access:  read_only
        .address_space:  global
        .offset:         32
        .size:           8
        .value_kind:     global_buffer
      - .address_space:  global
        .offset:         40
        .size:           8
        .value_kind:     global_buffer
      - .actual_access:  read_only
        .address_space:  global
        .offset:         48
        .size:           8
        .value_kind:     global_buffer
      - .actual_access:  read_only
        .address_space:  global
        .offset:         56
        .size:           8
        .value_kind:     global_buffer
    .group_segment_fixed_size: 0
    .kernarg_segment_align: 8
    .kernarg_segment_size: 64
    .language:       OpenCL C
    .language_version:
      - 2
      - 0
    .max_flat_workgroup_size: 256
    .name:           _ZN9rocsparseL19gtsv_LBM_rhs_kernelILj256ELj2ELj2EfEEviiiPKT2_S3_S3_PS1_S3_PKi
    .private_segment_fixed_size: 0
    .sgpr_count:     30
    .sgpr_spill_count: 0
    .symbol:         _ZN9rocsparseL19gtsv_LBM_rhs_kernelILj256ELj2ELj2EfEEviiiPKT2_S3_S3_PS1_S3_PKi.kd
    .uniform_work_group_size: 1
    .uses_dynamic_stack: false
    .vgpr_count:     23
    .vgpr_spill_count: 0
    .wavefront_size: 64
  - .args:
      - .offset:         0
        .size:           4
        .value_kind:     by_value
      - .offset:         4
        .size:           4
        .value_kind:     by_value
      - .offset:         8
        .size:           4
        .value_kind:     by_value
      - .actual_access:  read_only
        .address_space:  global
        .offset:         16
        .size:           8
        .value_kind:     global_buffer
      - .actual_access:  read_only
        .address_space:  global
        .offset:         24
        .size:           8
        .value_kind:     global_buffer
      - .actual_access:  read_only
        .address_space:  global
        .offset:         32
        .size:           8
        .value_kind:     global_buffer
      - .address_space:  global
        .offset:         40
        .size:           8
        .value_kind:     global_buffer
      - .actual_access:  read_only
        .address_space:  global
        .offset:         48
        .size:           8
        .value_kind:     global_buffer
      - .actual_access:  read_only
        .address_space:  global
        .offset:         56
        .size:           8
        .value_kind:     global_buffer
    .group_segment_fixed_size: 0
    .kernarg_segment_align: 8
    .kernarg_segment_size: 64
    .language:       OpenCL C
    .language_version:
      - 2
      - 0
    .max_flat_workgroup_size: 256
    .name:           _ZN9rocsparseL19gtsv_LBM_rhs_kernelILj256ELj2ELj1EfEEviiiPKT2_S3_S3_PS1_S3_PKi
    .private_segment_fixed_size: 0
    .sgpr_count:     28
    .sgpr_spill_count: 0
    .symbol:         _ZN9rocsparseL19gtsv_LBM_rhs_kernelILj256ELj2ELj1EfEEviiiPKT2_S3_S3_PS1_S3_PKi.kd
    .uniform_work_group_size: 1
    .uses_dynamic_stack: false
    .vgpr_count:     22
    .vgpr_spill_count: 0
    .wavefront_size: 64
  - .args:
      - .offset:         0
        .size:           4
        .value_kind:     by_value
      - .offset:         4
        .size:           4
        .value_kind:     by_value
      - .offset:         8
        .size:           4
        .value_kind:     by_value
      - .address_space:  global
        .offset:         16
        .size:           8
        .value_kind:     global_buffer
      - .actual_access:  read_only
        .address_space:  global
        .offset:         24
        .size:           8
        .value_kind:     global_buffer
      - .actual_access:  read_only
        .address_space:  global
        .offset:         32
        .size:           8
        .value_kind:     global_buffer
      - .actual_access:  write_only
        .address_space:  global
        .offset:         40
        .size:           8
        .value_kind:     global_buffer
      - .actual_access:  write_only
        .address_space:  global
        .offset:         48
        .size:           8
        .value_kind:     global_buffer
      - .actual_access:  write_only
        .address_space:  global
        .offset:         56
        .size:           8
        .value_kind:     global_buffer
      - .actual_access:  write_only
        .address_space:  global
        .offset:         64
        .size:           8
        .value_kind:     global_buffer
      - .actual_access:  write_only
        .address_space:  global
        .offset:         72
        .size:           8
        .value_kind:     global_buffer
      - .offset:         80
        .size:           4
        .value_kind:     hidden_block_count_x
      - .offset:         84
        .size:           4
        .value_kind:     hidden_block_count_y
      - .offset:         88
        .size:           4
        .value_kind:     hidden_block_count_z
      - .offset:         92
        .size:           2
        .value_kind:     hidden_group_size_x
      - .offset:         94
        .size:           2
        .value_kind:     hidden_group_size_y
      - .offset:         96
        .size:           2
        .value_kind:     hidden_group_size_z
      - .offset:         98
        .size:           2
        .value_kind:     hidden_remainder_x
      - .offset:         100
        .size:           2
        .value_kind:     hidden_remainder_y
      - .offset:         102
        .size:           2
        .value_kind:     hidden_remainder_z
      - .offset:         120
        .size:           8
        .value_kind:     hidden_global_offset_x
      - .offset:         128
        .size:           8
        .value_kind:     hidden_global_offset_y
      - .offset:         136
        .size:           8
        .value_kind:     hidden_global_offset_z
      - .offset:         144
        .size:           2
        .value_kind:     hidden_grid_dims
    .group_segment_fixed_size: 6144
    .kernarg_segment_align: 8
    .kernarg_segment_size: 336
    .language:       OpenCL C
    .language_version:
      - 2
      - 0
    .max_flat_workgroup_size: 256
    .name:           _ZN9rocsparseL29gtsv_spike_block_level_kernelILj256ELj2EfEEviiiPT1_PKS1_S4_S2_S2_S2_S2_S2_
    .private_segment_fixed_size: 0
    .sgpr_count:     28
    .sgpr_spill_count: 0
    .symbol:         _ZN9rocsparseL29gtsv_spike_block_level_kernelILj256ELj2EfEEviiiPT1_PKS1_S4_S2_S2_S2_S2_S2_.kd
    .uniform_work_group_size: 1
    .uses_dynamic_stack: false
    .vgpr_count:     26
    .vgpr_spill_count: 0
    .wavefront_size: 64
  - .args:
      - .offset:         0
        .size:           4
        .value_kind:     by_value
      - .offset:         4
        .size:           4
        .value_kind:     by_value
      - .offset:         8
        .size:           4
        .value_kind:     by_value
      - .address_space:  global
        .offset:         16
        .size:           8
        .value_kind:     global_buffer
      - .actual_access:  read_only
        .address_space:  global
        .offset:         24
        .size:           8
        .value_kind:     global_buffer
      - .actual_access:  read_only
        .address_space:  global
        .offset:         32
        .size:           8
        .value_kind:     global_buffer
    .group_segment_fixed_size: 48
    .kernarg_segment_align: 8
    .kernarg_segment_size: 40
    .language:       OpenCL C
    .language_version:
      - 2
      - 0
    .max_flat_workgroup_size: 2
    .name:           _ZN9rocsparseL34gtsv_solve_spike_grid_level_kernelILj2EfEEviiiPT0_PKS1_S4_
    .private_segment_fixed_size: 0
    .sgpr_count:     14
    .sgpr_spill_count: 0
    .symbol:         _ZN9rocsparseL34gtsv_solve_spike_grid_level_kernelILj2EfEEviiiPT0_PKS1_S4_.kd
    .uniform_work_group_size: 1
    .uses_dynamic_stack: false
    .vgpr_count:     21
    .vgpr_spill_count: 0
    .wavefront_size: 64
  - .args:
      - .offset:         0
        .size:           4
        .value_kind:     by_value
      - .offset:         4
        .size:           4
        .value_kind:     by_value
      - .offset:         8
        .size:           4
        .value_kind:     by_value
      - .address_space:  global
        .offset:         16
        .size:           8
        .value_kind:     global_buffer
      - .actual_access:  read_only
        .address_space:  global
        .offset:         24
        .size:           8
        .value_kind:     global_buffer
      - .actual_access:  read_only
        .address_space:  global
        .offset:         32
        .size:           8
        .value_kind:     global_buffer
    .group_segment_fixed_size: 96
    .kernarg_segment_align: 8
    .kernarg_segment_size: 40
    .language:       OpenCL C
    .language_version:
      - 2
      - 0
    .max_flat_workgroup_size: 4
    .name:           _ZN9rocsparseL34gtsv_solve_spike_grid_level_kernelILj4EfEEviiiPT0_PKS1_S4_
    .private_segment_fixed_size: 0
    .sgpr_count:     14
    .sgpr_spill_count: 0
    .symbol:         _ZN9rocsparseL34gtsv_solve_spike_grid_level_kernelILj4EfEEviiiPT0_PKS1_S4_.kd
    .uniform_work_group_size: 1
    .uses_dynamic_stack: false
    .vgpr_count:     24
    .vgpr_spill_count: 0
    .wavefront_size: 64
  - .args:
      - .offset:         0
        .size:           4
        .value_kind:     by_value
      - .offset:         4
        .size:           4
        .value_kind:     by_value
      - .offset:         8
        .size:           4
        .value_kind:     by_value
      - .address_space:  global
        .offset:         16
        .size:           8
        .value_kind:     global_buffer
      - .actual_access:  read_only
        .address_space:  global
        .offset:         24
        .size:           8
        .value_kind:     global_buffer
      - .actual_access:  read_only
        .address_space:  global
        .offset:         32
        .size:           8
        .value_kind:     global_buffer
    .group_segment_fixed_size: 192
    .kernarg_segment_align: 8
    .kernarg_segment_size: 40
    .language:       OpenCL C
    .language_version:
      - 2
      - 0
    .max_flat_workgroup_size: 8
    .name:           _ZN9rocsparseL34gtsv_solve_spike_grid_level_kernelILj8EfEEviiiPT0_PKS1_S4_
    .private_segment_fixed_size: 0
    .sgpr_count:     14
    .sgpr_spill_count: 0
    .symbol:         _ZN9rocsparseL34gtsv_solve_spike_grid_level_kernelILj8EfEEviiiPT0_PKS1_S4_.kd
    .uniform_work_group_size: 1
    .uses_dynamic_stack: false
    .vgpr_count:     27
    .vgpr_spill_count: 0
    .wavefront_size: 64
  - .args:
      - .offset:         0
        .size:           4
        .value_kind:     by_value
      - .offset:         4
        .size:           4
        .value_kind:     by_value
      - .offset:         8
        .size:           4
        .value_kind:     by_value
      - .address_space:  global
        .offset:         16
        .size:           8
        .value_kind:     global_buffer
      - .actual_access:  read_only
        .address_space:  global
        .offset:         24
        .size:           8
        .value_kind:     global_buffer
      - .actual_access:  read_only
        .address_space:  global
        .offset:         32
        .size:           8
        .value_kind:     global_buffer
    .group_segment_fixed_size: 384
    .kernarg_segment_align: 8
    .kernarg_segment_size: 40
    .language:       OpenCL C
    .language_version:
      - 2
      - 0
    .max_flat_workgroup_size: 16
    .name:           _ZN9rocsparseL34gtsv_solve_spike_grid_level_kernelILj16EfEEviiiPT0_PKS1_S4_
    .private_segment_fixed_size: 0
    .sgpr_count:     14
    .sgpr_spill_count: 0
    .symbol:         _ZN9rocsparseL34gtsv_solve_spike_grid_level_kernelILj16EfEEviiiPT0_PKS1_S4_.kd
    .uniform_work_group_size: 1
    .uses_dynamic_stack: false
    .vgpr_count:     27
    .vgpr_spill_count: 0
    .wavefront_size: 64
  - .args:
      - .offset:         0
        .size:           4
        .value_kind:     by_value
      - .offset:         4
        .size:           4
        .value_kind:     by_value
      - .offset:         8
        .size:           4
        .value_kind:     by_value
      - .address_space:  global
        .offset:         16
        .size:           8
        .value_kind:     global_buffer
      - .actual_access:  read_only
        .address_space:  global
        .offset:         24
        .size:           8
        .value_kind:     global_buffer
      - .actual_access:  read_only
        .address_space:  global
        .offset:         32
        .size:           8
        .value_kind:     global_buffer
    .group_segment_fixed_size: 768
    .kernarg_segment_align: 8
    .kernarg_segment_size: 40
    .language:       OpenCL C
    .language_version:
      - 2
      - 0
    .max_flat_workgroup_size: 32
    .name:           _ZN9rocsparseL34gtsv_solve_spike_grid_level_kernelILj32EfEEviiiPT0_PKS1_S4_
    .private_segment_fixed_size: 0
    .sgpr_count:     16
    .sgpr_spill_count: 0
    .symbol:         _ZN9rocsparseL34gtsv_solve_spike_grid_level_kernelILj32EfEEviiiPT0_PKS1_S4_.kd
    .uniform_work_group_size: 1
    .uses_dynamic_stack: false
    .vgpr_count:     27
    .vgpr_spill_count: 0
    .wavefront_size: 64
  - .args:
      - .offset:         0
        .size:           4
        .value_kind:     by_value
      - .offset:         4
        .size:           4
        .value_kind:     by_value
      - .offset:         8
        .size:           4
        .value_kind:     by_value
      - .address_space:  global
        .offset:         16
        .size:           8
        .value_kind:     global_buffer
      - .actual_access:  read_only
        .address_space:  global
        .offset:         24
        .size:           8
        .value_kind:     global_buffer
      - .actual_access:  read_only
        .address_space:  global
        .offset:         32
        .size:           8
        .value_kind:     global_buffer
    .group_segment_fixed_size: 1536
    .kernarg_segment_align: 8
    .kernarg_segment_size: 40
    .language:       OpenCL C
    .language_version:
      - 2
      - 0
    .max_flat_workgroup_size: 64
    .name:           _ZN9rocsparseL34gtsv_solve_spike_grid_level_kernelILj64EfEEviiiPT0_PKS1_S4_
    .private_segment_fixed_size: 0
    .sgpr_count:     18
    .sgpr_spill_count: 0
    .symbol:         _ZN9rocsparseL34gtsv_solve_spike_grid_level_kernelILj64EfEEviiiPT0_PKS1_S4_.kd
    .uniform_work_group_size: 1
    .uses_dynamic_stack: false
    .vgpr_count:     30
    .vgpr_spill_count: 0
    .wavefront_size: 64
  - .args:
      - .offset:         0
        .size:           4
        .value_kind:     by_value
      - .offset:         4
        .size:           4
        .value_kind:     by_value
      - .offset:         8
        .size:           4
        .value_kind:     by_value
      - .address_space:  global
        .offset:         16
        .size:           8
        .value_kind:     global_buffer
      - .actual_access:  read_only
        .address_space:  global
        .offset:         24
        .size:           8
        .value_kind:     global_buffer
      - .actual_access:  read_only
        .address_space:  global
        .offset:         32
        .size:           8
        .value_kind:     global_buffer
    .group_segment_fixed_size: 3072
    .kernarg_segment_align: 8
    .kernarg_segment_size: 40
    .language:       OpenCL C
    .language_version:
      - 2
      - 0
    .max_flat_workgroup_size: 128
    .name:           _ZN9rocsparseL34gtsv_solve_spike_grid_level_kernelILj128EfEEviiiPT0_PKS1_S4_
    .private_segment_fixed_size: 0
    .sgpr_count:     20
    .sgpr_spill_count: 0
    .symbol:         _ZN9rocsparseL34gtsv_solve_spike_grid_level_kernelILj128EfEEviiiPT0_PKS1_S4_.kd
    .uniform_work_group_size: 1
    .uses_dynamic_stack: false
    .vgpr_count:     32
    .vgpr_spill_count: 0
    .wavefront_size: 64
  - .args:
      - .offset:         0
        .size:           4
        .value_kind:     by_value
      - .offset:         4
        .size:           4
        .value_kind:     by_value
      - .offset:         8
        .size:           4
        .value_kind:     by_value
      - .address_space:  global
        .offset:         16
        .size:           8
        .value_kind:     global_buffer
      - .actual_access:  read_only
        .address_space:  global
        .offset:         24
        .size:           8
        .value_kind:     global_buffer
      - .actual_access:  read_only
        .address_space:  global
        .offset:         32
        .size:           8
        .value_kind:     global_buffer
    .group_segment_fixed_size: 6144
    .kernarg_segment_align: 8
    .kernarg_segment_size: 40
    .language:       OpenCL C
    .language_version:
      - 2
      - 0
    .max_flat_workgroup_size: 256
    .name:           _ZN9rocsparseL34gtsv_solve_spike_grid_level_kernelILj256EfEEviiiPT0_PKS1_S4_
    .private_segment_fixed_size: 0
    .sgpr_count:     22
    .sgpr_spill_count: 0
    .symbol:         _ZN9rocsparseL34gtsv_solve_spike_grid_level_kernelILj256EfEEviiiPT0_PKS1_S4_.kd
    .uniform_work_group_size: 1
    .uses_dynamic_stack: false
    .vgpr_count:     33
    .vgpr_spill_count: 0
    .wavefront_size: 64
  - .args:
      - .offset:         0
        .size:           4
        .value_kind:     by_value
      - .offset:         4
        .size:           4
        .value_kind:     by_value
      - .offset:         8
        .size:           4
        .value_kind:     by_value
      - .address_space:  global
        .offset:         16
        .size:           8
        .value_kind:     global_buffer
      - .actual_access:  read_only
        .address_space:  global
        .offset:         24
        .size:           8
        .value_kind:     global_buffer
      - .actual_access:  read_only
        .address_space:  global
        .offset:         32
        .size:           8
        .value_kind:     global_buffer
    .group_segment_fixed_size: 12288
    .kernarg_segment_align: 8
    .kernarg_segment_size: 40
    .language:       OpenCL C
    .language_version:
      - 2
      - 0
    .max_flat_workgroup_size: 512
    .name:           _ZN9rocsparseL34gtsv_solve_spike_grid_level_kernelILj512EfEEviiiPT0_PKS1_S4_
    .private_segment_fixed_size: 0
    .sgpr_count:     24
    .sgpr_spill_count: 0
    .symbol:         _ZN9rocsparseL34gtsv_solve_spike_grid_level_kernelILj512EfEEviiiPT0_PKS1_S4_.kd
    .uniform_work_group_size: 1
    .uses_dynamic_stack: false
    .vgpr_count:     33
    .vgpr_spill_count: 0
    .wavefront_size: 64
  - .args:
      - .offset:         0
        .size:           4
        .value_kind:     by_value
      - .offset:         4
        .size:           4
        .value_kind:     by_value
      - .offset:         8
        .size:           4
        .value_kind:     by_value
      - .address_space:  global
        .offset:         16
        .size:           8
        .value_kind:     global_buffer
      - .actual_access:  read_only
        .address_space:  global
        .offset:         24
        .size:           8
        .value_kind:     global_buffer
      - .actual_access:  read_only
        .address_space:  global
        .offset:         32
        .size:           8
        .value_kind:     global_buffer
      - .actual_access:  read_only
        .address_space:  global
        .offset:         40
        .size:           8
        .value_kind:     global_buffer
      - .offset:         48
        .size:           4
        .value_kind:     hidden_block_count_x
      - .offset:         52
        .size:           4
        .value_kind:     hidden_block_count_y
      - .offset:         56
        .size:           4
        .value_kind:     hidden_block_count_z
      - .offset:         60
        .size:           2
        .value_kind:     hidden_group_size_x
      - .offset:         62
        .size:           2
        .value_kind:     hidden_group_size_y
      - .offset:         64
        .size:           2
        .value_kind:     hidden_group_size_z
      - .offset:         66
        .size:           2
        .value_kind:     hidden_remainder_x
      - .offset:         68
        .size:           2
        .value_kind:     hidden_remainder_y
      - .offset:         70
        .size:           2
        .value_kind:     hidden_remainder_z
      - .offset:         88
        .size:           8
        .value_kind:     hidden_global_offset_x
      - .offset:         96
        .size:           8
        .value_kind:     hidden_global_offset_y
      - .offset:         104
        .size:           8
        .value_kind:     hidden_global_offset_z
      - .offset:         112
        .size:           2
        .value_kind:     hidden_grid_dims
    .group_segment_fixed_size: 6160
    .kernarg_segment_align: 8
    .kernarg_segment_size: 304
    .language:       OpenCL C
    .language_version:
      - 2
      - 0
    .max_flat_workgroup_size: 256
    .name:           _ZN9rocsparseL33gtsv_solve_spike_propagate_kernelILj256ELj2EfEEviiiPT1_PKS1_S4_S4_
    .private_segment_fixed_size: 0
    .sgpr_count:     20
    .sgpr_spill_count: 0
    .symbol:         _ZN9rocsparseL33gtsv_solve_spike_propagate_kernelILj256ELj2EfEEviiiPT1_PKS1_S4_S4_.kd
    .uniform_work_group_size: 1
    .uses_dynamic_stack: false
    .vgpr_count:     13
    .vgpr_spill_count: 0
    .wavefront_size: 64
  - .args:
      - .offset:         0
        .size:           4
        .value_kind:     by_value
      - .offset:         4
        .size:           4
        .value_kind:     by_value
      - .offset:         8
        .size:           4
        .value_kind:     by_value
      - .actual_access:  read_only
        .address_space:  global
        .offset:         16
        .size:           8
        .value_kind:     global_buffer
      - .actual_access:  read_only
        .address_space:  global
        .offset:         24
        .size:           8
        .value_kind:     global_buffer
      - .actual_access:  read_only
        .address_space:  global
        .offset:         32
        .size:           8
        .value_kind:     global_buffer
    .group_segment_fixed_size: 0
    .kernarg_segment_align: 8
    .kernarg_segment_size: 40
    .language:       OpenCL C
    .language_version:
      - 2
      - 0
    .max_flat_workgroup_size: 256
    .name:           _ZN9rocsparseL39gtsv_spike_backward_substitution_kernelILj256ELj2EfEEviiiPT1_PKS1_S4_
    .private_segment_fixed_size: 0
    .sgpr_count:     4
    .sgpr_spill_count: 0
    .symbol:         _ZN9rocsparseL39gtsv_spike_backward_substitution_kernelILj256ELj2EfEEviiiPT1_PKS1_S4_.kd
    .uniform_work_group_size: 1
    .uses_dynamic_stack: false
    .vgpr_count:     0
    .vgpr_spill_count: 0
    .wavefront_size: 64
  - .args:
      - .offset:         0
        .size:           4
        .value_kind:     by_value
      - .offset:         4
        .size:           4
        .value_kind:     by_value
      - .offset:         8
        .size:           4
        .value_kind:     by_value
      - .actual_access:  read_only
        .address_space:  global
        .offset:         16
        .size:           8
        .value_kind:     global_buffer
      - .actual_access:  write_only
        .address_space:  global
        .offset:         24
        .size:           8
        .value_kind:     global_buffer
    .group_segment_fixed_size: 0
    .kernarg_segment_align: 8
    .kernarg_segment_size: 32
    .language:       OpenCL C
    .language_version:
      - 2
      - 0
    .max_flat_workgroup_size: 256
    .name:           _ZN9rocsparseL32gtsv_transpose_back_array_kernelILj256ELj2EfEEviiiPKT1_PS1_
    .private_segment_fixed_size: 0
    .sgpr_count:     16
    .sgpr_spill_count: 0
    .symbol:         _ZN9rocsparseL32gtsv_transpose_back_array_kernelILj256ELj2EfEEviiiPKT1_PS1_.kd
    .uniform_work_group_size: 1
    .uses_dynamic_stack: false
    .vgpr_count:     5
    .vgpr_spill_count: 0
    .wavefront_size: 64
  - .args:
      - .offset:         0
        .size:           4
        .value_kind:     by_value
      - .offset:         4
        .size:           4
        .value_kind:     by_value
      - .offset:         8
        .size:           4
        .value_kind:     by_value
      - .actual_access:  read_only
        .address_space:  global
        .offset:         16
        .size:           8
        .value_kind:     global_buffer
      - .actual_access:  write_only
        .address_space:  global
        .offset:         24
        .size:           8
        .value_kind:     global_buffer
      - .offset:         32
        .size:           4
        .value_kind:     by_value
    .group_segment_fixed_size: 1024
    .kernarg_segment_align: 8
    .kernarg_segment_size: 36
    .language:       OpenCL C
    .language_version:
      - 2
      - 0
    .max_flat_workgroup_size: 256
    .name:           _ZN9rocsparseL42gtsv_transpose_and_pad_array_shared_kernelILj256ELj4EfEEviiiPKT1_PS1_S1_
    .private_segment_fixed_size: 0
    .sgpr_count:     16
    .sgpr_spill_count: 0
    .symbol:         _ZN9rocsparseL42gtsv_transpose_and_pad_array_shared_kernelILj256ELj4EfEEviiiPKT1_PS1_S1_.kd
    .uniform_work_group_size: 1
    .uses_dynamic_stack: false
    .vgpr_count:     4
    .vgpr_spill_count: 0
    .wavefront_size: 64
  - .args:
      - .offset:         0
        .size:           4
        .value_kind:     by_value
      - .offset:         4
        .size:           4
        .value_kind:     by_value
      - .offset:         8
        .size:           4
        .value_kind:     by_value
      - .actual_access:  read_only
        .address_space:  global
        .offset:         16
        .size:           8
        .value_kind:     global_buffer
      - .actual_access:  read_only
        .address_space:  global
        .offset:         24
        .size:           8
        .value_kind:     global_buffer
      - .actual_access:  read_only
        .address_space:  global
        .offset:         32
        .size:           8
        .value_kind:     global_buffer
      - .address_space:  global
        .offset:         40
        .size:           8
        .value_kind:     global_buffer
      - .address_space:  global
        .offset:         48
        .size:           8
        .value_kind:     global_buffer
      - .address_space:  global
        .offset:         56
        .size:           8
        .value_kind:     global_buffer
      - .address_space:  global
        .offset:         64
        .size:           8
        .value_kind:     global_buffer
    .group_segment_fixed_size: 0
    .kernarg_segment_align: 8
    .kernarg_segment_size: 72
    .language:       OpenCL C
    .language_version:
      - 2
      - 0
    .max_flat_workgroup_size: 256
    .name:           _ZN9rocsparseL18gtsv_LBM_wv_kernelILj256ELj4EfEEviiiPKT1_S3_S3_PS1_S4_S4_Pi
    .private_segment_fixed_size: 0
    .sgpr_count:     34
    .sgpr_spill_count: 0
    .symbol:         _ZN9rocsparseL18gtsv_LBM_wv_kernelILj256ELj4EfEEviiiPKT1_S3_S3_PS1_S4_S4_Pi.kd
    .uniform_work_group_size: 1
    .uses_dynamic_stack: false
    .vgpr_count:     29
    .vgpr_spill_count: 0
    .wavefront_size: 64
  - .args:
      - .offset:         0
        .size:           4
        .value_kind:     by_value
      - .offset:         4
        .size:           4
        .value_kind:     by_value
      - .offset:         8
        .size:           4
        .value_kind:     by_value
      - .actual_access:  read_only
        .address_space:  global
        .offset:         16
        .size:           8
        .value_kind:     global_buffer
      - .actual_access:  read_only
        .address_space:  global
        .offset:         24
        .size:           8
        .value_kind:     global_buffer
      - .actual_access:  read_only
        .address_space:  global
        .offset:         32
        .size:           8
        .value_kind:     global_buffer
      - .address_space:  global
        .offset:         40
        .size:           8
        .value_kind:     global_buffer
      - .actual_access:  read_only
        .address_space:  global
        .offset:         48
        .size:           8
        .value_kind:     global_buffer
      - .actual_access:  read_only
        .address_space:  global
        .offset:         56
        .size:           8
        .value_kind:     global_buffer
    .group_segment_fixed_size: 0
    .kernarg_segment_align: 8
    .kernarg_segment_size: 64
    .language:       OpenCL C
    .language_version:
      - 2
      - 0
    .max_flat_workgroup_size: 256
    .name:           _ZN9rocsparseL19gtsv_LBM_rhs_kernelILj256ELj4ELj8EfEEviiiPKT2_S3_S3_PS1_S3_PKi
    .private_segment_fixed_size: 0
    .sgpr_count:     40
    .sgpr_spill_count: 0
    .symbol:         _ZN9rocsparseL19gtsv_LBM_rhs_kernelILj256ELj4ELj8EfEEviiiPKT2_S3_S3_PS1_S3_PKi.kd
    .uniform_work_group_size: 1
    .uses_dynamic_stack: false
    .vgpr_count:     62
    .vgpr_spill_count: 0
    .wavefront_size: 64
  - .args:
      - .offset:         0
        .size:           4
        .value_kind:     by_value
      - .offset:         4
        .size:           4
        .value_kind:     by_value
      - .offset:         8
        .size:           4
        .value_kind:     by_value
      - .actual_access:  read_only
        .address_space:  global
        .offset:         16
        .size:           8
        .value_kind:     global_buffer
      - .actual_access:  read_only
        .address_space:  global
        .offset:         24
        .size:           8
        .value_kind:     global_buffer
      - .actual_access:  read_only
        .address_space:  global
        .offset:         32
        .size:           8
        .value_kind:     global_buffer
      - .address_space:  global
        .offset:         40
        .size:           8
        .value_kind:     global_buffer
      - .actual_access:  read_only
        .address_space:  global
        .offset:         48
        .size:           8
        .value_kind:     global_buffer
      - .actual_access:  read_only
        .address_space:  global
        .offset:         56
        .size:           8
        .value_kind:     global_buffer
    .group_segment_fixed_size: 0
    .kernarg_segment_align: 8
    .kernarg_segment_size: 64
    .language:       OpenCL C
    .language_version:
      - 2
      - 0
    .max_flat_workgroup_size: 256
    .name:           _ZN9rocsparseL19gtsv_LBM_rhs_kernelILj256ELj4ELj4EfEEviiiPKT2_S3_S3_PS1_S3_PKi
    .private_segment_fixed_size: 0
    .sgpr_count:     35
    .sgpr_spill_count: 0
    .symbol:         _ZN9rocsparseL19gtsv_LBM_rhs_kernelILj256ELj4ELj4EfEEviiiPKT2_S3_S3_PS1_S3_PKi.kd
    .uniform_work_group_size: 1
    .uses_dynamic_stack: false
    .vgpr_count:     38
    .vgpr_spill_count: 0
    .wavefront_size: 64
  - .args:
      - .offset:         0
        .size:           4
        .value_kind:     by_value
      - .offset:         4
        .size:           4
        .value_kind:     by_value
      - .offset:         8
        .size:           4
        .value_kind:     by_value
      - .actual_access:  read_only
        .address_space:  global
        .offset:         16
        .size:           8
        .value_kind:     global_buffer
      - .actual_access:  read_only
        .address_space:  global
        .offset:         24
        .size:           8
        .value_kind:     global_buffer
      - .actual_access:  read_only
        .address_space:  global
        .offset:         32
        .size:           8
        .value_kind:     global_buffer
      - .address_space:  global
        .offset:         40
        .size:           8
        .value_kind:     global_buffer
      - .actual_access:  read_only
        .address_space:  global
        .offset:         48
        .size:           8
        .value_kind:     global_buffer
      - .actual_access:  read_only
        .address_space:  global
        .offset:         56
        .size:           8
        .value_kind:     global_buffer
    .group_segment_fixed_size: 0
    .kernarg_segment_align: 8
    .kernarg_segment_size: 64
    .language:       OpenCL C
    .language_version:
      - 2
      - 0
    .max_flat_workgroup_size: 256
    .name:           _ZN9rocsparseL19gtsv_LBM_rhs_kernelILj256ELj4ELj2EfEEviiiPKT2_S3_S3_PS1_S3_PKi
    .private_segment_fixed_size: 0
    .sgpr_count:     33
    .sgpr_spill_count: 0
    .symbol:         _ZN9rocsparseL19gtsv_LBM_rhs_kernelILj256ELj4ELj2EfEEviiiPKT2_S3_S3_PS1_S3_PKi.kd
    .uniform_work_group_size: 1
    .uses_dynamic_stack: false
    .vgpr_count:     28
    .vgpr_spill_count: 0
    .wavefront_size: 64
  - .args:
      - .offset:         0
        .size:           4
        .value_kind:     by_value
      - .offset:         4
        .size:           4
        .value_kind:     by_value
      - .offset:         8
        .size:           4
        .value_kind:     by_value
      - .actual_access:  read_only
        .address_space:  global
        .offset:         16
        .size:           8
        .value_kind:     global_buffer
      - .actual_access:  read_only
        .address_space:  global
        .offset:         24
        .size:           8
        .value_kind:     global_buffer
      - .actual_access:  read_only
        .address_space:  global
        .offset:         32
        .size:           8
        .value_kind:     global_buffer
      - .address_space:  global
        .offset:         40
        .size:           8
        .value_kind:     global_buffer
      - .actual_access:  read_only
        .address_space:  global
        .offset:         48
        .size:           8
        .value_kind:     global_buffer
      - .actual_access:  read_only
        .address_space:  global
        .offset:         56
        .size:           8
        .value_kind:     global_buffer
    .group_segment_fixed_size: 0
    .kernarg_segment_align: 8
    .kernarg_segment_size: 64
    .language:       OpenCL C
    .language_version:
      - 2
      - 0
    .max_flat_workgroup_size: 256
    .name:           _ZN9rocsparseL19gtsv_LBM_rhs_kernelILj256ELj4ELj1EfEEviiiPKT2_S3_S3_PS1_S3_PKi
    .private_segment_fixed_size: 0
    .sgpr_count:     31
    .sgpr_spill_count: 0
    .symbol:         _ZN9rocsparseL19gtsv_LBM_rhs_kernelILj256ELj4ELj1EfEEviiiPKT2_S3_S3_PS1_S3_PKi.kd
    .uniform_work_group_size: 1
    .uses_dynamic_stack: false
    .vgpr_count:     22
    .vgpr_spill_count: 0
    .wavefront_size: 64
  - .args:
      - .offset:         0
        .size:           4
        .value_kind:     by_value
      - .offset:         4
        .size:           4
        .value_kind:     by_value
      - .offset:         8
        .size:           4
        .value_kind:     by_value
      - .address_space:  global
        .offset:         16
        .size:           8
        .value_kind:     global_buffer
      - .actual_access:  read_only
        .address_space:  global
        .offset:         24
        .size:           8
        .value_kind:     global_buffer
      - .actual_access:  read_only
        .address_space:  global
        .offset:         32
        .size:           8
        .value_kind:     global_buffer
      - .actual_access:  write_only
        .address_space:  global
        .offset:         40
        .size:           8
        .value_kind:     global_buffer
      - .actual_access:  write_only
        .address_space:  global
        .offset:         48
        .size:           8
        .value_kind:     global_buffer
      - .actual_access:  write_only
        .address_space:  global
        .offset:         56
        .size:           8
        .value_kind:     global_buffer
      - .actual_access:  write_only
        .address_space:  global
        .offset:         64
        .size:           8
        .value_kind:     global_buffer
      - .actual_access:  write_only
        .address_space:  global
        .offset:         72
        .size:           8
        .value_kind:     global_buffer
      - .offset:         80
        .size:           4
        .value_kind:     hidden_block_count_x
      - .offset:         84
        .size:           4
        .value_kind:     hidden_block_count_y
      - .offset:         88
        .size:           4
        .value_kind:     hidden_block_count_z
      - .offset:         92
        .size:           2
        .value_kind:     hidden_group_size_x
      - .offset:         94
        .size:           2
        .value_kind:     hidden_group_size_y
      - .offset:         96
        .size:           2
        .value_kind:     hidden_group_size_z
      - .offset:         98
        .size:           2
        .value_kind:     hidden_remainder_x
      - .offset:         100
        .size:           2
        .value_kind:     hidden_remainder_y
      - .offset:         102
        .size:           2
        .value_kind:     hidden_remainder_z
      - .offset:         120
        .size:           8
        .value_kind:     hidden_global_offset_x
      - .offset:         128
        .size:           8
        .value_kind:     hidden_global_offset_y
      - .offset:         136
        .size:           8
        .value_kind:     hidden_global_offset_z
      - .offset:         144
        .size:           2
        .value_kind:     hidden_grid_dims
    .group_segment_fixed_size: 6144
    .kernarg_segment_align: 8
    .kernarg_segment_size: 336
    .language:       OpenCL C
    .language_version:
      - 2
      - 0
    .max_flat_workgroup_size: 256
    .name:           _ZN9rocsparseL29gtsv_spike_block_level_kernelILj256ELj4EfEEviiiPT1_PKS1_S4_S2_S2_S2_S2_S2_
    .private_segment_fixed_size: 0
    .sgpr_count:     28
    .sgpr_spill_count: 0
    .symbol:         _ZN9rocsparseL29gtsv_spike_block_level_kernelILj256ELj4EfEEviiiPT1_PKS1_S4_S2_S2_S2_S2_S2_.kd
    .uniform_work_group_size: 1
    .uses_dynamic_stack: false
    .vgpr_count:     24
    .vgpr_spill_count: 0
    .wavefront_size: 64
  - .args:
      - .offset:         0
        .size:           4
        .value_kind:     by_value
      - .offset:         4
        .size:           4
        .value_kind:     by_value
      - .offset:         8
        .size:           4
        .value_kind:     by_value
      - .address_space:  global
        .offset:         16
        .size:           8
        .value_kind:     global_buffer
      - .actual_access:  read_only
        .address_space:  global
        .offset:         24
        .size:           8
        .value_kind:     global_buffer
      - .actual_access:  read_only
        .address_space:  global
        .offset:         32
        .size:           8
        .value_kind:     global_buffer
      - .actual_access:  read_only
        .address_space:  global
        .offset:         40
        .size:           8
        .value_kind:     global_buffer
      - .offset:         48
        .size:           4
        .value_kind:     hidden_block_count_x
      - .offset:         52
        .size:           4
        .value_kind:     hidden_block_count_y
      - .offset:         56
        .size:           4
        .value_kind:     hidden_block_count_z
      - .offset:         60
        .size:           2
        .value_kind:     hidden_group_size_x
      - .offset:         62
        .size:           2
        .value_kind:     hidden_group_size_y
      - .offset:         64
        .size:           2
        .value_kind:     hidden_group_size_z
      - .offset:         66
        .size:           2
        .value_kind:     hidden_remainder_x
      - .offset:         68
        .size:           2
        .value_kind:     hidden_remainder_y
      - .offset:         70
        .size:           2
        .value_kind:     hidden_remainder_z
      - .offset:         88
        .size:           8
        .value_kind:     hidden_global_offset_x
      - .offset:         96
        .size:           8
        .value_kind:     hidden_global_offset_y
      - .offset:         104
        .size:           8
        .value_kind:     hidden_global_offset_z
      - .offset:         112
        .size:           2
        .value_kind:     hidden_grid_dims
    .group_segment_fixed_size: 6160
    .kernarg_segment_align: 8
    .kernarg_segment_size: 304
    .language:       OpenCL C
    .language_version:
      - 2
      - 0
    .max_flat_workgroup_size: 256
    .name:           _ZN9rocsparseL33gtsv_solve_spike_propagate_kernelILj256ELj4EfEEviiiPT1_PKS1_S4_S4_
    .private_segment_fixed_size: 0
    .sgpr_count:     20
    .sgpr_spill_count: 0
    .symbol:         _ZN9rocsparseL33gtsv_solve_spike_propagate_kernelILj256ELj4EfEEviiiPT1_PKS1_S4_S4_.kd
    .uniform_work_group_size: 1
    .uses_dynamic_stack: false
    .vgpr_count:     12
    .vgpr_spill_count: 0
    .wavefront_size: 64
  - .args:
      - .offset:         0
        .size:           4
        .value_kind:     by_value
      - .offset:         4
        .size:           4
        .value_kind:     by_value
      - .offset:         8
        .size:           4
        .value_kind:     by_value
      - .address_space:  global
        .offset:         16
        .size:           8
        .value_kind:     global_buffer
      - .actual_access:  read_only
        .address_space:  global
        .offset:         24
        .size:           8
        .value_kind:     global_buffer
      - .actual_access:  read_only
        .address_space:  global
        .offset:         32
        .size:           8
        .value_kind:     global_buffer
    .group_segment_fixed_size: 0
    .kernarg_segment_align: 8
    .kernarg_segment_size: 40
    .language:       OpenCL C
    .language_version:
      - 2
      - 0
    .max_flat_workgroup_size: 256
    .name:           _ZN9rocsparseL39gtsv_spike_backward_substitution_kernelILj256ELj4EfEEviiiPT1_PKS1_S4_
    .private_segment_fixed_size: 0
    .sgpr_count:     16
    .sgpr_spill_count: 0
    .symbol:         _ZN9rocsparseL39gtsv_spike_backward_substitution_kernelILj256ELj4EfEEviiiPT1_PKS1_S4_.kd
    .uniform_work_group_size: 1
    .uses_dynamic_stack: false
    .vgpr_count:     15
    .vgpr_spill_count: 0
    .wavefront_size: 64
  - .args:
      - .offset:         0
        .size:           4
        .value_kind:     by_value
      - .offset:         4
        .size:           4
        .value_kind:     by_value
      - .offset:         8
        .size:           4
        .value_kind:     by_value
      - .actual_access:  read_only
        .address_space:  global
        .offset:         16
        .size:           8
        .value_kind:     global_buffer
      - .actual_access:  write_only
        .address_space:  global
        .offset:         24
        .size:           8
        .value_kind:     global_buffer
    .group_segment_fixed_size: 0
    .kernarg_segment_align: 8
    .kernarg_segment_size: 32
    .language:       OpenCL C
    .language_version:
      - 2
      - 0
    .max_flat_workgroup_size: 256
    .name:           _ZN9rocsparseL32gtsv_transpose_back_array_kernelILj256ELj4EfEEviiiPKT1_PS1_
    .private_segment_fixed_size: 0
    .sgpr_count:     16
    .sgpr_spill_count: 0
    .symbol:         _ZN9rocsparseL32gtsv_transpose_back_array_kernelILj256ELj4EfEEviiiPKT1_PS1_.kd
    .uniform_work_group_size: 1
    .uses_dynamic_stack: false
    .vgpr_count:     5
    .vgpr_spill_count: 0
    .wavefront_size: 64
  - .args:
      - .offset:         0
        .size:           4
        .value_kind:     by_value
      - .offset:         4
        .size:           4
        .value_kind:     by_value
      - .offset:         8
        .size:           4
        .value_kind:     by_value
      - .actual_access:  read_only
        .address_space:  global
        .offset:         16
        .size:           8
        .value_kind:     global_buffer
      - .actual_access:  write_only
        .address_space:  global
        .offset:         24
        .size:           8
        .value_kind:     global_buffer
      - .offset:         32
        .size:           4
        .value_kind:     by_value
    .group_segment_fixed_size: 1024
    .kernarg_segment_align: 8
    .kernarg_segment_size: 36
    .language:       OpenCL C
    .language_version:
      - 2
      - 0
    .max_flat_workgroup_size: 256
    .name:           _ZN9rocsparseL42gtsv_transpose_and_pad_array_shared_kernelILj256ELj8EfEEviiiPKT1_PS1_S1_
    .private_segment_fixed_size: 0
    .sgpr_count:     16
    .sgpr_spill_count: 0
    .symbol:         _ZN9rocsparseL42gtsv_transpose_and_pad_array_shared_kernelILj256ELj8EfEEviiiPKT1_PS1_S1_.kd
    .uniform_work_group_size: 1
    .uses_dynamic_stack: false
    .vgpr_count:     4
    .vgpr_spill_count: 0
    .wavefront_size: 64
  - .args:
      - .offset:         0
        .size:           4
        .value_kind:     by_value
      - .offset:         4
        .size:           4
        .value_kind:     by_value
      - .offset:         8
        .size:           4
        .value_kind:     by_value
      - .actual_access:  read_only
        .address_space:  global
        .offset:         16
        .size:           8
        .value_kind:     global_buffer
      - .actual_access:  read_only
        .address_space:  global
        .offset:         24
        .size:           8
        .value_kind:     global_buffer
      - .actual_access:  read_only
        .address_space:  global
        .offset:         32
        .size:           8
        .value_kind:     global_buffer
      - .address_space:  global
        .offset:         40
        .size:           8
        .value_kind:     global_buffer
      - .address_space:  global
        .offset:         48
        .size:           8
        .value_kind:     global_buffer
      - .address_space:  global
        .offset:         56
        .size:           8
        .value_kind:     global_buffer
      - .address_space:  global
        .offset:         64
        .size:           8
        .value_kind:     global_buffer
    .group_segment_fixed_size: 0
    .kernarg_segment_align: 8
    .kernarg_segment_size: 72
    .language:       OpenCL C
    .language_version:
      - 2
      - 0
    .max_flat_workgroup_size: 256
    .name:           _ZN9rocsparseL18gtsv_LBM_wv_kernelILj256ELj8EfEEviiiPKT1_S3_S3_PS1_S4_S4_Pi
    .private_segment_fixed_size: 0
    .sgpr_count:     35
    .sgpr_spill_count: 0
    .symbol:         _ZN9rocsparseL18gtsv_LBM_wv_kernelILj256ELj8EfEEviiiPKT1_S3_S3_PS1_S4_S4_Pi.kd
    .uniform_work_group_size: 1
    .uses_dynamic_stack: false
    .vgpr_count:     30
    .vgpr_spill_count: 0
    .wavefront_size: 64
  - .args:
      - .offset:         0
        .size:           4
        .value_kind:     by_value
      - .offset:         4
        .size:           4
        .value_kind:     by_value
      - .offset:         8
        .size:           4
        .value_kind:     by_value
      - .actual_access:  read_only
        .address_space:  global
        .offset:         16
        .size:           8
        .value_kind:     global_buffer
      - .actual_access:  read_only
        .address_space:  global
        .offset:         24
        .size:           8
        .value_kind:     global_buffer
      - .actual_access:  read_only
        .address_space:  global
        .offset:         32
        .size:           8
        .value_kind:     global_buffer
      - .address_space:  global
        .offset:         40
        .size:           8
        .value_kind:     global_buffer
      - .actual_access:  read_only
        .address_space:  global
        .offset:         48
        .size:           8
        .value_kind:     global_buffer
      - .actual_access:  read_only
        .address_space:  global
        .offset:         56
        .size:           8
        .value_kind:     global_buffer
    .group_segment_fixed_size: 0
    .kernarg_segment_align: 8
    .kernarg_segment_size: 64
    .language:       OpenCL C
    .language_version:
      - 2
      - 0
    .max_flat_workgroup_size: 256
    .name:           _ZN9rocsparseL19gtsv_LBM_rhs_kernelILj256ELj8ELj8EfEEviiiPKT2_S3_S3_PS1_S3_PKi
    .private_segment_fixed_size: 0
    .sgpr_count:     41
    .sgpr_spill_count: 0
    .symbol:         _ZN9rocsparseL19gtsv_LBM_rhs_kernelILj256ELj8ELj8EfEEviiiPKT2_S3_S3_PS1_S3_PKi.kd
    .uniform_work_group_size: 1
    .uses_dynamic_stack: false
    .vgpr_count:     62
    .vgpr_spill_count: 0
    .wavefront_size: 64
  - .args:
      - .offset:         0
        .size:           4
        .value_kind:     by_value
      - .offset:         4
        .size:           4
        .value_kind:     by_value
      - .offset:         8
        .size:           4
        .value_kind:     by_value
      - .actual_access:  read_only
        .address_space:  global
        .offset:         16
        .size:           8
        .value_kind:     global_buffer
      - .actual_access:  read_only
        .address_space:  global
        .offset:         24
        .size:           8
        .value_kind:     global_buffer
      - .actual_access:  read_only
        .address_space:  global
        .offset:         32
        .size:           8
        .value_kind:     global_buffer
      - .address_space:  global
        .offset:         40
        .size:           8
        .value_kind:     global_buffer
      - .actual_access:  read_only
        .address_space:  global
        .offset:         48
        .size:           8
        .value_kind:     global_buffer
      - .actual_access:  read_only
        .address_space:  global
        .offset:         56
        .size:           8
        .value_kind:     global_buffer
    .group_segment_fixed_size: 0
    .kernarg_segment_align: 8
    .kernarg_segment_size: 64
    .language:       OpenCL C
    .language_version:
      - 2
      - 0
    .max_flat_workgroup_size: 256
    .name:           _ZN9rocsparseL19gtsv_LBM_rhs_kernelILj256ELj8ELj4EfEEviiiPKT2_S3_S3_PS1_S3_PKi
    .private_segment_fixed_size: 0
    .sgpr_count:     36
    .sgpr_spill_count: 0
    .symbol:         _ZN9rocsparseL19gtsv_LBM_rhs_kernelILj256ELj8ELj4EfEEviiiPKT2_S3_S3_PS1_S3_PKi.kd
    .uniform_work_group_size: 1
    .uses_dynamic_stack: false
    .vgpr_count:     38
    .vgpr_spill_count: 0
    .wavefront_size: 64
  - .args:
      - .offset:         0
        .size:           4
        .value_kind:     by_value
      - .offset:         4
        .size:           4
        .value_kind:     by_value
      - .offset:         8
        .size:           4
        .value_kind:     by_value
      - .actual_access:  read_only
        .address_space:  global
        .offset:         16
        .size:           8
        .value_kind:     global_buffer
      - .actual_access:  read_only
        .address_space:  global
        .offset:         24
        .size:           8
        .value_kind:     global_buffer
      - .actual_access:  read_only
        .address_space:  global
        .offset:         32
        .size:           8
        .value_kind:     global_buffer
      - .address_space:  global
        .offset:         40
        .size:           8
        .value_kind:     global_buffer
      - .actual_access:  read_only
        .address_space:  global
        .offset:         48
        .size:           8
        .value_kind:     global_buffer
      - .actual_access:  read_only
        .address_space:  global
        .offset:         56
        .size:           8
        .value_kind:     global_buffer
    .group_segment_fixed_size: 0
    .kernarg_segment_align: 8
    .kernarg_segment_size: 64
    .language:       OpenCL C
    .language_version:
      - 2
      - 0
    .max_flat_workgroup_size: 256
    .name:           _ZN9rocsparseL19gtsv_LBM_rhs_kernelILj256ELj8ELj2EfEEviiiPKT2_S3_S3_PS1_S3_PKi
    .private_segment_fixed_size: 0
    .sgpr_count:     34
    .sgpr_spill_count: 0
    .symbol:         _ZN9rocsparseL19gtsv_LBM_rhs_kernelILj256ELj8ELj2EfEEviiiPKT2_S3_S3_PS1_S3_PKi.kd
    .uniform_work_group_size: 1
    .uses_dynamic_stack: false
    .vgpr_count:     28
    .vgpr_spill_count: 0
    .wavefront_size: 64
  - .args:
      - .offset:         0
        .size:           4
        .value_kind:     by_value
      - .offset:         4
        .size:           4
        .value_kind:     by_value
      - .offset:         8
        .size:           4
        .value_kind:     by_value
      - .actual_access:  read_only
        .address_space:  global
        .offset:         16
        .size:           8
        .value_kind:     global_buffer
      - .actual_access:  read_only
        .address_space:  global
        .offset:         24
        .size:           8
        .value_kind:     global_buffer
      - .actual_access:  read_only
        .address_space:  global
        .offset:         32
        .size:           8
        .value_kind:     global_buffer
      - .address_space:  global
        .offset:         40
        .size:           8
        .value_kind:     global_buffer
      - .actual_access:  read_only
        .address_space:  global
        .offset:         48
        .size:           8
        .value_kind:     global_buffer
      - .actual_access:  read_only
        .address_space:  global
        .offset:         56
        .size:           8
        .value_kind:     global_buffer
    .group_segment_fixed_size: 0
    .kernarg_segment_align: 8
    .kernarg_segment_size: 64
    .language:       OpenCL C
    .language_version:
      - 2
      - 0
    .max_flat_workgroup_size: 256
    .name:           _ZN9rocsparseL19gtsv_LBM_rhs_kernelILj256ELj8ELj1EfEEviiiPKT2_S3_S3_PS1_S3_PKi
    .private_segment_fixed_size: 0
    .sgpr_count:     32
    .sgpr_spill_count: 0
    .symbol:         _ZN9rocsparseL19gtsv_LBM_rhs_kernelILj256ELj8ELj1EfEEviiiPKT2_S3_S3_PS1_S3_PKi.kd
    .uniform_work_group_size: 1
    .uses_dynamic_stack: false
    .vgpr_count:     22
    .vgpr_spill_count: 0
    .wavefront_size: 64
  - .args:
      - .offset:         0
        .size:           4
        .value_kind:     by_value
      - .offset:         4
        .size:           4
        .value_kind:     by_value
      - .offset:         8
        .size:           4
        .value_kind:     by_value
      - .address_space:  global
        .offset:         16
        .size:           8
        .value_kind:     global_buffer
      - .actual_access:  read_only
        .address_space:  global
        .offset:         24
        .size:           8
        .value_kind:     global_buffer
      - .actual_access:  read_only
        .address_space:  global
        .offset:         32
        .size:           8
        .value_kind:     global_buffer
      - .actual_access:  write_only
        .address_space:  global
        .offset:         40
        .size:           8
        .value_kind:     global_buffer
      - .actual_access:  write_only
        .address_space:  global
        .offset:         48
        .size:           8
        .value_kind:     global_buffer
      - .actual_access:  write_only
        .address_space:  global
        .offset:         56
        .size:           8
        .value_kind:     global_buffer
      - .actual_access:  write_only
        .address_space:  global
        .offset:         64
        .size:           8
        .value_kind:     global_buffer
      - .actual_access:  write_only
        .address_space:  global
        .offset:         72
        .size:           8
        .value_kind:     global_buffer
      - .offset:         80
        .size:           4
        .value_kind:     hidden_block_count_x
      - .offset:         84
        .size:           4
        .value_kind:     hidden_block_count_y
      - .offset:         88
        .size:           4
        .value_kind:     hidden_block_count_z
      - .offset:         92
        .size:           2
        .value_kind:     hidden_group_size_x
      - .offset:         94
        .size:           2
        .value_kind:     hidden_group_size_y
      - .offset:         96
        .size:           2
        .value_kind:     hidden_group_size_z
      - .offset:         98
        .size:           2
        .value_kind:     hidden_remainder_x
      - .offset:         100
        .size:           2
        .value_kind:     hidden_remainder_y
      - .offset:         102
        .size:           2
        .value_kind:     hidden_remainder_z
      - .offset:         120
        .size:           8
        .value_kind:     hidden_global_offset_x
      - .offset:         128
        .size:           8
        .value_kind:     hidden_global_offset_y
      - .offset:         136
        .size:           8
        .value_kind:     hidden_global_offset_z
      - .offset:         144
        .size:           2
        .value_kind:     hidden_grid_dims
    .group_segment_fixed_size: 6144
    .kernarg_segment_align: 8
    .kernarg_segment_size: 336
    .language:       OpenCL C
    .language_version:
      - 2
      - 0
    .max_flat_workgroup_size: 256
    .name:           _ZN9rocsparseL29gtsv_spike_block_level_kernelILj256ELj8EfEEviiiPT1_PKS1_S4_S2_S2_S2_S2_S2_
    .private_segment_fixed_size: 0
    .sgpr_count:     28
    .sgpr_spill_count: 0
    .symbol:         _ZN9rocsparseL29gtsv_spike_block_level_kernelILj256ELj8EfEEviiiPT1_PKS1_S4_S2_S2_S2_S2_S2_.kd
    .uniform_work_group_size: 1
    .uses_dynamic_stack: false
    .vgpr_count:     24
    .vgpr_spill_count: 0
    .wavefront_size: 64
  - .args:
      - .offset:         0
        .size:           4
        .value_kind:     by_value
      - .offset:         4
        .size:           4
        .value_kind:     by_value
      - .offset:         8
        .size:           4
        .value_kind:     by_value
      - .address_space:  global
        .offset:         16
        .size:           8
        .value_kind:     global_buffer
      - .actual_access:  read_only
        .address_space:  global
        .offset:         24
        .size:           8
        .value_kind:     global_buffer
      - .actual_access:  read_only
        .address_space:  global
        .offset:         32
        .size:           8
        .value_kind:     global_buffer
      - .actual_access:  read_only
        .address_space:  global
        .offset:         40
        .size:           8
        .value_kind:     global_buffer
      - .offset:         48
        .size:           4
        .value_kind:     hidden_block_count_x
      - .offset:         52
        .size:           4
        .value_kind:     hidden_block_count_y
      - .offset:         56
        .size:           4
        .value_kind:     hidden_block_count_z
      - .offset:         60
        .size:           2
        .value_kind:     hidden_group_size_x
      - .offset:         62
        .size:           2
        .value_kind:     hidden_group_size_y
      - .offset:         64
        .size:           2
        .value_kind:     hidden_group_size_z
      - .offset:         66
        .size:           2
        .value_kind:     hidden_remainder_x
      - .offset:         68
        .size:           2
        .value_kind:     hidden_remainder_y
      - .offset:         70
        .size:           2
        .value_kind:     hidden_remainder_z
      - .offset:         88
        .size:           8
        .value_kind:     hidden_global_offset_x
      - .offset:         96
        .size:           8
        .value_kind:     hidden_global_offset_y
      - .offset:         104
        .size:           8
        .value_kind:     hidden_global_offset_z
      - .offset:         112
        .size:           2
        .value_kind:     hidden_grid_dims
    .group_segment_fixed_size: 6160
    .kernarg_segment_align: 8
    .kernarg_segment_size: 304
    .language:       OpenCL C
    .language_version:
      - 2
      - 0
    .max_flat_workgroup_size: 256
    .name:           _ZN9rocsparseL33gtsv_solve_spike_propagate_kernelILj256ELj8EfEEviiiPT1_PKS1_S4_S4_
    .private_segment_fixed_size: 0
    .sgpr_count:     20
    .sgpr_spill_count: 0
    .symbol:         _ZN9rocsparseL33gtsv_solve_spike_propagate_kernelILj256ELj8EfEEviiiPT1_PKS1_S4_S4_.kd
    .uniform_work_group_size: 1
    .uses_dynamic_stack: false
    .vgpr_count:     12
    .vgpr_spill_count: 0
    .wavefront_size: 64
  - .args:
      - .offset:         0
        .size:           4
        .value_kind:     by_value
      - .offset:         4
        .size:           4
        .value_kind:     by_value
      - .offset:         8
        .size:           4
        .value_kind:     by_value
      - .address_space:  global
        .offset:         16
        .size:           8
        .value_kind:     global_buffer
      - .actual_access:  read_only
        .address_space:  global
        .offset:         24
        .size:           8
        .value_kind:     global_buffer
      - .actual_access:  read_only
        .address_space:  global
        .offset:         32
        .size:           8
        .value_kind:     global_buffer
    .group_segment_fixed_size: 0
    .kernarg_segment_align: 8
    .kernarg_segment_size: 40
    .language:       OpenCL C
    .language_version:
      - 2
      - 0
    .max_flat_workgroup_size: 256
    .name:           _ZN9rocsparseL39gtsv_spike_backward_substitution_kernelILj256ELj8EfEEviiiPT1_PKS1_S4_
    .private_segment_fixed_size: 0
    .sgpr_count:     16
    .sgpr_spill_count: 0
    .symbol:         _ZN9rocsparseL39gtsv_spike_backward_substitution_kernelILj256ELj8EfEEviiiPT1_PKS1_S4_.kd
    .uniform_work_group_size: 1
    .uses_dynamic_stack: false
    .vgpr_count:     19
    .vgpr_spill_count: 0
    .wavefront_size: 64
  - .args:
      - .offset:         0
        .size:           4
        .value_kind:     by_value
      - .offset:         4
        .size:           4
        .value_kind:     by_value
      - .offset:         8
        .size:           4
        .value_kind:     by_value
      - .actual_access:  read_only
        .address_space:  global
        .offset:         16
        .size:           8
        .value_kind:     global_buffer
      - .actual_access:  write_only
        .address_space:  global
        .offset:         24
        .size:           8
        .value_kind:     global_buffer
    .group_segment_fixed_size: 0
    .kernarg_segment_align: 8
    .kernarg_segment_size: 32
    .language:       OpenCL C
    .language_version:
      - 2
      - 0
    .max_flat_workgroup_size: 256
    .name:           _ZN9rocsparseL32gtsv_transpose_back_array_kernelILj256ELj8EfEEviiiPKT1_PS1_
    .private_segment_fixed_size: 0
    .sgpr_count:     16
    .sgpr_spill_count: 0
    .symbol:         _ZN9rocsparseL32gtsv_transpose_back_array_kernelILj256ELj8EfEEviiiPKT1_PS1_.kd
    .uniform_work_group_size: 1
    .uses_dynamic_stack: false
    .vgpr_count:     5
    .vgpr_spill_count: 0
    .wavefront_size: 64
  - .args:
      - .offset:         0
        .size:           4
        .value_kind:     by_value
      - .offset:         4
        .size:           4
        .value_kind:     by_value
      - .offset:         8
        .size:           4
        .value_kind:     by_value
      - .actual_access:  read_only
        .address_space:  global
        .offset:         16
        .size:           8
        .value_kind:     global_buffer
      - .actual_access:  write_only
        .address_space:  global
        .offset:         24
        .size:           8
        .value_kind:     global_buffer
      - .offset:         32
        .size:           4
        .value_kind:     by_value
    .group_segment_fixed_size: 1024
    .kernarg_segment_align: 8
    .kernarg_segment_size: 36
    .language:       OpenCL C
    .language_version:
      - 2
      - 0
    .max_flat_workgroup_size: 256
    .name:           _ZN9rocsparseL42gtsv_transpose_and_pad_array_shared_kernelILj256ELj16EfEEviiiPKT1_PS1_S1_
    .private_segment_fixed_size: 0
    .sgpr_count:     16
    .sgpr_spill_count: 0
    .symbol:         _ZN9rocsparseL42gtsv_transpose_and_pad_array_shared_kernelILj256ELj16EfEEviiiPKT1_PS1_S1_.kd
    .uniform_work_group_size: 1
    .uses_dynamic_stack: false
    .vgpr_count:     4
    .vgpr_spill_count: 0
    .wavefront_size: 64
  - .args:
      - .offset:         0
        .size:           4
        .value_kind:     by_value
      - .offset:         4
        .size:           4
        .value_kind:     by_value
      - .offset:         8
        .size:           4
        .value_kind:     by_value
      - .actual_access:  read_only
        .address_space:  global
        .offset:         16
        .size:           8
        .value_kind:     global_buffer
      - .actual_access:  read_only
        .address_space:  global
        .offset:         24
        .size:           8
        .value_kind:     global_buffer
      - .actual_access:  read_only
        .address_space:  global
        .offset:         32
        .size:           8
        .value_kind:     global_buffer
      - .address_space:  global
        .offset:         40
        .size:           8
        .value_kind:     global_buffer
      - .address_space:  global
        .offset:         48
        .size:           8
        .value_kind:     global_buffer
      - .address_space:  global
        .offset:         56
        .size:           8
        .value_kind:     global_buffer
      - .address_space:  global
        .offset:         64
        .size:           8
        .value_kind:     global_buffer
    .group_segment_fixed_size: 0
    .kernarg_segment_align: 8
    .kernarg_segment_size: 72
    .language:       OpenCL C
    .language_version:
      - 2
      - 0
    .max_flat_workgroup_size: 256
    .name:           _ZN9rocsparseL18gtsv_LBM_wv_kernelILj256ELj16EfEEviiiPKT1_S3_S3_PS1_S4_S4_Pi
    .private_segment_fixed_size: 0
    .sgpr_count:     35
    .sgpr_spill_count: 0
    .symbol:         _ZN9rocsparseL18gtsv_LBM_wv_kernelILj256ELj16EfEEviiiPKT1_S3_S3_PS1_S4_S4_Pi.kd
    .uniform_work_group_size: 1
    .uses_dynamic_stack: false
    .vgpr_count:     30
    .vgpr_spill_count: 0
    .wavefront_size: 64
  - .args:
      - .offset:         0
        .size:           4
        .value_kind:     by_value
      - .offset:         4
        .size:           4
        .value_kind:     by_value
      - .offset:         8
        .size:           4
        .value_kind:     by_value
      - .actual_access:  read_only
        .address_space:  global
        .offset:         16
        .size:           8
        .value_kind:     global_buffer
      - .actual_access:  read_only
        .address_space:  global
        .offset:         24
        .size:           8
        .value_kind:     global_buffer
      - .actual_access:  read_only
        .address_space:  global
        .offset:         32
        .size:           8
        .value_kind:     global_buffer
      - .address_space:  global
        .offset:         40
        .size:           8
        .value_kind:     global_buffer
      - .actual_access:  read_only
        .address_space:  global
        .offset:         48
        .size:           8
        .value_kind:     global_buffer
      - .actual_access:  read_only
        .address_space:  global
        .offset:         56
        .size:           8
        .value_kind:     global_buffer
    .group_segment_fixed_size: 0
    .kernarg_segment_align: 8
    .kernarg_segment_size: 64
    .language:       OpenCL C
    .language_version:
      - 2
      - 0
    .max_flat_workgroup_size: 256
    .name:           _ZN9rocsparseL19gtsv_LBM_rhs_kernelILj256ELj16ELj8EfEEviiiPKT2_S3_S3_PS1_S3_PKi
    .private_segment_fixed_size: 0
    .sgpr_count:     41
    .sgpr_spill_count: 0
    .symbol:         _ZN9rocsparseL19gtsv_LBM_rhs_kernelILj256ELj16ELj8EfEEviiiPKT2_S3_S3_PS1_S3_PKi.kd
    .uniform_work_group_size: 1
    .uses_dynamic_stack: false
    .vgpr_count:     62
    .vgpr_spill_count: 0
    .wavefront_size: 64
  - .args:
      - .offset:         0
        .size:           4
        .value_kind:     by_value
      - .offset:         4
        .size:           4
        .value_kind:     by_value
      - .offset:         8
        .size:           4
        .value_kind:     by_value
      - .actual_access:  read_only
        .address_space:  global
        .offset:         16
        .size:           8
        .value_kind:     global_buffer
      - .actual_access:  read_only
        .address_space:  global
        .offset:         24
        .size:           8
        .value_kind:     global_buffer
      - .actual_access:  read_only
        .address_space:  global
        .offset:         32
        .size:           8
        .value_kind:     global_buffer
      - .address_space:  global
        .offset:         40
        .size:           8
        .value_kind:     global_buffer
      - .actual_access:  read_only
        .address_space:  global
        .offset:         48
        .size:           8
        .value_kind:     global_buffer
      - .actual_access:  read_only
        .address_space:  global
        .offset:         56
        .size:           8
        .value_kind:     global_buffer
    .group_segment_fixed_size: 0
    .kernarg_segment_align: 8
    .kernarg_segment_size: 64
    .language:       OpenCL C
    .language_version:
      - 2
      - 0
    .max_flat_workgroup_size: 256
    .name:           _ZN9rocsparseL19gtsv_LBM_rhs_kernelILj256ELj16ELj4EfEEviiiPKT2_S3_S3_PS1_S3_PKi
    .private_segment_fixed_size: 0
    .sgpr_count:     36
    .sgpr_spill_count: 0
    .symbol:         _ZN9rocsparseL19gtsv_LBM_rhs_kernelILj256ELj16ELj4EfEEviiiPKT2_S3_S3_PS1_S3_PKi.kd
    .uniform_work_group_size: 1
    .uses_dynamic_stack: false
    .vgpr_count:     38
    .vgpr_spill_count: 0
    .wavefront_size: 64
  - .args:
      - .offset:         0
        .size:           4
        .value_kind:     by_value
      - .offset:         4
        .size:           4
        .value_kind:     by_value
      - .offset:         8
        .size:           4
        .value_kind:     by_value
      - .actual_access:  read_only
        .address_space:  global
        .offset:         16
        .size:           8
        .value_kind:     global_buffer
      - .actual_access:  read_only
        .address_space:  global
        .offset:         24
        .size:           8
        .value_kind:     global_buffer
      - .actual_access:  read_only
        .address_space:  global
        .offset:         32
        .size:           8
        .value_kind:     global_buffer
      - .address_space:  global
        .offset:         40
        .size:           8
        .value_kind:     global_buffer
      - .actual_access:  read_only
        .address_space:  global
        .offset:         48
        .size:           8
        .value_kind:     global_buffer
      - .actual_access:  read_only
        .address_space:  global
        .offset:         56
        .size:           8
        .value_kind:     global_buffer
    .group_segment_fixed_size: 0
    .kernarg_segment_align: 8
    .kernarg_segment_size: 64
    .language:       OpenCL C
    .language_version:
      - 2
      - 0
    .max_flat_workgroup_size: 256
    .name:           _ZN9rocsparseL19gtsv_LBM_rhs_kernelILj256ELj16ELj2EfEEviiiPKT2_S3_S3_PS1_S3_PKi
    .private_segment_fixed_size: 0
    .sgpr_count:     34
    .sgpr_spill_count: 0
    .symbol:         _ZN9rocsparseL19gtsv_LBM_rhs_kernelILj256ELj16ELj2EfEEviiiPKT2_S3_S3_PS1_S3_PKi.kd
    .uniform_work_group_size: 1
    .uses_dynamic_stack: false
    .vgpr_count:     28
    .vgpr_spill_count: 0
    .wavefront_size: 64
  - .args:
      - .offset:         0
        .size:           4
        .value_kind:     by_value
      - .offset:         4
        .size:           4
        .value_kind:     by_value
      - .offset:         8
        .size:           4
        .value_kind:     by_value
      - .actual_access:  read_only
        .address_space:  global
        .offset:         16
        .size:           8
        .value_kind:     global_buffer
      - .actual_access:  read_only
        .address_space:  global
        .offset:         24
        .size:           8
        .value_kind:     global_buffer
      - .actual_access:  read_only
        .address_space:  global
        .offset:         32
        .size:           8
        .value_kind:     global_buffer
      - .address_space:  global
        .offset:         40
        .size:           8
        .value_kind:     global_buffer
      - .actual_access:  read_only
        .address_space:  global
        .offset:         48
        .size:           8
        .value_kind:     global_buffer
      - .actual_access:  read_only
        .address_space:  global
        .offset:         56
        .size:           8
        .value_kind:     global_buffer
    .group_segment_fixed_size: 0
    .kernarg_segment_align: 8
    .kernarg_segment_size: 64
    .language:       OpenCL C
    .language_version:
      - 2
      - 0
    .max_flat_workgroup_size: 256
    .name:           _ZN9rocsparseL19gtsv_LBM_rhs_kernelILj256ELj16ELj1EfEEviiiPKT2_S3_S3_PS1_S3_PKi
    .private_segment_fixed_size: 0
    .sgpr_count:     32
    .sgpr_spill_count: 0
    .symbol:         _ZN9rocsparseL19gtsv_LBM_rhs_kernelILj256ELj16ELj1EfEEviiiPKT2_S3_S3_PS1_S3_PKi.kd
    .uniform_work_group_size: 1
    .uses_dynamic_stack: false
    .vgpr_count:     22
    .vgpr_spill_count: 0
    .wavefront_size: 64
  - .args:
      - .offset:         0
        .size:           4
        .value_kind:     by_value
      - .offset:         4
        .size:           4
        .value_kind:     by_value
      - .offset:         8
        .size:           4
        .value_kind:     by_value
      - .address_space:  global
        .offset:         16
        .size:           8
        .value_kind:     global_buffer
      - .actual_access:  read_only
        .address_space:  global
        .offset:         24
        .size:           8
        .value_kind:     global_buffer
      - .actual_access:  read_only
        .address_space:  global
        .offset:         32
        .size:           8
        .value_kind:     global_buffer
      - .actual_access:  write_only
        .address_space:  global
        .offset:         40
        .size:           8
        .value_kind:     global_buffer
      - .actual_access:  write_only
        .address_space:  global
        .offset:         48
        .size:           8
        .value_kind:     global_buffer
      - .actual_access:  write_only
        .address_space:  global
        .offset:         56
        .size:           8
        .value_kind:     global_buffer
      - .actual_access:  write_only
        .address_space:  global
        .offset:         64
        .size:           8
        .value_kind:     global_buffer
      - .actual_access:  write_only
        .address_space:  global
        .offset:         72
        .size:           8
        .value_kind:     global_buffer
      - .offset:         80
        .size:           4
        .value_kind:     hidden_block_count_x
      - .offset:         84
        .size:           4
        .value_kind:     hidden_block_count_y
      - .offset:         88
        .size:           4
        .value_kind:     hidden_block_count_z
      - .offset:         92
        .size:           2
        .value_kind:     hidden_group_size_x
      - .offset:         94
        .size:           2
        .value_kind:     hidden_group_size_y
      - .offset:         96
        .size:           2
        .value_kind:     hidden_group_size_z
      - .offset:         98
        .size:           2
        .value_kind:     hidden_remainder_x
      - .offset:         100
        .size:           2
        .value_kind:     hidden_remainder_y
      - .offset:         102
        .size:           2
        .value_kind:     hidden_remainder_z
      - .offset:         120
        .size:           8
        .value_kind:     hidden_global_offset_x
      - .offset:         128
        .size:           8
        .value_kind:     hidden_global_offset_y
      - .offset:         136
        .size:           8
        .value_kind:     hidden_global_offset_z
      - .offset:         144
        .size:           2
        .value_kind:     hidden_grid_dims
    .group_segment_fixed_size: 6144
    .kernarg_segment_align: 8
    .kernarg_segment_size: 336
    .language:       OpenCL C
    .language_version:
      - 2
      - 0
    .max_flat_workgroup_size: 256
    .name:           _ZN9rocsparseL29gtsv_spike_block_level_kernelILj256ELj16EfEEviiiPT1_PKS1_S4_S2_S2_S2_S2_S2_
    .private_segment_fixed_size: 0
    .sgpr_count:     28
    .sgpr_spill_count: 0
    .symbol:         _ZN9rocsparseL29gtsv_spike_block_level_kernelILj256ELj16EfEEviiiPT1_PKS1_S4_S2_S2_S2_S2_S2_.kd
    .uniform_work_group_size: 1
    .uses_dynamic_stack: false
    .vgpr_count:     24
    .vgpr_spill_count: 0
    .wavefront_size: 64
  - .args:
      - .offset:         0
        .size:           4
        .value_kind:     by_value
      - .offset:         4
        .size:           4
        .value_kind:     by_value
      - .offset:         8
        .size:           4
        .value_kind:     by_value
      - .address_space:  global
        .offset:         16
        .size:           8
        .value_kind:     global_buffer
      - .actual_access:  read_only
        .address_space:  global
        .offset:         24
        .size:           8
        .value_kind:     global_buffer
      - .actual_access:  read_only
        .address_space:  global
        .offset:         32
        .size:           8
        .value_kind:     global_buffer
      - .actual_access:  read_only
        .address_space:  global
        .offset:         40
        .size:           8
        .value_kind:     global_buffer
      - .offset:         48
        .size:           4
        .value_kind:     hidden_block_count_x
      - .offset:         52
        .size:           4
        .value_kind:     hidden_block_count_y
      - .offset:         56
        .size:           4
        .value_kind:     hidden_block_count_z
      - .offset:         60
        .size:           2
        .value_kind:     hidden_group_size_x
      - .offset:         62
        .size:           2
        .value_kind:     hidden_group_size_y
      - .offset:         64
        .size:           2
        .value_kind:     hidden_group_size_z
      - .offset:         66
        .size:           2
        .value_kind:     hidden_remainder_x
      - .offset:         68
        .size:           2
        .value_kind:     hidden_remainder_y
      - .offset:         70
        .size:           2
        .value_kind:     hidden_remainder_z
      - .offset:         88
        .size:           8
        .value_kind:     hidden_global_offset_x
      - .offset:         96
        .size:           8
        .value_kind:     hidden_global_offset_y
      - .offset:         104
        .size:           8
        .value_kind:     hidden_global_offset_z
      - .offset:         112
        .size:           2
        .value_kind:     hidden_grid_dims
    .group_segment_fixed_size: 6160
    .kernarg_segment_align: 8
    .kernarg_segment_size: 304
    .language:       OpenCL C
    .language_version:
      - 2
      - 0
    .max_flat_workgroup_size: 256
    .name:           _ZN9rocsparseL33gtsv_solve_spike_propagate_kernelILj256ELj16EfEEviiiPT1_PKS1_S4_S4_
    .private_segment_fixed_size: 0
    .sgpr_count:     20
    .sgpr_spill_count: 0
    .symbol:         _ZN9rocsparseL33gtsv_solve_spike_propagate_kernelILj256ELj16EfEEviiiPT1_PKS1_S4_S4_.kd
    .uniform_work_group_size: 1
    .uses_dynamic_stack: false
    .vgpr_count:     12
    .vgpr_spill_count: 0
    .wavefront_size: 64
  - .args:
      - .offset:         0
        .size:           4
        .value_kind:     by_value
      - .offset:         4
        .size:           4
        .value_kind:     by_value
      - .offset:         8
        .size:           4
        .value_kind:     by_value
      - .address_space:  global
        .offset:         16
        .size:           8
        .value_kind:     global_buffer
      - .actual_access:  read_only
        .address_space:  global
        .offset:         24
        .size:           8
        .value_kind:     global_buffer
      - .actual_access:  read_only
        .address_space:  global
        .offset:         32
        .size:           8
        .value_kind:     global_buffer
    .group_segment_fixed_size: 0
    .kernarg_segment_align: 8
    .kernarg_segment_size: 40
    .language:       OpenCL C
    .language_version:
      - 2
      - 0
    .max_flat_workgroup_size: 256
    .name:           _ZN9rocsparseL39gtsv_spike_backward_substitution_kernelILj256ELj16EfEEviiiPT1_PKS1_S4_
    .private_segment_fixed_size: 0
    .sgpr_count:     16
    .sgpr_spill_count: 0
    .symbol:         _ZN9rocsparseL39gtsv_spike_backward_substitution_kernelILj256ELj16EfEEviiiPT1_PKS1_S4_.kd
    .uniform_work_group_size: 1
    .uses_dynamic_stack: false
    .vgpr_count:     19
    .vgpr_spill_count: 0
    .wavefront_size: 64
  - .args:
      - .offset:         0
        .size:           4
        .value_kind:     by_value
      - .offset:         4
        .size:           4
        .value_kind:     by_value
      - .offset:         8
        .size:           4
        .value_kind:     by_value
      - .actual_access:  read_only
        .address_space:  global
        .offset:         16
        .size:           8
        .value_kind:     global_buffer
      - .actual_access:  write_only
        .address_space:  global
        .offset:         24
        .size:           8
        .value_kind:     global_buffer
    .group_segment_fixed_size: 0
    .kernarg_segment_align: 8
    .kernarg_segment_size: 32
    .language:       OpenCL C
    .language_version:
      - 2
      - 0
    .max_flat_workgroup_size: 256
    .name:           _ZN9rocsparseL32gtsv_transpose_back_array_kernelILj256ELj16EfEEviiiPKT1_PS1_
    .private_segment_fixed_size: 0
    .sgpr_count:     16
    .sgpr_spill_count: 0
    .symbol:         _ZN9rocsparseL32gtsv_transpose_back_array_kernelILj256ELj16EfEEviiiPKT1_PS1_.kd
    .uniform_work_group_size: 1
    .uses_dynamic_stack: false
    .vgpr_count:     5
    .vgpr_spill_count: 0
    .wavefront_size: 64
  - .args:
      - .offset:         0
        .size:           4
        .value_kind:     by_value
      - .offset:         4
        .size:           4
        .value_kind:     by_value
      - .offset:         8
        .size:           4
        .value_kind:     by_value
      - .actual_access:  read_only
        .address_space:  global
        .offset:         16
        .size:           8
        .value_kind:     global_buffer
      - .actual_access:  write_only
        .address_space:  global
        .offset:         24
        .size:           8
        .value_kind:     global_buffer
      - .offset:         32
        .size:           4
        .value_kind:     by_value
    .group_segment_fixed_size: 1024
    .kernarg_segment_align: 8
    .kernarg_segment_size: 36
    .language:       OpenCL C
    .language_version:
      - 2
      - 0
    .max_flat_workgroup_size: 256
    .name:           _ZN9rocsparseL42gtsv_transpose_and_pad_array_shared_kernelILj256ELj32EfEEviiiPKT1_PS1_S1_
    .private_segment_fixed_size: 0
    .sgpr_count:     16
    .sgpr_spill_count: 0
    .symbol:         _ZN9rocsparseL42gtsv_transpose_and_pad_array_shared_kernelILj256ELj32EfEEviiiPKT1_PS1_S1_.kd
    .uniform_work_group_size: 1
    .uses_dynamic_stack: false
    .vgpr_count:     4
    .vgpr_spill_count: 0
    .wavefront_size: 64
  - .args:
      - .offset:         0
        .size:           4
        .value_kind:     by_value
      - .offset:         4
        .size:           4
        .value_kind:     by_value
      - .offset:         8
        .size:           4
        .value_kind:     by_value
      - .actual_access:  read_only
        .address_space:  global
        .offset:         16
        .size:           8
        .value_kind:     global_buffer
      - .actual_access:  read_only
        .address_space:  global
        .offset:         24
        .size:           8
        .value_kind:     global_buffer
      - .actual_access:  read_only
        .address_space:  global
        .offset:         32
        .size:           8
        .value_kind:     global_buffer
      - .address_space:  global
        .offset:         40
        .size:           8
        .value_kind:     global_buffer
      - .address_space:  global
        .offset:         48
        .size:           8
        .value_kind:     global_buffer
      - .address_space:  global
        .offset:         56
        .size:           8
        .value_kind:     global_buffer
      - .address_space:  global
        .offset:         64
        .size:           8
        .value_kind:     global_buffer
    .group_segment_fixed_size: 0
    .kernarg_segment_align: 8
    .kernarg_segment_size: 72
    .language:       OpenCL C
    .language_version:
      - 2
      - 0
    .max_flat_workgroup_size: 256
    .name:           _ZN9rocsparseL18gtsv_LBM_wv_kernelILj256ELj32EfEEviiiPKT1_S3_S3_PS1_S4_S4_Pi
    .private_segment_fixed_size: 0
    .sgpr_count:     35
    .sgpr_spill_count: 0
    .symbol:         _ZN9rocsparseL18gtsv_LBM_wv_kernelILj256ELj32EfEEviiiPKT1_S3_S3_PS1_S4_S4_Pi.kd
    .uniform_work_group_size: 1
    .uses_dynamic_stack: false
    .vgpr_count:     30
    .vgpr_spill_count: 0
    .wavefront_size: 64
  - .args:
      - .offset:         0
        .size:           4
        .value_kind:     by_value
      - .offset:         4
        .size:           4
        .value_kind:     by_value
      - .offset:         8
        .size:           4
        .value_kind:     by_value
      - .actual_access:  read_only
        .address_space:  global
        .offset:         16
        .size:           8
        .value_kind:     global_buffer
      - .actual_access:  read_only
        .address_space:  global
        .offset:         24
        .size:           8
        .value_kind:     global_buffer
      - .actual_access:  read_only
        .address_space:  global
        .offset:         32
        .size:           8
        .value_kind:     global_buffer
      - .address_space:  global
        .offset:         40
        .size:           8
        .value_kind:     global_buffer
      - .actual_access:  read_only
        .address_space:  global
        .offset:         48
        .size:           8
        .value_kind:     global_buffer
      - .actual_access:  read_only
        .address_space:  global
        .offset:         56
        .size:           8
        .value_kind:     global_buffer
    .group_segment_fixed_size: 0
    .kernarg_segment_align: 8
    .kernarg_segment_size: 64
    .language:       OpenCL C
    .language_version:
      - 2
      - 0
    .max_flat_workgroup_size: 256
    .name:           _ZN9rocsparseL19gtsv_LBM_rhs_kernelILj256ELj32ELj8EfEEviiiPKT2_S3_S3_PS1_S3_PKi
    .private_segment_fixed_size: 0
    .sgpr_count:     41
    .sgpr_spill_count: 0
    .symbol:         _ZN9rocsparseL19gtsv_LBM_rhs_kernelILj256ELj32ELj8EfEEviiiPKT2_S3_S3_PS1_S3_PKi.kd
    .uniform_work_group_size: 1
    .uses_dynamic_stack: false
    .vgpr_count:     62
    .vgpr_spill_count: 0
    .wavefront_size: 64
  - .args:
      - .offset:         0
        .size:           4
        .value_kind:     by_value
      - .offset:         4
        .size:           4
        .value_kind:     by_value
      - .offset:         8
        .size:           4
        .value_kind:     by_value
      - .actual_access:  read_only
        .address_space:  global
        .offset:         16
        .size:           8
        .value_kind:     global_buffer
      - .actual_access:  read_only
        .address_space:  global
        .offset:         24
        .size:           8
        .value_kind:     global_buffer
      - .actual_access:  read_only
        .address_space:  global
        .offset:         32
        .size:           8
        .value_kind:     global_buffer
      - .address_space:  global
        .offset:         40
        .size:           8
        .value_kind:     global_buffer
      - .actual_access:  read_only
        .address_space:  global
        .offset:         48
        .size:           8
        .value_kind:     global_buffer
      - .actual_access:  read_only
        .address_space:  global
        .offset:         56
        .size:           8
        .value_kind:     global_buffer
    .group_segment_fixed_size: 0
    .kernarg_segment_align: 8
    .kernarg_segment_size: 64
    .language:       OpenCL C
    .language_version:
      - 2
      - 0
    .max_flat_workgroup_size: 256
    .name:           _ZN9rocsparseL19gtsv_LBM_rhs_kernelILj256ELj32ELj4EfEEviiiPKT2_S3_S3_PS1_S3_PKi
    .private_segment_fixed_size: 0
    .sgpr_count:     36
    .sgpr_spill_count: 0
    .symbol:         _ZN9rocsparseL19gtsv_LBM_rhs_kernelILj256ELj32ELj4EfEEviiiPKT2_S3_S3_PS1_S3_PKi.kd
    .uniform_work_group_size: 1
    .uses_dynamic_stack: false
    .vgpr_count:     38
    .vgpr_spill_count: 0
    .wavefront_size: 64
  - .args:
      - .offset:         0
        .size:           4
        .value_kind:     by_value
      - .offset:         4
        .size:           4
        .value_kind:     by_value
      - .offset:         8
        .size:           4
        .value_kind:     by_value
      - .actual_access:  read_only
        .address_space:  global
        .offset:         16
        .size:           8
        .value_kind:     global_buffer
      - .actual_access:  read_only
        .address_space:  global
        .offset:         24
        .size:           8
        .value_kind:     global_buffer
      - .actual_access:  read_only
        .address_space:  global
        .offset:         32
        .size:           8
        .value_kind:     global_buffer
      - .address_space:  global
        .offset:         40
        .size:           8
        .value_kind:     global_buffer
      - .actual_access:  read_only
        .address_space:  global
        .offset:         48
        .size:           8
        .value_kind:     global_buffer
      - .actual_access:  read_only
        .address_space:  global
        .offset:         56
        .size:           8
        .value_kind:     global_buffer
    .group_segment_fixed_size: 0
    .kernarg_segment_align: 8
    .kernarg_segment_size: 64
    .language:       OpenCL C
    .language_version:
      - 2
      - 0
    .max_flat_workgroup_size: 256
    .name:           _ZN9rocsparseL19gtsv_LBM_rhs_kernelILj256ELj32ELj2EfEEviiiPKT2_S3_S3_PS1_S3_PKi
    .private_segment_fixed_size: 0
    .sgpr_count:     34
    .sgpr_spill_count: 0
    .symbol:         _ZN9rocsparseL19gtsv_LBM_rhs_kernelILj256ELj32ELj2EfEEviiiPKT2_S3_S3_PS1_S3_PKi.kd
    .uniform_work_group_size: 1
    .uses_dynamic_stack: false
    .vgpr_count:     28
    .vgpr_spill_count: 0
    .wavefront_size: 64
  - .args:
      - .offset:         0
        .size:           4
        .value_kind:     by_value
      - .offset:         4
        .size:           4
        .value_kind:     by_value
      - .offset:         8
        .size:           4
        .value_kind:     by_value
      - .actual_access:  read_only
        .address_space:  global
        .offset:         16
        .size:           8
        .value_kind:     global_buffer
      - .actual_access:  read_only
        .address_space:  global
        .offset:         24
        .size:           8
        .value_kind:     global_buffer
      - .actual_access:  read_only
        .address_space:  global
        .offset:         32
        .size:           8
        .value_kind:     global_buffer
      - .address_space:  global
        .offset:         40
        .size:           8
        .value_kind:     global_buffer
      - .actual_access:  read_only
        .address_space:  global
        .offset:         48
        .size:           8
        .value_kind:     global_buffer
      - .actual_access:  read_only
        .address_space:  global
        .offset:         56
        .size:           8
        .value_kind:     global_buffer
    .group_segment_fixed_size: 0
    .kernarg_segment_align: 8
    .kernarg_segment_size: 64
    .language:       OpenCL C
    .language_version:
      - 2
      - 0
    .max_flat_workgroup_size: 256
    .name:           _ZN9rocsparseL19gtsv_LBM_rhs_kernelILj256ELj32ELj1EfEEviiiPKT2_S3_S3_PS1_S3_PKi
    .private_segment_fixed_size: 0
    .sgpr_count:     32
    .sgpr_spill_count: 0
    .symbol:         _ZN9rocsparseL19gtsv_LBM_rhs_kernelILj256ELj32ELj1EfEEviiiPKT2_S3_S3_PS1_S3_PKi.kd
    .uniform_work_group_size: 1
    .uses_dynamic_stack: false
    .vgpr_count:     22
    .vgpr_spill_count: 0
    .wavefront_size: 64
  - .args:
      - .offset:         0
        .size:           4
        .value_kind:     by_value
      - .offset:         4
        .size:           4
        .value_kind:     by_value
      - .offset:         8
        .size:           4
        .value_kind:     by_value
      - .address_space:  global
        .offset:         16
        .size:           8
        .value_kind:     global_buffer
      - .actual_access:  read_only
        .address_space:  global
        .offset:         24
        .size:           8
        .value_kind:     global_buffer
      - .actual_access:  read_only
        .address_space:  global
        .offset:         32
        .size:           8
        .value_kind:     global_buffer
      - .actual_access:  write_only
        .address_space:  global
        .offset:         40
        .size:           8
        .value_kind:     global_buffer
      - .actual_access:  write_only
        .address_space:  global
        .offset:         48
        .size:           8
        .value_kind:     global_buffer
      - .actual_access:  write_only
        .address_space:  global
        .offset:         56
        .size:           8
        .value_kind:     global_buffer
      - .actual_access:  write_only
        .address_space:  global
        .offset:         64
        .size:           8
        .value_kind:     global_buffer
      - .actual_access:  write_only
        .address_space:  global
        .offset:         72
        .size:           8
        .value_kind:     global_buffer
      - .offset:         80
        .size:           4
        .value_kind:     hidden_block_count_x
      - .offset:         84
        .size:           4
        .value_kind:     hidden_block_count_y
      - .offset:         88
        .size:           4
        .value_kind:     hidden_block_count_z
      - .offset:         92
        .size:           2
        .value_kind:     hidden_group_size_x
      - .offset:         94
        .size:           2
        .value_kind:     hidden_group_size_y
      - .offset:         96
        .size:           2
        .value_kind:     hidden_group_size_z
      - .offset:         98
        .size:           2
        .value_kind:     hidden_remainder_x
      - .offset:         100
        .size:           2
        .value_kind:     hidden_remainder_y
      - .offset:         102
        .size:           2
        .value_kind:     hidden_remainder_z
      - .offset:         120
        .size:           8
        .value_kind:     hidden_global_offset_x
      - .offset:         128
        .size:           8
        .value_kind:     hidden_global_offset_y
      - .offset:         136
        .size:           8
        .value_kind:     hidden_global_offset_z
      - .offset:         144
        .size:           2
        .value_kind:     hidden_grid_dims
    .group_segment_fixed_size: 6144
    .kernarg_segment_align: 8
    .kernarg_segment_size: 336
    .language:       OpenCL C
    .language_version:
      - 2
      - 0
    .max_flat_workgroup_size: 256
    .name:           _ZN9rocsparseL29gtsv_spike_block_level_kernelILj256ELj32EfEEviiiPT1_PKS1_S4_S2_S2_S2_S2_S2_
    .private_segment_fixed_size: 0
    .sgpr_count:     28
    .sgpr_spill_count: 0
    .symbol:         _ZN9rocsparseL29gtsv_spike_block_level_kernelILj256ELj32EfEEviiiPT1_PKS1_S4_S2_S2_S2_S2_S2_.kd
    .uniform_work_group_size: 1
    .uses_dynamic_stack: false
    .vgpr_count:     24
    .vgpr_spill_count: 0
    .wavefront_size: 64
  - .args:
      - .offset:         0
        .size:           4
        .value_kind:     by_value
      - .offset:         4
        .size:           4
        .value_kind:     by_value
      - .offset:         8
        .size:           4
        .value_kind:     by_value
      - .address_space:  global
        .offset:         16
        .size:           8
        .value_kind:     global_buffer
      - .actual_access:  read_only
        .address_space:  global
        .offset:         24
        .size:           8
        .value_kind:     global_buffer
      - .actual_access:  read_only
        .address_space:  global
        .offset:         32
        .size:           8
        .value_kind:     global_buffer
      - .actual_access:  read_only
        .address_space:  global
        .offset:         40
        .size:           8
        .value_kind:     global_buffer
      - .offset:         48
        .size:           4
        .value_kind:     hidden_block_count_x
      - .offset:         52
        .size:           4
        .value_kind:     hidden_block_count_y
      - .offset:         56
        .size:           4
        .value_kind:     hidden_block_count_z
      - .offset:         60
        .size:           2
        .value_kind:     hidden_group_size_x
      - .offset:         62
        .size:           2
        .value_kind:     hidden_group_size_y
      - .offset:         64
        .size:           2
        .value_kind:     hidden_group_size_z
      - .offset:         66
        .size:           2
        .value_kind:     hidden_remainder_x
      - .offset:         68
        .size:           2
        .value_kind:     hidden_remainder_y
      - .offset:         70
        .size:           2
        .value_kind:     hidden_remainder_z
      - .offset:         88
        .size:           8
        .value_kind:     hidden_global_offset_x
      - .offset:         96
        .size:           8
        .value_kind:     hidden_global_offset_y
      - .offset:         104
        .size:           8
        .value_kind:     hidden_global_offset_z
      - .offset:         112
        .size:           2
        .value_kind:     hidden_grid_dims
    .group_segment_fixed_size: 6160
    .kernarg_segment_align: 8
    .kernarg_segment_size: 304
    .language:       OpenCL C
    .language_version:
      - 2
      - 0
    .max_flat_workgroup_size: 256
    .name:           _ZN9rocsparseL33gtsv_solve_spike_propagate_kernelILj256ELj32EfEEviiiPT1_PKS1_S4_S4_
    .private_segment_fixed_size: 0
    .sgpr_count:     20
    .sgpr_spill_count: 0
    .symbol:         _ZN9rocsparseL33gtsv_solve_spike_propagate_kernelILj256ELj32EfEEviiiPT1_PKS1_S4_S4_.kd
    .uniform_work_group_size: 1
    .uses_dynamic_stack: false
    .vgpr_count:     12
    .vgpr_spill_count: 0
    .wavefront_size: 64
  - .args:
      - .offset:         0
        .size:           4
        .value_kind:     by_value
      - .offset:         4
        .size:           4
        .value_kind:     by_value
      - .offset:         8
        .size:           4
        .value_kind:     by_value
      - .address_space:  global
        .offset:         16
        .size:           8
        .value_kind:     global_buffer
      - .actual_access:  read_only
        .address_space:  global
        .offset:         24
        .size:           8
        .value_kind:     global_buffer
      - .actual_access:  read_only
        .address_space:  global
        .offset:         32
        .size:           8
        .value_kind:     global_buffer
    .group_segment_fixed_size: 0
    .kernarg_segment_align: 8
    .kernarg_segment_size: 40
    .language:       OpenCL C
    .language_version:
      - 2
      - 0
    .max_flat_workgroup_size: 256
    .name:           _ZN9rocsparseL39gtsv_spike_backward_substitution_kernelILj256ELj32EfEEviiiPT1_PKS1_S4_
    .private_segment_fixed_size: 0
    .sgpr_count:     17
    .sgpr_spill_count: 0
    .symbol:         _ZN9rocsparseL39gtsv_spike_backward_substitution_kernelILj256ELj32EfEEviiiPT1_PKS1_S4_.kd
    .uniform_work_group_size: 1
    .uses_dynamic_stack: false
    .vgpr_count:     24
    .vgpr_spill_count: 0
    .wavefront_size: 64
  - .args:
      - .offset:         0
        .size:           4
        .value_kind:     by_value
      - .offset:         4
        .size:           4
        .value_kind:     by_value
      - .offset:         8
        .size:           4
        .value_kind:     by_value
      - .actual_access:  read_only
        .address_space:  global
        .offset:         16
        .size:           8
        .value_kind:     global_buffer
      - .actual_access:  write_only
        .address_space:  global
        .offset:         24
        .size:           8
        .value_kind:     global_buffer
    .group_segment_fixed_size: 0
    .kernarg_segment_align: 8
    .kernarg_segment_size: 32
    .language:       OpenCL C
    .language_version:
      - 2
      - 0
    .max_flat_workgroup_size: 256
    .name:           _ZN9rocsparseL32gtsv_transpose_back_array_kernelILj256ELj32EfEEviiiPKT1_PS1_
    .private_segment_fixed_size: 0
    .sgpr_count:     16
    .sgpr_spill_count: 0
    .symbol:         _ZN9rocsparseL32gtsv_transpose_back_array_kernelILj256ELj32EfEEviiiPKT1_PS1_.kd
    .uniform_work_group_size: 1
    .uses_dynamic_stack: false
    .vgpr_count:     5
    .vgpr_spill_count: 0
    .wavefront_size: 64
  - .args:
      - .offset:         0
        .size:           4
        .value_kind:     by_value
      - .offset:         4
        .size:           4
        .value_kind:     by_value
      - .offset:         8
        .size:           4
        .value_kind:     by_value
      - .actual_access:  read_only
        .address_space:  global
        .offset:         16
        .size:           8
        .value_kind:     global_buffer
      - .actual_access:  write_only
        .address_space:  global
        .offset:         24
        .size:           8
        .value_kind:     global_buffer
      - .offset:         32
        .size:           4
        .value_kind:     by_value
    .group_segment_fixed_size: 1024
    .kernarg_segment_align: 8
    .kernarg_segment_size: 36
    .language:       OpenCL C
    .language_version:
      - 2
      - 0
    .max_flat_workgroup_size: 256
    .name:           _ZN9rocsparseL42gtsv_transpose_and_pad_array_shared_kernelILj256ELj64EfEEviiiPKT1_PS1_S1_
    .private_segment_fixed_size: 0
    .sgpr_count:     16
    .sgpr_spill_count: 0
    .symbol:         _ZN9rocsparseL42gtsv_transpose_and_pad_array_shared_kernelILj256ELj64EfEEviiiPKT1_PS1_S1_.kd
    .uniform_work_group_size: 1
    .uses_dynamic_stack: false
    .vgpr_count:     4
    .vgpr_spill_count: 0
    .wavefront_size: 64
  - .args:
      - .offset:         0
        .size:           4
        .value_kind:     by_value
      - .offset:         4
        .size:           4
        .value_kind:     by_value
      - .offset:         8
        .size:           4
        .value_kind:     by_value
      - .actual_access:  read_only
        .address_space:  global
        .offset:         16
        .size:           8
        .value_kind:     global_buffer
      - .actual_access:  read_only
        .address_space:  global
        .offset:         24
        .size:           8
        .value_kind:     global_buffer
      - .actual_access:  read_only
        .address_space:  global
        .offset:         32
        .size:           8
        .value_kind:     global_buffer
      - .address_space:  global
        .offset:         40
        .size:           8
        .value_kind:     global_buffer
      - .address_space:  global
        .offset:         48
        .size:           8
        .value_kind:     global_buffer
      - .address_space:  global
        .offset:         56
        .size:           8
        .value_kind:     global_buffer
      - .address_space:  global
        .offset:         64
        .size:           8
        .value_kind:     global_buffer
    .group_segment_fixed_size: 0
    .kernarg_segment_align: 8
    .kernarg_segment_size: 72
    .language:       OpenCL C
    .language_version:
      - 2
      - 0
    .max_flat_workgroup_size: 256
    .name:           _ZN9rocsparseL18gtsv_LBM_wv_kernelILj256ELj64EfEEviiiPKT1_S3_S3_PS1_S4_S4_Pi
    .private_segment_fixed_size: 0
    .sgpr_count:     35
    .sgpr_spill_count: 0
    .symbol:         _ZN9rocsparseL18gtsv_LBM_wv_kernelILj256ELj64EfEEviiiPKT1_S3_S3_PS1_S4_S4_Pi.kd
    .uniform_work_group_size: 1
    .uses_dynamic_stack: false
    .vgpr_count:     30
    .vgpr_spill_count: 0
    .wavefront_size: 64
  - .args:
      - .offset:         0
        .size:           4
        .value_kind:     by_value
      - .offset:         4
        .size:           4
        .value_kind:     by_value
      - .offset:         8
        .size:           4
        .value_kind:     by_value
      - .actual_access:  read_only
        .address_space:  global
        .offset:         16
        .size:           8
        .value_kind:     global_buffer
      - .actual_access:  read_only
        .address_space:  global
        .offset:         24
        .size:           8
        .value_kind:     global_buffer
      - .actual_access:  read_only
        .address_space:  global
        .offset:         32
        .size:           8
        .value_kind:     global_buffer
      - .address_space:  global
        .offset:         40
        .size:           8
        .value_kind:     global_buffer
      - .actual_access:  read_only
        .address_space:  global
        .offset:         48
        .size:           8
        .value_kind:     global_buffer
      - .actual_access:  read_only
        .address_space:  global
        .offset:         56
        .size:           8
        .value_kind:     global_buffer
    .group_segment_fixed_size: 0
    .kernarg_segment_align: 8
    .kernarg_segment_size: 64
    .language:       OpenCL C
    .language_version:
      - 2
      - 0
    .max_flat_workgroup_size: 256
    .name:           _ZN9rocsparseL19gtsv_LBM_rhs_kernelILj256ELj64ELj8EfEEviiiPKT2_S3_S3_PS1_S3_PKi
    .private_segment_fixed_size: 0
    .sgpr_count:     41
    .sgpr_spill_count: 0
    .symbol:         _ZN9rocsparseL19gtsv_LBM_rhs_kernelILj256ELj64ELj8EfEEviiiPKT2_S3_S3_PS1_S3_PKi.kd
    .uniform_work_group_size: 1
    .uses_dynamic_stack: false
    .vgpr_count:     62
    .vgpr_spill_count: 0
    .wavefront_size: 64
  - .args:
      - .offset:         0
        .size:           4
        .value_kind:     by_value
      - .offset:         4
        .size:           4
        .value_kind:     by_value
      - .offset:         8
        .size:           4
        .value_kind:     by_value
      - .actual_access:  read_only
        .address_space:  global
        .offset:         16
        .size:           8
        .value_kind:     global_buffer
      - .actual_access:  read_only
        .address_space:  global
        .offset:         24
        .size:           8
        .value_kind:     global_buffer
      - .actual_access:  read_only
        .address_space:  global
        .offset:         32
        .size:           8
        .value_kind:     global_buffer
      - .address_space:  global
        .offset:         40
        .size:           8
        .value_kind:     global_buffer
      - .actual_access:  read_only
        .address_space:  global
        .offset:         48
        .size:           8
        .value_kind:     global_buffer
      - .actual_access:  read_only
        .address_space:  global
        .offset:         56
        .size:           8
        .value_kind:     global_buffer
    .group_segment_fixed_size: 0
    .kernarg_segment_align: 8
    .kernarg_segment_size: 64
    .language:       OpenCL C
    .language_version:
      - 2
      - 0
    .max_flat_workgroup_size: 256
    .name:           _ZN9rocsparseL19gtsv_LBM_rhs_kernelILj256ELj64ELj4EfEEviiiPKT2_S3_S3_PS1_S3_PKi
    .private_segment_fixed_size: 0
    .sgpr_count:     36
    .sgpr_spill_count: 0
    .symbol:         _ZN9rocsparseL19gtsv_LBM_rhs_kernelILj256ELj64ELj4EfEEviiiPKT2_S3_S3_PS1_S3_PKi.kd
    .uniform_work_group_size: 1
    .uses_dynamic_stack: false
    .vgpr_count:     38
    .vgpr_spill_count: 0
    .wavefront_size: 64
  - .args:
      - .offset:         0
        .size:           4
        .value_kind:     by_value
      - .offset:         4
        .size:           4
        .value_kind:     by_value
      - .offset:         8
        .size:           4
        .value_kind:     by_value
      - .actual_access:  read_only
        .address_space:  global
        .offset:         16
        .size:           8
        .value_kind:     global_buffer
      - .actual_access:  read_only
        .address_space:  global
        .offset:         24
        .size:           8
        .value_kind:     global_buffer
      - .actual_access:  read_only
        .address_space:  global
        .offset:         32
        .size:           8
        .value_kind:     global_buffer
      - .address_space:  global
        .offset:         40
        .size:           8
        .value_kind:     global_buffer
      - .actual_access:  read_only
        .address_space:  global
        .offset:         48
        .size:           8
        .value_kind:     global_buffer
      - .actual_access:  read_only
        .address_space:  global
        .offset:         56
        .size:           8
        .value_kind:     global_buffer
    .group_segment_fixed_size: 0
    .kernarg_segment_align: 8
    .kernarg_segment_size: 64
    .language:       OpenCL C
    .language_version:
      - 2
      - 0
    .max_flat_workgroup_size: 256
    .name:           _ZN9rocsparseL19gtsv_LBM_rhs_kernelILj256ELj64ELj2EfEEviiiPKT2_S3_S3_PS1_S3_PKi
    .private_segment_fixed_size: 0
    .sgpr_count:     34
    .sgpr_spill_count: 0
    .symbol:         _ZN9rocsparseL19gtsv_LBM_rhs_kernelILj256ELj64ELj2EfEEviiiPKT2_S3_S3_PS1_S3_PKi.kd
    .uniform_work_group_size: 1
    .uses_dynamic_stack: false
    .vgpr_count:     28
    .vgpr_spill_count: 0
    .wavefront_size: 64
  - .args:
      - .offset:         0
        .size:           4
        .value_kind:     by_value
      - .offset:         4
        .size:           4
        .value_kind:     by_value
      - .offset:         8
        .size:           4
        .value_kind:     by_value
      - .actual_access:  read_only
        .address_space:  global
        .offset:         16
        .size:           8
        .value_kind:     global_buffer
      - .actual_access:  read_only
        .address_space:  global
        .offset:         24
        .size:           8
        .value_kind:     global_buffer
      - .actual_access:  read_only
        .address_space:  global
        .offset:         32
        .size:           8
        .value_kind:     global_buffer
      - .address_space:  global
        .offset:         40
        .size:           8
        .value_kind:     global_buffer
      - .actual_access:  read_only
        .address_space:  global
        .offset:         48
        .size:           8
        .value_kind:     global_buffer
      - .actual_access:  read_only
        .address_space:  global
        .offset:         56
        .size:           8
        .value_kind:     global_buffer
    .group_segment_fixed_size: 0
    .kernarg_segment_align: 8
    .kernarg_segment_size: 64
    .language:       OpenCL C
    .language_version:
      - 2
      - 0
    .max_flat_workgroup_size: 256
    .name:           _ZN9rocsparseL19gtsv_LBM_rhs_kernelILj256ELj64ELj1EfEEviiiPKT2_S3_S3_PS1_S3_PKi
    .private_segment_fixed_size: 0
    .sgpr_count:     32
    .sgpr_spill_count: 0
    .symbol:         _ZN9rocsparseL19gtsv_LBM_rhs_kernelILj256ELj64ELj1EfEEviiiPKT2_S3_S3_PS1_S3_PKi.kd
    .uniform_work_group_size: 1
    .uses_dynamic_stack: false
    .vgpr_count:     22
    .vgpr_spill_count: 0
    .wavefront_size: 64
  - .args:
      - .offset:         0
        .size:           4
        .value_kind:     by_value
      - .offset:         4
        .size:           4
        .value_kind:     by_value
      - .offset:         8
        .size:           4
        .value_kind:     by_value
      - .address_space:  global
        .offset:         16
        .size:           8
        .value_kind:     global_buffer
      - .actual_access:  read_only
        .address_space:  global
        .offset:         24
        .size:           8
        .value_kind:     global_buffer
      - .actual_access:  read_only
        .address_space:  global
        .offset:         32
        .size:           8
        .value_kind:     global_buffer
      - .actual_access:  write_only
        .address_space:  global
        .offset:         40
        .size:           8
        .value_kind:     global_buffer
      - .actual_access:  write_only
        .address_space:  global
        .offset:         48
        .size:           8
        .value_kind:     global_buffer
      - .actual_access:  write_only
        .address_space:  global
        .offset:         56
        .size:           8
        .value_kind:     global_buffer
      - .actual_access:  write_only
        .address_space:  global
        .offset:         64
        .size:           8
        .value_kind:     global_buffer
      - .actual_access:  write_only
        .address_space:  global
        .offset:         72
        .size:           8
        .value_kind:     global_buffer
      - .offset:         80
        .size:           4
        .value_kind:     hidden_block_count_x
      - .offset:         84
        .size:           4
        .value_kind:     hidden_block_count_y
      - .offset:         88
        .size:           4
        .value_kind:     hidden_block_count_z
      - .offset:         92
        .size:           2
        .value_kind:     hidden_group_size_x
      - .offset:         94
        .size:           2
        .value_kind:     hidden_group_size_y
      - .offset:         96
        .size:           2
        .value_kind:     hidden_group_size_z
      - .offset:         98
        .size:           2
        .value_kind:     hidden_remainder_x
      - .offset:         100
        .size:           2
        .value_kind:     hidden_remainder_y
      - .offset:         102
        .size:           2
        .value_kind:     hidden_remainder_z
      - .offset:         120
        .size:           8
        .value_kind:     hidden_global_offset_x
      - .offset:         128
        .size:           8
        .value_kind:     hidden_global_offset_y
      - .offset:         136
        .size:           8
        .value_kind:     hidden_global_offset_z
      - .offset:         144
        .size:           2
        .value_kind:     hidden_grid_dims
    .group_segment_fixed_size: 6144
    .kernarg_segment_align: 8
    .kernarg_segment_size: 336
    .language:       OpenCL C
    .language_version:
      - 2
      - 0
    .max_flat_workgroup_size: 256
    .name:           _ZN9rocsparseL29gtsv_spike_block_level_kernelILj256ELj64EfEEviiiPT1_PKS1_S4_S2_S2_S2_S2_S2_
    .private_segment_fixed_size: 0
    .sgpr_count:     28
    .sgpr_spill_count: 0
    .symbol:         _ZN9rocsparseL29gtsv_spike_block_level_kernelILj256ELj64EfEEviiiPT1_PKS1_S4_S2_S2_S2_S2_S2_.kd
    .uniform_work_group_size: 1
    .uses_dynamic_stack: false
    .vgpr_count:     24
    .vgpr_spill_count: 0
    .wavefront_size: 64
  - .args:
      - .offset:         0
        .size:           4
        .value_kind:     by_value
      - .offset:         4
        .size:           4
        .value_kind:     by_value
      - .offset:         8
        .size:           4
        .value_kind:     by_value
      - .address_space:  global
        .offset:         16
        .size:           8
        .value_kind:     global_buffer
      - .actual_access:  read_only
        .address_space:  global
        .offset:         24
        .size:           8
        .value_kind:     global_buffer
      - .actual_access:  read_only
        .address_space:  global
        .offset:         32
        .size:           8
        .value_kind:     global_buffer
      - .actual_access:  read_only
        .address_space:  global
        .offset:         40
        .size:           8
        .value_kind:     global_buffer
      - .offset:         48
        .size:           4
        .value_kind:     hidden_block_count_x
      - .offset:         52
        .size:           4
        .value_kind:     hidden_block_count_y
      - .offset:         56
        .size:           4
        .value_kind:     hidden_block_count_z
      - .offset:         60
        .size:           2
        .value_kind:     hidden_group_size_x
      - .offset:         62
        .size:           2
        .value_kind:     hidden_group_size_y
      - .offset:         64
        .size:           2
        .value_kind:     hidden_group_size_z
      - .offset:         66
        .size:           2
        .value_kind:     hidden_remainder_x
      - .offset:         68
        .size:           2
        .value_kind:     hidden_remainder_y
      - .offset:         70
        .size:           2
        .value_kind:     hidden_remainder_z
      - .offset:         88
        .size:           8
        .value_kind:     hidden_global_offset_x
      - .offset:         96
        .size:           8
        .value_kind:     hidden_global_offset_y
      - .offset:         104
        .size:           8
        .value_kind:     hidden_global_offset_z
      - .offset:         112
        .size:           2
        .value_kind:     hidden_grid_dims
    .group_segment_fixed_size: 6160
    .kernarg_segment_align: 8
    .kernarg_segment_size: 304
    .language:       OpenCL C
    .language_version:
      - 2
      - 0
    .max_flat_workgroup_size: 256
    .name:           _ZN9rocsparseL33gtsv_solve_spike_propagate_kernelILj256ELj64EfEEviiiPT1_PKS1_S4_S4_
    .private_segment_fixed_size: 0
    .sgpr_count:     20
    .sgpr_spill_count: 0
    .symbol:         _ZN9rocsparseL33gtsv_solve_spike_propagate_kernelILj256ELj64EfEEviiiPT1_PKS1_S4_S4_.kd
    .uniform_work_group_size: 1
    .uses_dynamic_stack: false
    .vgpr_count:     12
    .vgpr_spill_count: 0
    .wavefront_size: 64
  - .args:
      - .offset:         0
        .size:           4
        .value_kind:     by_value
      - .offset:         4
        .size:           4
        .value_kind:     by_value
      - .offset:         8
        .size:           4
        .value_kind:     by_value
      - .address_space:  global
        .offset:         16
        .size:           8
        .value_kind:     global_buffer
      - .actual_access:  read_only
        .address_space:  global
        .offset:         24
        .size:           8
        .value_kind:     global_buffer
      - .actual_access:  read_only
        .address_space:  global
        .offset:         32
        .size:           8
        .value_kind:     global_buffer
    .group_segment_fixed_size: 0
    .kernarg_segment_align: 8
    .kernarg_segment_size: 40
    .language:       OpenCL C
    .language_version:
      - 2
      - 0
    .max_flat_workgroup_size: 256
    .name:           _ZN9rocsparseL39gtsv_spike_backward_substitution_kernelILj256ELj64EfEEviiiPT1_PKS1_S4_
    .private_segment_fixed_size: 0
    .sgpr_count:     17
    .sgpr_spill_count: 0
    .symbol:         _ZN9rocsparseL39gtsv_spike_backward_substitution_kernelILj256ELj64EfEEviiiPT1_PKS1_S4_.kd
    .uniform_work_group_size: 1
    .uses_dynamic_stack: false
    .vgpr_count:     24
    .vgpr_spill_count: 0
    .wavefront_size: 64
  - .args:
      - .offset:         0
        .size:           4
        .value_kind:     by_value
      - .offset:         4
        .size:           4
        .value_kind:     by_value
      - .offset:         8
        .size:           4
        .value_kind:     by_value
      - .actual_access:  read_only
        .address_space:  global
        .offset:         16
        .size:           8
        .value_kind:     global_buffer
      - .actual_access:  write_only
        .address_space:  global
        .offset:         24
        .size:           8
        .value_kind:     global_buffer
    .group_segment_fixed_size: 0
    .kernarg_segment_align: 8
    .kernarg_segment_size: 32
    .language:       OpenCL C
    .language_version:
      - 2
      - 0
    .max_flat_workgroup_size: 256
    .name:           _ZN9rocsparseL32gtsv_transpose_back_array_kernelILj256ELj64EfEEviiiPKT1_PS1_
    .private_segment_fixed_size: 0
    .sgpr_count:     16
    .sgpr_spill_count: 0
    .symbol:         _ZN9rocsparseL32gtsv_transpose_back_array_kernelILj256ELj64EfEEviiiPKT1_PS1_.kd
    .uniform_work_group_size: 1
    .uses_dynamic_stack: false
    .vgpr_count:     5
    .vgpr_spill_count: 0
    .wavefront_size: 64
  - .args:
      - .offset:         0
        .size:           4
        .value_kind:     by_value
      - .offset:         4
        .size:           4
        .value_kind:     by_value
      - .offset:         8
        .size:           4
        .value_kind:     by_value
      - .actual_access:  read_only
        .address_space:  global
        .offset:         16
        .size:           8
        .value_kind:     global_buffer
      - .actual_access:  write_only
        .address_space:  global
        .offset:         24
        .size:           8
        .value_kind:     global_buffer
      - .offset:         32
        .size:           4
        .value_kind:     by_value
    .group_segment_fixed_size: 1024
    .kernarg_segment_align: 8
    .kernarg_segment_size: 36
    .language:       OpenCL C
    .language_version:
      - 2
      - 0
    .max_flat_workgroup_size: 256
    .name:           _ZN9rocsparseL42gtsv_transpose_and_pad_array_shared_kernelILj256ELj128EfEEviiiPKT1_PS1_S1_
    .private_segment_fixed_size: 0
    .sgpr_count:     16
    .sgpr_spill_count: 0
    .symbol:         _ZN9rocsparseL42gtsv_transpose_and_pad_array_shared_kernelILj256ELj128EfEEviiiPKT1_PS1_S1_.kd
    .uniform_work_group_size: 1
    .uses_dynamic_stack: false
    .vgpr_count:     4
    .vgpr_spill_count: 0
    .wavefront_size: 64
  - .args:
      - .offset:         0
        .size:           4
        .value_kind:     by_value
      - .offset:         4
        .size:           4
        .value_kind:     by_value
      - .offset:         8
        .size:           4
        .value_kind:     by_value
      - .actual_access:  read_only
        .address_space:  global
        .offset:         16
        .size:           8
        .value_kind:     global_buffer
      - .actual_access:  read_only
        .address_space:  global
        .offset:         24
        .size:           8
        .value_kind:     global_buffer
      - .actual_access:  read_only
        .address_space:  global
        .offset:         32
        .size:           8
        .value_kind:     global_buffer
      - .address_space:  global
        .offset:         40
        .size:           8
        .value_kind:     global_buffer
      - .address_space:  global
        .offset:         48
        .size:           8
        .value_kind:     global_buffer
      - .address_space:  global
        .offset:         56
        .size:           8
        .value_kind:     global_buffer
      - .address_space:  global
        .offset:         64
        .size:           8
        .value_kind:     global_buffer
    .group_segment_fixed_size: 0
    .kernarg_segment_align: 8
    .kernarg_segment_size: 72
    .language:       OpenCL C
    .language_version:
      - 2
      - 0
    .max_flat_workgroup_size: 256
    .name:           _ZN9rocsparseL18gtsv_LBM_wv_kernelILj256ELj128EfEEviiiPKT1_S3_S3_PS1_S4_S4_Pi
    .private_segment_fixed_size: 0
    .sgpr_count:     35
    .sgpr_spill_count: 0
    .symbol:         _ZN9rocsparseL18gtsv_LBM_wv_kernelILj256ELj128EfEEviiiPKT1_S3_S3_PS1_S4_S4_Pi.kd
    .uniform_work_group_size: 1
    .uses_dynamic_stack: false
    .vgpr_count:     30
    .vgpr_spill_count: 0
    .wavefront_size: 64
  - .args:
      - .offset:         0
        .size:           4
        .value_kind:     by_value
      - .offset:         4
        .size:           4
        .value_kind:     by_value
      - .offset:         8
        .size:           4
        .value_kind:     by_value
      - .actual_access:  read_only
        .address_space:  global
        .offset:         16
        .size:           8
        .value_kind:     global_buffer
      - .actual_access:  read_only
        .address_space:  global
        .offset:         24
        .size:           8
        .value_kind:     global_buffer
      - .actual_access:  read_only
        .address_space:  global
        .offset:         32
        .size:           8
        .value_kind:     global_buffer
      - .address_space:  global
        .offset:         40
        .size:           8
        .value_kind:     global_buffer
      - .actual_access:  read_only
        .address_space:  global
        .offset:         48
        .size:           8
        .value_kind:     global_buffer
      - .actual_access:  read_only
        .address_space:  global
        .offset:         56
        .size:           8
        .value_kind:     global_buffer
    .group_segment_fixed_size: 0
    .kernarg_segment_align: 8
    .kernarg_segment_size: 64
    .language:       OpenCL C
    .language_version:
      - 2
      - 0
    .max_flat_workgroup_size: 256
    .name:           _ZN9rocsparseL19gtsv_LBM_rhs_kernelILj256ELj128ELj8EfEEviiiPKT2_S3_S3_PS1_S3_PKi
    .private_segment_fixed_size: 0
    .sgpr_count:     41
    .sgpr_spill_count: 0
    .symbol:         _ZN9rocsparseL19gtsv_LBM_rhs_kernelILj256ELj128ELj8EfEEviiiPKT2_S3_S3_PS1_S3_PKi.kd
    .uniform_work_group_size: 1
    .uses_dynamic_stack: false
    .vgpr_count:     62
    .vgpr_spill_count: 0
    .wavefront_size: 64
  - .args:
      - .offset:         0
        .size:           4
        .value_kind:     by_value
      - .offset:         4
        .size:           4
        .value_kind:     by_value
      - .offset:         8
        .size:           4
        .value_kind:     by_value
      - .actual_access:  read_only
        .address_space:  global
        .offset:         16
        .size:           8
        .value_kind:     global_buffer
      - .actual_access:  read_only
        .address_space:  global
        .offset:         24
        .size:           8
        .value_kind:     global_buffer
      - .actual_access:  read_only
        .address_space:  global
        .offset:         32
        .size:           8
        .value_kind:     global_buffer
      - .address_space:  global
        .offset:         40
        .size:           8
        .value_kind:     global_buffer
      - .actual_access:  read_only
        .address_space:  global
        .offset:         48
        .size:           8
        .value_kind:     global_buffer
      - .actual_access:  read_only
        .address_space:  global
        .offset:         56
        .size:           8
        .value_kind:     global_buffer
    .group_segment_fixed_size: 0
    .kernarg_segment_align: 8
    .kernarg_segment_size: 64
    .language:       OpenCL C
    .language_version:
      - 2
      - 0
    .max_flat_workgroup_size: 256
    .name:           _ZN9rocsparseL19gtsv_LBM_rhs_kernelILj256ELj128ELj4EfEEviiiPKT2_S3_S3_PS1_S3_PKi
    .private_segment_fixed_size: 0
    .sgpr_count:     36
    .sgpr_spill_count: 0
    .symbol:         _ZN9rocsparseL19gtsv_LBM_rhs_kernelILj256ELj128ELj4EfEEviiiPKT2_S3_S3_PS1_S3_PKi.kd
    .uniform_work_group_size: 1
    .uses_dynamic_stack: false
    .vgpr_count:     38
    .vgpr_spill_count: 0
    .wavefront_size: 64
  - .args:
      - .offset:         0
        .size:           4
        .value_kind:     by_value
      - .offset:         4
        .size:           4
        .value_kind:     by_value
      - .offset:         8
        .size:           4
        .value_kind:     by_value
      - .actual_access:  read_only
        .address_space:  global
        .offset:         16
        .size:           8
        .value_kind:     global_buffer
      - .actual_access:  read_only
        .address_space:  global
        .offset:         24
        .size:           8
        .value_kind:     global_buffer
      - .actual_access:  read_only
        .address_space:  global
        .offset:         32
        .size:           8
        .value_kind:     global_buffer
      - .address_space:  global
        .offset:         40
        .size:           8
        .value_kind:     global_buffer
      - .actual_access:  read_only
        .address_space:  global
        .offset:         48
        .size:           8
        .value_kind:     global_buffer
      - .actual_access:  read_only
        .address_space:  global
        .offset:         56
        .size:           8
        .value_kind:     global_buffer
    .group_segment_fixed_size: 0
    .kernarg_segment_align: 8
    .kernarg_segment_size: 64
    .language:       OpenCL C
    .language_version:
      - 2
      - 0
    .max_flat_workgroup_size: 256
    .name:           _ZN9rocsparseL19gtsv_LBM_rhs_kernelILj256ELj128ELj2EfEEviiiPKT2_S3_S3_PS1_S3_PKi
    .private_segment_fixed_size: 0
    .sgpr_count:     34
    .sgpr_spill_count: 0
    .symbol:         _ZN9rocsparseL19gtsv_LBM_rhs_kernelILj256ELj128ELj2EfEEviiiPKT2_S3_S3_PS1_S3_PKi.kd
    .uniform_work_group_size: 1
    .uses_dynamic_stack: false
    .vgpr_count:     28
    .vgpr_spill_count: 0
    .wavefront_size: 64
  - .args:
      - .offset:         0
        .size:           4
        .value_kind:     by_value
      - .offset:         4
        .size:           4
        .value_kind:     by_value
      - .offset:         8
        .size:           4
        .value_kind:     by_value
      - .actual_access:  read_only
        .address_space:  global
        .offset:         16
        .size:           8
        .value_kind:     global_buffer
      - .actual_access:  read_only
        .address_space:  global
        .offset:         24
        .size:           8
        .value_kind:     global_buffer
      - .actual_access:  read_only
        .address_space:  global
        .offset:         32
        .size:           8
        .value_kind:     global_buffer
      - .address_space:  global
        .offset:         40
        .size:           8
        .value_kind:     global_buffer
      - .actual_access:  read_only
        .address_space:  global
        .offset:         48
        .size:           8
        .value_kind:     global_buffer
      - .actual_access:  read_only
        .address_space:  global
        .offset:         56
        .size:           8
        .value_kind:     global_buffer
    .group_segment_fixed_size: 0
    .kernarg_segment_align: 8
    .kernarg_segment_size: 64
    .language:       OpenCL C
    .language_version:
      - 2
      - 0
    .max_flat_workgroup_size: 256
    .name:           _ZN9rocsparseL19gtsv_LBM_rhs_kernelILj256ELj128ELj1EfEEviiiPKT2_S3_S3_PS1_S3_PKi
    .private_segment_fixed_size: 0
    .sgpr_count:     32
    .sgpr_spill_count: 0
    .symbol:         _ZN9rocsparseL19gtsv_LBM_rhs_kernelILj256ELj128ELj1EfEEviiiPKT2_S3_S3_PS1_S3_PKi.kd
    .uniform_work_group_size: 1
    .uses_dynamic_stack: false
    .vgpr_count:     22
    .vgpr_spill_count: 0
    .wavefront_size: 64
  - .args:
      - .offset:         0
        .size:           4
        .value_kind:     by_value
      - .offset:         4
        .size:           4
        .value_kind:     by_value
      - .offset:         8
        .size:           4
        .value_kind:     by_value
      - .address_space:  global
        .offset:         16
        .size:           8
        .value_kind:     global_buffer
      - .actual_access:  read_only
        .address_space:  global
        .offset:         24
        .size:           8
        .value_kind:     global_buffer
      - .actual_access:  read_only
        .address_space:  global
        .offset:         32
        .size:           8
        .value_kind:     global_buffer
      - .actual_access:  write_only
        .address_space:  global
        .offset:         40
        .size:           8
        .value_kind:     global_buffer
      - .actual_access:  write_only
        .address_space:  global
        .offset:         48
        .size:           8
        .value_kind:     global_buffer
      - .actual_access:  write_only
        .address_space:  global
        .offset:         56
        .size:           8
        .value_kind:     global_buffer
      - .actual_access:  write_only
        .address_space:  global
        .offset:         64
        .size:           8
        .value_kind:     global_buffer
      - .actual_access:  write_only
        .address_space:  global
        .offset:         72
        .size:           8
        .value_kind:     global_buffer
      - .offset:         80
        .size:           4
        .value_kind:     hidden_block_count_x
      - .offset:         84
        .size:           4
        .value_kind:     hidden_block_count_y
      - .offset:         88
        .size:           4
        .value_kind:     hidden_block_count_z
      - .offset:         92
        .size:           2
        .value_kind:     hidden_group_size_x
      - .offset:         94
        .size:           2
        .value_kind:     hidden_group_size_y
      - .offset:         96
        .size:           2
        .value_kind:     hidden_group_size_z
      - .offset:         98
        .size:           2
        .value_kind:     hidden_remainder_x
      - .offset:         100
        .size:           2
        .value_kind:     hidden_remainder_y
      - .offset:         102
        .size:           2
        .value_kind:     hidden_remainder_z
      - .offset:         120
        .size:           8
        .value_kind:     hidden_global_offset_x
      - .offset:         128
        .size:           8
        .value_kind:     hidden_global_offset_y
      - .offset:         136
        .size:           8
        .value_kind:     hidden_global_offset_z
      - .offset:         144
        .size:           2
        .value_kind:     hidden_grid_dims
    .group_segment_fixed_size: 6144
    .kernarg_segment_align: 8
    .kernarg_segment_size: 336
    .language:       OpenCL C
    .language_version:
      - 2
      - 0
    .max_flat_workgroup_size: 256
    .name:           _ZN9rocsparseL29gtsv_spike_block_level_kernelILj256ELj128EfEEviiiPT1_PKS1_S4_S2_S2_S2_S2_S2_
    .private_segment_fixed_size: 0
    .sgpr_count:     28
    .sgpr_spill_count: 0
    .symbol:         _ZN9rocsparseL29gtsv_spike_block_level_kernelILj256ELj128EfEEviiiPT1_PKS1_S4_S2_S2_S2_S2_S2_.kd
    .uniform_work_group_size: 1
    .uses_dynamic_stack: false
    .vgpr_count:     24
    .vgpr_spill_count: 0
    .wavefront_size: 64
  - .args:
      - .offset:         0
        .size:           4
        .value_kind:     by_value
      - .offset:         4
        .size:           4
        .value_kind:     by_value
      - .offset:         8
        .size:           4
        .value_kind:     by_value
      - .address_space:  global
        .offset:         16
        .size:           8
        .value_kind:     global_buffer
      - .actual_access:  read_only
        .address_space:  global
        .offset:         24
        .size:           8
        .value_kind:     global_buffer
      - .actual_access:  read_only
        .address_space:  global
        .offset:         32
        .size:           8
        .value_kind:     global_buffer
      - .actual_access:  read_only
        .address_space:  global
        .offset:         40
        .size:           8
        .value_kind:     global_buffer
      - .offset:         48
        .size:           4
        .value_kind:     hidden_block_count_x
      - .offset:         52
        .size:           4
        .value_kind:     hidden_block_count_y
      - .offset:         56
        .size:           4
        .value_kind:     hidden_block_count_z
      - .offset:         60
        .size:           2
        .value_kind:     hidden_group_size_x
      - .offset:         62
        .size:           2
        .value_kind:     hidden_group_size_y
      - .offset:         64
        .size:           2
        .value_kind:     hidden_group_size_z
      - .offset:         66
        .size:           2
        .value_kind:     hidden_remainder_x
      - .offset:         68
        .size:           2
        .value_kind:     hidden_remainder_y
      - .offset:         70
        .size:           2
        .value_kind:     hidden_remainder_z
      - .offset:         88
        .size:           8
        .value_kind:     hidden_global_offset_x
      - .offset:         96
        .size:           8
        .value_kind:     hidden_global_offset_y
      - .offset:         104
        .size:           8
        .value_kind:     hidden_global_offset_z
      - .offset:         112
        .size:           2
        .value_kind:     hidden_grid_dims
    .group_segment_fixed_size: 6160
    .kernarg_segment_align: 8
    .kernarg_segment_size: 304
    .language:       OpenCL C
    .language_version:
      - 2
      - 0
    .max_flat_workgroup_size: 256
    .name:           _ZN9rocsparseL33gtsv_solve_spike_propagate_kernelILj256ELj128EfEEviiiPT1_PKS1_S4_S4_
    .private_segment_fixed_size: 0
    .sgpr_count:     20
    .sgpr_spill_count: 0
    .symbol:         _ZN9rocsparseL33gtsv_solve_spike_propagate_kernelILj256ELj128EfEEviiiPT1_PKS1_S4_S4_.kd
    .uniform_work_group_size: 1
    .uses_dynamic_stack: false
    .vgpr_count:     12
    .vgpr_spill_count: 0
    .wavefront_size: 64
  - .args:
      - .offset:         0
        .size:           4
        .value_kind:     by_value
      - .offset:         4
        .size:           4
        .value_kind:     by_value
      - .offset:         8
        .size:           4
        .value_kind:     by_value
      - .address_space:  global
        .offset:         16
        .size:           8
        .value_kind:     global_buffer
      - .actual_access:  read_only
        .address_space:  global
        .offset:         24
        .size:           8
        .value_kind:     global_buffer
      - .actual_access:  read_only
        .address_space:  global
        .offset:         32
        .size:           8
        .value_kind:     global_buffer
    .group_segment_fixed_size: 0
    .kernarg_segment_align: 8
    .kernarg_segment_size: 40
    .language:       OpenCL C
    .language_version:
      - 2
      - 0
    .max_flat_workgroup_size: 256
    .name:           _ZN9rocsparseL39gtsv_spike_backward_substitution_kernelILj256ELj128EfEEviiiPT1_PKS1_S4_
    .private_segment_fixed_size: 0
    .sgpr_count:     17
    .sgpr_spill_count: 0
    .symbol:         _ZN9rocsparseL39gtsv_spike_backward_substitution_kernelILj256ELj128EfEEviiiPT1_PKS1_S4_.kd
    .uniform_work_group_size: 1
    .uses_dynamic_stack: false
    .vgpr_count:     28
    .vgpr_spill_count: 0
    .wavefront_size: 64
  - .args:
      - .offset:         0
        .size:           4
        .value_kind:     by_value
      - .offset:         4
        .size:           4
        .value_kind:     by_value
      - .offset:         8
        .size:           4
        .value_kind:     by_value
      - .actual_access:  read_only
        .address_space:  global
        .offset:         16
        .size:           8
        .value_kind:     global_buffer
      - .actual_access:  write_only
        .address_space:  global
        .offset:         24
        .size:           8
        .value_kind:     global_buffer
    .group_segment_fixed_size: 0
    .kernarg_segment_align: 8
    .kernarg_segment_size: 32
    .language:       OpenCL C
    .language_version:
      - 2
      - 0
    .max_flat_workgroup_size: 256
    .name:           _ZN9rocsparseL32gtsv_transpose_back_array_kernelILj256ELj128EfEEviiiPKT1_PS1_
    .private_segment_fixed_size: 0
    .sgpr_count:     16
    .sgpr_spill_count: 0
    .symbol:         _ZN9rocsparseL32gtsv_transpose_back_array_kernelILj256ELj128EfEEviiiPKT1_PS1_.kd
    .uniform_work_group_size: 1
    .uses_dynamic_stack: false
    .vgpr_count:     5
    .vgpr_spill_count: 0
    .wavefront_size: 64
  - .args:
      - .offset:         0
        .size:           4
        .value_kind:     by_value
      - .offset:         4
        .size:           4
        .value_kind:     by_value
      - .offset:         8
        .size:           4
        .value_kind:     by_value
      - .actual_access:  read_only
        .address_space:  global
        .offset:         16
        .size:           8
        .value_kind:     global_buffer
      - .actual_access:  write_only
        .address_space:  global
        .offset:         24
        .size:           8
        .value_kind:     global_buffer
      - .offset:         32
        .size:           4
        .value_kind:     by_value
    .group_segment_fixed_size: 1024
    .kernarg_segment_align: 8
    .kernarg_segment_size: 36
    .language:       OpenCL C
    .language_version:
      - 2
      - 0
    .max_flat_workgroup_size: 256
    .name:           _ZN9rocsparseL42gtsv_transpose_and_pad_array_shared_kernelILj256ELj256EfEEviiiPKT1_PS1_S1_
    .private_segment_fixed_size: 0
    .sgpr_count:     16
    .sgpr_spill_count: 0
    .symbol:         _ZN9rocsparseL42gtsv_transpose_and_pad_array_shared_kernelILj256ELj256EfEEviiiPKT1_PS1_S1_.kd
    .uniform_work_group_size: 1
    .uses_dynamic_stack: false
    .vgpr_count:     4
    .vgpr_spill_count: 0
    .wavefront_size: 64
  - .args:
      - .offset:         0
        .size:           4
        .value_kind:     by_value
      - .offset:         4
        .size:           4
        .value_kind:     by_value
      - .offset:         8
        .size:           4
        .value_kind:     by_value
      - .actual_access:  read_only
        .address_space:  global
        .offset:         16
        .size:           8
        .value_kind:     global_buffer
      - .actual_access:  read_only
        .address_space:  global
        .offset:         24
        .size:           8
        .value_kind:     global_buffer
      - .actual_access:  read_only
        .address_space:  global
        .offset:         32
        .size:           8
        .value_kind:     global_buffer
      - .address_space:  global
        .offset:         40
        .size:           8
        .value_kind:     global_buffer
      - .address_space:  global
        .offset:         48
        .size:           8
        .value_kind:     global_buffer
      - .address_space:  global
        .offset:         56
        .size:           8
        .value_kind:     global_buffer
      - .address_space:  global
        .offset:         64
        .size:           8
        .value_kind:     global_buffer
    .group_segment_fixed_size: 0
    .kernarg_segment_align: 8
    .kernarg_segment_size: 72
    .language:       OpenCL C
    .language_version:
      - 2
      - 0
    .max_flat_workgroup_size: 256
    .name:           _ZN9rocsparseL18gtsv_LBM_wv_kernelILj256ELj256EfEEviiiPKT1_S3_S3_PS1_S4_S4_Pi
    .private_segment_fixed_size: 0
    .sgpr_count:     35
    .sgpr_spill_count: 0
    .symbol:         _ZN9rocsparseL18gtsv_LBM_wv_kernelILj256ELj256EfEEviiiPKT1_S3_S3_PS1_S4_S4_Pi.kd
    .uniform_work_group_size: 1
    .uses_dynamic_stack: false
    .vgpr_count:     30
    .vgpr_spill_count: 0
    .wavefront_size: 64
  - .args:
      - .offset:         0
        .size:           4
        .value_kind:     by_value
      - .offset:         4
        .size:           4
        .value_kind:     by_value
      - .offset:         8
        .size:           4
        .value_kind:     by_value
      - .actual_access:  read_only
        .address_space:  global
        .offset:         16
        .size:           8
        .value_kind:     global_buffer
      - .actual_access:  read_only
        .address_space:  global
        .offset:         24
        .size:           8
        .value_kind:     global_buffer
      - .actual_access:  read_only
        .address_space:  global
        .offset:         32
        .size:           8
        .value_kind:     global_buffer
      - .address_space:  global
        .offset:         40
        .size:           8
        .value_kind:     global_buffer
      - .actual_access:  read_only
        .address_space:  global
        .offset:         48
        .size:           8
        .value_kind:     global_buffer
      - .actual_access:  read_only
        .address_space:  global
        .offset:         56
        .size:           8
        .value_kind:     global_buffer
    .group_segment_fixed_size: 0
    .kernarg_segment_align: 8
    .kernarg_segment_size: 64
    .language:       OpenCL C
    .language_version:
      - 2
      - 0
    .max_flat_workgroup_size: 256
    .name:           _ZN9rocsparseL19gtsv_LBM_rhs_kernelILj256ELj256ELj8EfEEviiiPKT2_S3_S3_PS1_S3_PKi
    .private_segment_fixed_size: 0
    .sgpr_count:     41
    .sgpr_spill_count: 0
    .symbol:         _ZN9rocsparseL19gtsv_LBM_rhs_kernelILj256ELj256ELj8EfEEviiiPKT2_S3_S3_PS1_S3_PKi.kd
    .uniform_work_group_size: 1
    .uses_dynamic_stack: false
    .vgpr_count:     62
    .vgpr_spill_count: 0
    .wavefront_size: 64
  - .args:
      - .offset:         0
        .size:           4
        .value_kind:     by_value
      - .offset:         4
        .size:           4
        .value_kind:     by_value
      - .offset:         8
        .size:           4
        .value_kind:     by_value
      - .actual_access:  read_only
        .address_space:  global
        .offset:         16
        .size:           8
        .value_kind:     global_buffer
      - .actual_access:  read_only
        .address_space:  global
        .offset:         24
        .size:           8
        .value_kind:     global_buffer
      - .actual_access:  read_only
        .address_space:  global
        .offset:         32
        .size:           8
        .value_kind:     global_buffer
      - .address_space:  global
        .offset:         40
        .size:           8
        .value_kind:     global_buffer
      - .actual_access:  read_only
        .address_space:  global
        .offset:         48
        .size:           8
        .value_kind:     global_buffer
      - .actual_access:  read_only
        .address_space:  global
        .offset:         56
        .size:           8
        .value_kind:     global_buffer
    .group_segment_fixed_size: 0
    .kernarg_segment_align: 8
    .kernarg_segment_size: 64
    .language:       OpenCL C
    .language_version:
      - 2
      - 0
    .max_flat_workgroup_size: 256
    .name:           _ZN9rocsparseL19gtsv_LBM_rhs_kernelILj256ELj256ELj4EfEEviiiPKT2_S3_S3_PS1_S3_PKi
    .private_segment_fixed_size: 0
    .sgpr_count:     36
    .sgpr_spill_count: 0
    .symbol:         _ZN9rocsparseL19gtsv_LBM_rhs_kernelILj256ELj256ELj4EfEEviiiPKT2_S3_S3_PS1_S3_PKi.kd
    .uniform_work_group_size: 1
    .uses_dynamic_stack: false
    .vgpr_count:     38
    .vgpr_spill_count: 0
    .wavefront_size: 64
  - .args:
      - .offset:         0
        .size:           4
        .value_kind:     by_value
      - .offset:         4
        .size:           4
        .value_kind:     by_value
      - .offset:         8
        .size:           4
        .value_kind:     by_value
      - .actual_access:  read_only
        .address_space:  global
        .offset:         16
        .size:           8
        .value_kind:     global_buffer
      - .actual_access:  read_only
        .address_space:  global
        .offset:         24
        .size:           8
        .value_kind:     global_buffer
      - .actual_access:  read_only
        .address_space:  global
        .offset:         32
        .size:           8
        .value_kind:     global_buffer
      - .address_space:  global
        .offset:         40
        .size:           8
        .value_kind:     global_buffer
      - .actual_access:  read_only
        .address_space:  global
        .offset:         48
        .size:           8
        .value_kind:     global_buffer
      - .actual_access:  read_only
        .address_space:  global
        .offset:         56
        .size:           8
        .value_kind:     global_buffer
    .group_segment_fixed_size: 0
    .kernarg_segment_align: 8
    .kernarg_segment_size: 64
    .language:       OpenCL C
    .language_version:
      - 2
      - 0
    .max_flat_workgroup_size: 256
    .name:           _ZN9rocsparseL19gtsv_LBM_rhs_kernelILj256ELj256ELj2EfEEviiiPKT2_S3_S3_PS1_S3_PKi
    .private_segment_fixed_size: 0
    .sgpr_count:     34
    .sgpr_spill_count: 0
    .symbol:         _ZN9rocsparseL19gtsv_LBM_rhs_kernelILj256ELj256ELj2EfEEviiiPKT2_S3_S3_PS1_S3_PKi.kd
    .uniform_work_group_size: 1
    .uses_dynamic_stack: false
    .vgpr_count:     28
    .vgpr_spill_count: 0
    .wavefront_size: 64
  - .args:
      - .offset:         0
        .size:           4
        .value_kind:     by_value
      - .offset:         4
        .size:           4
        .value_kind:     by_value
      - .offset:         8
        .size:           4
        .value_kind:     by_value
      - .actual_access:  read_only
        .address_space:  global
        .offset:         16
        .size:           8
        .value_kind:     global_buffer
      - .actual_access:  read_only
        .address_space:  global
        .offset:         24
        .size:           8
        .value_kind:     global_buffer
      - .actual_access:  read_only
        .address_space:  global
        .offset:         32
        .size:           8
        .value_kind:     global_buffer
      - .address_space:  global
        .offset:         40
        .size:           8
        .value_kind:     global_buffer
      - .actual_access:  read_only
        .address_space:  global
        .offset:         48
        .size:           8
        .value_kind:     global_buffer
      - .actual_access:  read_only
        .address_space:  global
        .offset:         56
        .size:           8
        .value_kind:     global_buffer
    .group_segment_fixed_size: 0
    .kernarg_segment_align: 8
    .kernarg_segment_size: 64
    .language:       OpenCL C
    .language_version:
      - 2
      - 0
    .max_flat_workgroup_size: 256
    .name:           _ZN9rocsparseL19gtsv_LBM_rhs_kernelILj256ELj256ELj1EfEEviiiPKT2_S3_S3_PS1_S3_PKi
    .private_segment_fixed_size: 0
    .sgpr_count:     32
    .sgpr_spill_count: 0
    .symbol:         _ZN9rocsparseL19gtsv_LBM_rhs_kernelILj256ELj256ELj1EfEEviiiPKT2_S3_S3_PS1_S3_PKi.kd
    .uniform_work_group_size: 1
    .uses_dynamic_stack: false
    .vgpr_count:     22
    .vgpr_spill_count: 0
    .wavefront_size: 64
  - .args:
      - .offset:         0
        .size:           4
        .value_kind:     by_value
      - .offset:         4
        .size:           4
        .value_kind:     by_value
      - .offset:         8
        .size:           4
        .value_kind:     by_value
      - .address_space:  global
        .offset:         16
        .size:           8
        .value_kind:     global_buffer
      - .actual_access:  read_only
        .address_space:  global
        .offset:         24
        .size:           8
        .value_kind:     global_buffer
      - .actual_access:  read_only
        .address_space:  global
        .offset:         32
        .size:           8
        .value_kind:     global_buffer
      - .actual_access:  write_only
        .address_space:  global
        .offset:         40
        .size:           8
        .value_kind:     global_buffer
      - .actual_access:  write_only
        .address_space:  global
        .offset:         48
        .size:           8
        .value_kind:     global_buffer
      - .actual_access:  write_only
        .address_space:  global
        .offset:         56
        .size:           8
        .value_kind:     global_buffer
      - .actual_access:  write_only
        .address_space:  global
        .offset:         64
        .size:           8
        .value_kind:     global_buffer
      - .actual_access:  write_only
        .address_space:  global
        .offset:         72
        .size:           8
        .value_kind:     global_buffer
      - .offset:         80
        .size:           4
        .value_kind:     hidden_block_count_x
      - .offset:         84
        .size:           4
        .value_kind:     hidden_block_count_y
      - .offset:         88
        .size:           4
        .value_kind:     hidden_block_count_z
      - .offset:         92
        .size:           2
        .value_kind:     hidden_group_size_x
      - .offset:         94
        .size:           2
        .value_kind:     hidden_group_size_y
      - .offset:         96
        .size:           2
        .value_kind:     hidden_group_size_z
      - .offset:         98
        .size:           2
        .value_kind:     hidden_remainder_x
      - .offset:         100
        .size:           2
        .value_kind:     hidden_remainder_y
      - .offset:         102
        .size:           2
        .value_kind:     hidden_remainder_z
      - .offset:         120
        .size:           8
        .value_kind:     hidden_global_offset_x
      - .offset:         128
        .size:           8
        .value_kind:     hidden_global_offset_y
      - .offset:         136
        .size:           8
        .value_kind:     hidden_global_offset_z
      - .offset:         144
        .size:           2
        .value_kind:     hidden_grid_dims
    .group_segment_fixed_size: 6144
    .kernarg_segment_align: 8
    .kernarg_segment_size: 336
    .language:       OpenCL C
    .language_version:
      - 2
      - 0
    .max_flat_workgroup_size: 256
    .name:           _ZN9rocsparseL29gtsv_spike_block_level_kernelILj256ELj256EfEEviiiPT1_PKS1_S4_S2_S2_S2_S2_S2_
    .private_segment_fixed_size: 0
    .sgpr_count:     28
    .sgpr_spill_count: 0
    .symbol:         _ZN9rocsparseL29gtsv_spike_block_level_kernelILj256ELj256EfEEviiiPT1_PKS1_S4_S2_S2_S2_S2_S2_.kd
    .uniform_work_group_size: 1
    .uses_dynamic_stack: false
    .vgpr_count:     24
    .vgpr_spill_count: 0
    .wavefront_size: 64
  - .args:
      - .offset:         0
        .size:           4
        .value_kind:     by_value
      - .offset:         4
        .size:           4
        .value_kind:     by_value
      - .offset:         8
        .size:           4
        .value_kind:     by_value
      - .address_space:  global
        .offset:         16
        .size:           8
        .value_kind:     global_buffer
      - .actual_access:  read_only
        .address_space:  global
        .offset:         24
        .size:           8
        .value_kind:     global_buffer
      - .actual_access:  read_only
        .address_space:  global
        .offset:         32
        .size:           8
        .value_kind:     global_buffer
      - .actual_access:  read_only
        .address_space:  global
        .offset:         40
        .size:           8
        .value_kind:     global_buffer
      - .offset:         48
        .size:           4
        .value_kind:     hidden_block_count_x
      - .offset:         52
        .size:           4
        .value_kind:     hidden_block_count_y
      - .offset:         56
        .size:           4
        .value_kind:     hidden_block_count_z
      - .offset:         60
        .size:           2
        .value_kind:     hidden_group_size_x
      - .offset:         62
        .size:           2
        .value_kind:     hidden_group_size_y
      - .offset:         64
        .size:           2
        .value_kind:     hidden_group_size_z
      - .offset:         66
        .size:           2
        .value_kind:     hidden_remainder_x
      - .offset:         68
        .size:           2
        .value_kind:     hidden_remainder_y
      - .offset:         70
        .size:           2
        .value_kind:     hidden_remainder_z
      - .offset:         88
        .size:           8
        .value_kind:     hidden_global_offset_x
      - .offset:         96
        .size:           8
        .value_kind:     hidden_global_offset_y
      - .offset:         104
        .size:           8
        .value_kind:     hidden_global_offset_z
      - .offset:         112
        .size:           2
        .value_kind:     hidden_grid_dims
    .group_segment_fixed_size: 6160
    .kernarg_segment_align: 8
    .kernarg_segment_size: 304
    .language:       OpenCL C
    .language_version:
      - 2
      - 0
    .max_flat_workgroup_size: 256
    .name:           _ZN9rocsparseL33gtsv_solve_spike_propagate_kernelILj256ELj256EfEEviiiPT1_PKS1_S4_S4_
    .private_segment_fixed_size: 0
    .sgpr_count:     20
    .sgpr_spill_count: 0
    .symbol:         _ZN9rocsparseL33gtsv_solve_spike_propagate_kernelILj256ELj256EfEEviiiPT1_PKS1_S4_S4_.kd
    .uniform_work_group_size: 1
    .uses_dynamic_stack: false
    .vgpr_count:     12
    .vgpr_spill_count: 0
    .wavefront_size: 64
  - .args:
      - .offset:         0
        .size:           4
        .value_kind:     by_value
      - .offset:         4
        .size:           4
        .value_kind:     by_value
      - .offset:         8
        .size:           4
        .value_kind:     by_value
      - .address_space:  global
        .offset:         16
        .size:           8
        .value_kind:     global_buffer
      - .actual_access:  read_only
        .address_space:  global
        .offset:         24
        .size:           8
        .value_kind:     global_buffer
      - .actual_access:  read_only
        .address_space:  global
        .offset:         32
        .size:           8
        .value_kind:     global_buffer
    .group_segment_fixed_size: 0
    .kernarg_segment_align: 8
    .kernarg_segment_size: 40
    .language:       OpenCL C
    .language_version:
      - 2
      - 0
    .max_flat_workgroup_size: 256
    .name:           _ZN9rocsparseL39gtsv_spike_backward_substitution_kernelILj256ELj256EfEEviiiPT1_PKS1_S4_
    .private_segment_fixed_size: 0
    .sgpr_count:     17
    .sgpr_spill_count: 0
    .symbol:         _ZN9rocsparseL39gtsv_spike_backward_substitution_kernelILj256ELj256EfEEviiiPT1_PKS1_S4_.kd
    .uniform_work_group_size: 1
    .uses_dynamic_stack: false
    .vgpr_count:     24
    .vgpr_spill_count: 0
    .wavefront_size: 64
  - .args:
      - .offset:         0
        .size:           4
        .value_kind:     by_value
      - .offset:         4
        .size:           4
        .value_kind:     by_value
      - .offset:         8
        .size:           4
        .value_kind:     by_value
      - .actual_access:  read_only
        .address_space:  global
        .offset:         16
        .size:           8
        .value_kind:     global_buffer
      - .actual_access:  write_only
        .address_space:  global
        .offset:         24
        .size:           8
        .value_kind:     global_buffer
    .group_segment_fixed_size: 0
    .kernarg_segment_align: 8
    .kernarg_segment_size: 32
    .language:       OpenCL C
    .language_version:
      - 2
      - 0
    .max_flat_workgroup_size: 256
    .name:           _ZN9rocsparseL32gtsv_transpose_back_array_kernelILj256ELj256EfEEviiiPKT1_PS1_
    .private_segment_fixed_size: 0
    .sgpr_count:     16
    .sgpr_spill_count: 0
    .symbol:         _ZN9rocsparseL32gtsv_transpose_back_array_kernelILj256ELj256EfEEviiiPKT1_PS1_.kd
    .uniform_work_group_size: 1
    .uses_dynamic_stack: false
    .vgpr_count:     5
    .vgpr_spill_count: 0
    .wavefront_size: 64
  - .args:
      - .offset:         0
        .size:           4
        .value_kind:     by_value
      - .offset:         4
        .size:           4
        .value_kind:     by_value
      - .offset:         8
        .size:           4
        .value_kind:     by_value
      - .actual_access:  read_only
        .address_space:  global
        .offset:         16
        .size:           8
        .value_kind:     global_buffer
      - .actual_access:  write_only
        .address_space:  global
        .offset:         24
        .size:           8
        .value_kind:     global_buffer
      - .offset:         32
        .size:           8
        .value_kind:     by_value
    .group_segment_fixed_size: 2048
    .kernarg_segment_align: 8
    .kernarg_segment_size: 40
    .language:       OpenCL C
    .language_version:
      - 2
      - 0
    .max_flat_workgroup_size: 256
    .name:           _ZN9rocsparseL42gtsv_transpose_and_pad_array_shared_kernelILj256ELj2EdEEviiiPKT1_PS1_S1_
    .private_segment_fixed_size: 0
    .sgpr_count:     16
    .sgpr_spill_count: 0
    .symbol:         _ZN9rocsparseL42gtsv_transpose_and_pad_array_shared_kernelILj256ELj2EdEEviiiPKT1_PS1_S1_.kd
    .uniform_work_group_size: 1
    .uses_dynamic_stack: false
    .vgpr_count:     5
    .vgpr_spill_count: 0
    .wavefront_size: 64
  - .args:
      - .offset:         0
        .size:           4
        .value_kind:     by_value
      - .offset:         4
        .size:           4
        .value_kind:     by_value
      - .offset:         8
        .size:           4
        .value_kind:     by_value
      - .actual_access:  read_only
        .address_space:  global
        .offset:         16
        .size:           8
        .value_kind:     global_buffer
      - .actual_access:  read_only
        .address_space:  global
        .offset:         24
        .size:           8
        .value_kind:     global_buffer
      - .actual_access:  read_only
        .address_space:  global
        .offset:         32
        .size:           8
        .value_kind:     global_buffer
      - .address_space:  global
        .offset:         40
        .size:           8
        .value_kind:     global_buffer
      - .address_space:  global
        .offset:         48
        .size:           8
        .value_kind:     global_buffer
      - .address_space:  global
        .offset:         56
        .size:           8
        .value_kind:     global_buffer
      - .address_space:  global
        .offset:         64
        .size:           8
        .value_kind:     global_buffer
    .group_segment_fixed_size: 0
    .kernarg_segment_align: 8
    .kernarg_segment_size: 72
    .language:       OpenCL C
    .language_version:
      - 2
      - 0
    .max_flat_workgroup_size: 256
    .name:           _ZN9rocsparseL18gtsv_LBM_wv_kernelILj256ELj2EdEEviiiPKT1_S3_S3_PS1_S4_S4_Pi
    .private_segment_fixed_size: 0
    .sgpr_count:     31
    .sgpr_spill_count: 0
    .symbol:         _ZN9rocsparseL18gtsv_LBM_wv_kernelILj256ELj2EdEEviiiPKT1_S3_S3_PS1_S4_S4_Pi.kd
    .uniform_work_group_size: 1
    .uses_dynamic_stack: false
    .vgpr_count:     49
    .vgpr_spill_count: 0
    .wavefront_size: 64
  - .args:
      - .offset:         0
        .size:           4
        .value_kind:     by_value
      - .offset:         4
        .size:           4
        .value_kind:     by_value
      - .offset:         8
        .size:           4
        .value_kind:     by_value
      - .actual_access:  read_only
        .address_space:  global
        .offset:         16
        .size:           8
        .value_kind:     global_buffer
      - .actual_access:  read_only
        .address_space:  global
        .offset:         24
        .size:           8
        .value_kind:     global_buffer
      - .actual_access:  read_only
        .address_space:  global
        .offset:         32
        .size:           8
        .value_kind:     global_buffer
      - .address_space:  global
        .offset:         40
        .size:           8
        .value_kind:     global_buffer
      - .actual_access:  read_only
        .address_space:  global
        .offset:         48
        .size:           8
        .value_kind:     global_buffer
      - .actual_access:  read_only
        .address_space:  global
        .offset:         56
        .size:           8
        .value_kind:     global_buffer
    .group_segment_fixed_size: 0
    .kernarg_segment_align: 8
    .kernarg_segment_size: 64
    .language:       OpenCL C
    .language_version:
      - 2
      - 0
    .max_flat_workgroup_size: 256
    .name:           _ZN9rocsparseL19gtsv_LBM_rhs_kernelILj256ELj2ELj8EdEEviiiPKT2_S3_S3_PS1_S3_PKi
    .private_segment_fixed_size: 0
    .sgpr_count:     36
    .sgpr_spill_count: 0
    .symbol:         _ZN9rocsparseL19gtsv_LBM_rhs_kernelILj256ELj2ELj8EdEEviiiPKT2_S3_S3_PS1_S3_PKi.kd
    .uniform_work_group_size: 1
    .uses_dynamic_stack: false
    .vgpr_count:     80
    .vgpr_spill_count: 0
    .wavefront_size: 64
  - .args:
      - .offset:         0
        .size:           4
        .value_kind:     by_value
      - .offset:         4
        .size:           4
        .value_kind:     by_value
      - .offset:         8
        .size:           4
        .value_kind:     by_value
      - .actual_access:  read_only
        .address_space:  global
        .offset:         16
        .size:           8
        .value_kind:     global_buffer
      - .actual_access:  read_only
        .address_space:  global
        .offset:         24
        .size:           8
        .value_kind:     global_buffer
      - .actual_access:  read_only
        .address_space:  global
        .offset:         32
        .size:           8
        .value_kind:     global_buffer
      - .address_space:  global
        .offset:         40
        .size:           8
        .value_kind:     global_buffer
      - .actual_access:  read_only
        .address_space:  global
        .offset:         48
        .size:           8
        .value_kind:     global_buffer
      - .actual_access:  read_only
        .address_space:  global
        .offset:         56
        .size:           8
        .value_kind:     global_buffer
    .group_segment_fixed_size: 0
    .kernarg_segment_align: 8
    .kernarg_segment_size: 64
    .language:       OpenCL C
    .language_version:
      - 2
      - 0
    .max_flat_workgroup_size: 256
    .name:           _ZN9rocsparseL19gtsv_LBM_rhs_kernelILj256ELj2ELj4EdEEviiiPKT2_S3_S3_PS1_S3_PKi
    .private_segment_fixed_size: 0
    .sgpr_count:     32
    .sgpr_spill_count: 0
    .symbol:         _ZN9rocsparseL19gtsv_LBM_rhs_kernelILj256ELj2ELj4EdEEviiiPKT2_S3_S3_PS1_S3_PKi.kd
    .uniform_work_group_size: 1
    .uses_dynamic_stack: false
    .vgpr_count:     58
    .vgpr_spill_count: 0
    .wavefront_size: 64
  - .args:
      - .offset:         0
        .size:           4
        .value_kind:     by_value
      - .offset:         4
        .size:           4
        .value_kind:     by_value
      - .offset:         8
        .size:           4
        .value_kind:     by_value
      - .actual_access:  read_only
        .address_space:  global
        .offset:         16
        .size:           8
        .value_kind:     global_buffer
      - .actual_access:  read_only
        .address_space:  global
        .offset:         24
        .size:           8
        .value_kind:     global_buffer
      - .actual_access:  read_only
        .address_space:  global
        .offset:         32
        .size:           8
        .value_kind:     global_buffer
      - .address_space:  global
        .offset:         40
        .size:           8
        .value_kind:     global_buffer
      - .actual_access:  read_only
        .address_space:  global
        .offset:         48
        .size:           8
        .value_kind:     global_buffer
      - .actual_access:  read_only
        .address_space:  global
        .offset:         56
        .size:           8
        .value_kind:     global_buffer
    .group_segment_fixed_size: 0
    .kernarg_segment_align: 8
    .kernarg_segment_size: 64
    .language:       OpenCL C
    .language_version:
      - 2
      - 0
    .max_flat_workgroup_size: 256
    .name:           _ZN9rocsparseL19gtsv_LBM_rhs_kernelILj256ELj2ELj2EdEEviiiPKT2_S3_S3_PS1_S3_PKi
    .private_segment_fixed_size: 0
    .sgpr_count:     30
    .sgpr_spill_count: 0
    .symbol:         _ZN9rocsparseL19gtsv_LBM_rhs_kernelILj256ELj2ELj2EdEEviiiPKT2_S3_S3_PS1_S3_PKi.kd
    .uniform_work_group_size: 1
    .uses_dynamic_stack: false
    .vgpr_count:     32
    .vgpr_spill_count: 0
    .wavefront_size: 64
  - .args:
      - .offset:         0
        .size:           4
        .value_kind:     by_value
      - .offset:         4
        .size:           4
        .value_kind:     by_value
      - .offset:         8
        .size:           4
        .value_kind:     by_value
      - .actual_access:  read_only
        .address_space:  global
        .offset:         16
        .size:           8
        .value_kind:     global_buffer
      - .actual_access:  read_only
        .address_space:  global
        .offset:         24
        .size:           8
        .value_kind:     global_buffer
      - .actual_access:  read_only
        .address_space:  global
        .offset:         32
        .size:           8
        .value_kind:     global_buffer
      - .address_space:  global
        .offset:         40
        .size:           8
        .value_kind:     global_buffer
      - .actual_access:  read_only
        .address_space:  global
        .offset:         48
        .size:           8
        .value_kind:     global_buffer
      - .actual_access:  read_only
        .address_space:  global
        .offset:         56
        .size:           8
        .value_kind:     global_buffer
    .group_segment_fixed_size: 0
    .kernarg_segment_align: 8
    .kernarg_segment_size: 64
    .language:       OpenCL C
    .language_version:
      - 2
      - 0
    .max_flat_workgroup_size: 256
    .name:           _ZN9rocsparseL19gtsv_LBM_rhs_kernelILj256ELj2ELj1EdEEviiiPKT2_S3_S3_PS1_S3_PKi
    .private_segment_fixed_size: 0
    .sgpr_count:     28
    .sgpr_spill_count: 0
    .symbol:         _ZN9rocsparseL19gtsv_LBM_rhs_kernelILj256ELj2ELj1EdEEviiiPKT2_S3_S3_PS1_S3_PKi.kd
    .uniform_work_group_size: 1
    .uses_dynamic_stack: false
    .vgpr_count:     31
    .vgpr_spill_count: 0
    .wavefront_size: 64
  - .args:
      - .offset:         0
        .size:           4
        .value_kind:     by_value
      - .offset:         4
        .size:           4
        .value_kind:     by_value
      - .offset:         8
        .size:           4
        .value_kind:     by_value
      - .address_space:  global
        .offset:         16
        .size:           8
        .value_kind:     global_buffer
      - .actual_access:  read_only
        .address_space:  global
        .offset:         24
        .size:           8
        .value_kind:     global_buffer
      - .actual_access:  read_only
        .address_space:  global
        .offset:         32
        .size:           8
        .value_kind:     global_buffer
      - .actual_access:  write_only
        .address_space:  global
        .offset:         40
        .size:           8
        .value_kind:     global_buffer
      - .actual_access:  write_only
        .address_space:  global
        .offset:         48
        .size:           8
        .value_kind:     global_buffer
      - .actual_access:  write_only
        .address_space:  global
        .offset:         56
        .size:           8
        .value_kind:     global_buffer
      - .actual_access:  write_only
        .address_space:  global
        .offset:         64
        .size:           8
        .value_kind:     global_buffer
      - .actual_access:  write_only
        .address_space:  global
        .offset:         72
        .size:           8
        .value_kind:     global_buffer
      - .offset:         80
        .size:           4
        .value_kind:     hidden_block_count_x
      - .offset:         84
        .size:           4
        .value_kind:     hidden_block_count_y
      - .offset:         88
        .size:           4
        .value_kind:     hidden_block_count_z
      - .offset:         92
        .size:           2
        .value_kind:     hidden_group_size_x
      - .offset:         94
        .size:           2
        .value_kind:     hidden_group_size_y
      - .offset:         96
        .size:           2
        .value_kind:     hidden_group_size_z
      - .offset:         98
        .size:           2
        .value_kind:     hidden_remainder_x
      - .offset:         100
        .size:           2
        .value_kind:     hidden_remainder_y
      - .offset:         102
        .size:           2
        .value_kind:     hidden_remainder_z
      - .offset:         120
        .size:           8
        .value_kind:     hidden_global_offset_x
      - .offset:         128
        .size:           8
        .value_kind:     hidden_global_offset_y
      - .offset:         136
        .size:           8
        .value_kind:     hidden_global_offset_z
      - .offset:         144
        .size:           2
        .value_kind:     hidden_grid_dims
    .group_segment_fixed_size: 12288
    .kernarg_segment_align: 8
    .kernarg_segment_size: 336
    .language:       OpenCL C
    .language_version:
      - 2
      - 0
    .max_flat_workgroup_size: 256
    .name:           _ZN9rocsparseL29gtsv_spike_block_level_kernelILj256ELj2EdEEviiiPT1_PKS1_S4_S2_S2_S2_S2_S2_
    .private_segment_fixed_size: 0
    .sgpr_count:     28
    .sgpr_spill_count: 0
    .symbol:         _ZN9rocsparseL29gtsv_spike_block_level_kernelILj256ELj2EdEEviiiPT1_PKS1_S4_S2_S2_S2_S2_S2_.kd
    .uniform_work_group_size: 1
    .uses_dynamic_stack: false
    .vgpr_count:     43
    .vgpr_spill_count: 0
    .wavefront_size: 64
  - .args:
      - .offset:         0
        .size:           4
        .value_kind:     by_value
      - .offset:         4
        .size:           4
        .value_kind:     by_value
      - .offset:         8
        .size:           4
        .value_kind:     by_value
      - .address_space:  global
        .offset:         16
        .size:           8
        .value_kind:     global_buffer
      - .actual_access:  read_only
        .address_space:  global
        .offset:         24
        .size:           8
        .value_kind:     global_buffer
      - .actual_access:  read_only
        .address_space:  global
        .offset:         32
        .size:           8
        .value_kind:     global_buffer
    .group_segment_fixed_size: 96
    .kernarg_segment_align: 8
    .kernarg_segment_size: 40
    .language:       OpenCL C
    .language_version:
      - 2
      - 0
    .max_flat_workgroup_size: 2
    .name:           _ZN9rocsparseL34gtsv_solve_spike_grid_level_kernelILj2EdEEviiiPT0_PKS1_S4_
    .private_segment_fixed_size: 0
    .sgpr_count:     14
    .sgpr_spill_count: 0
    .symbol:         _ZN9rocsparseL34gtsv_solve_spike_grid_level_kernelILj2EdEEviiiPT0_PKS1_S4_.kd
    .uniform_work_group_size: 1
    .uses_dynamic_stack: false
    .vgpr_count:     39
    .vgpr_spill_count: 0
    .wavefront_size: 64
  - .args:
      - .offset:         0
        .size:           4
        .value_kind:     by_value
      - .offset:         4
        .size:           4
        .value_kind:     by_value
      - .offset:         8
        .size:           4
        .value_kind:     by_value
      - .address_space:  global
        .offset:         16
        .size:           8
        .value_kind:     global_buffer
      - .actual_access:  read_only
        .address_space:  global
        .offset:         24
        .size:           8
        .value_kind:     global_buffer
      - .actual_access:  read_only
        .address_space:  global
        .offset:         32
        .size:           8
        .value_kind:     global_buffer
    .group_segment_fixed_size: 192
    .kernarg_segment_align: 8
    .kernarg_segment_size: 40
    .language:       OpenCL C
    .language_version:
      - 2
      - 0
    .max_flat_workgroup_size: 4
    .name:           _ZN9rocsparseL34gtsv_solve_spike_grid_level_kernelILj4EdEEviiiPT0_PKS1_S4_
    .private_segment_fixed_size: 0
    .sgpr_count:     14
    .sgpr_spill_count: 0
    .symbol:         _ZN9rocsparseL34gtsv_solve_spike_grid_level_kernelILj4EdEEviiiPT0_PKS1_S4_.kd
    .uniform_work_group_size: 1
    .uses_dynamic_stack: false
    .vgpr_count:     41
    .vgpr_spill_count: 0
    .wavefront_size: 64
  - .args:
      - .offset:         0
        .size:           4
        .value_kind:     by_value
      - .offset:         4
        .size:           4
        .value_kind:     by_value
      - .offset:         8
        .size:           4
        .value_kind:     by_value
      - .address_space:  global
        .offset:         16
        .size:           8
        .value_kind:     global_buffer
      - .actual_access:  read_only
        .address_space:  global
        .offset:         24
        .size:           8
        .value_kind:     global_buffer
      - .actual_access:  read_only
        .address_space:  global
        .offset:         32
        .size:           8
        .value_kind:     global_buffer
    .group_segment_fixed_size: 384
    .kernarg_segment_align: 8
    .kernarg_segment_size: 40
    .language:       OpenCL C
    .language_version:
      - 2
      - 0
    .max_flat_workgroup_size: 8
    .name:           _ZN9rocsparseL34gtsv_solve_spike_grid_level_kernelILj8EdEEviiiPT0_PKS1_S4_
    .private_segment_fixed_size: 0
    .sgpr_count:     14
    .sgpr_spill_count: 0
    .symbol:         _ZN9rocsparseL34gtsv_solve_spike_grid_level_kernelILj8EdEEviiiPT0_PKS1_S4_.kd
    .uniform_work_group_size: 1
    .uses_dynamic_stack: false
    .vgpr_count:     42
    .vgpr_spill_count: 0
    .wavefront_size: 64
  - .args:
      - .offset:         0
        .size:           4
        .value_kind:     by_value
      - .offset:         4
        .size:           4
        .value_kind:     by_value
      - .offset:         8
        .size:           4
        .value_kind:     by_value
      - .address_space:  global
        .offset:         16
        .size:           8
        .value_kind:     global_buffer
      - .actual_access:  read_only
        .address_space:  global
        .offset:         24
        .size:           8
        .value_kind:     global_buffer
      - .actual_access:  read_only
        .address_space:  global
        .offset:         32
        .size:           8
        .value_kind:     global_buffer
    .group_segment_fixed_size: 768
    .kernarg_segment_align: 8
    .kernarg_segment_size: 40
    .language:       OpenCL C
    .language_version:
      - 2
      - 0
    .max_flat_workgroup_size: 16
    .name:           _ZN9rocsparseL34gtsv_solve_spike_grid_level_kernelILj16EdEEviiiPT0_PKS1_S4_
    .private_segment_fixed_size: 0
    .sgpr_count:     14
    .sgpr_spill_count: 0
    .symbol:         _ZN9rocsparseL34gtsv_solve_spike_grid_level_kernelILj16EdEEviiiPT0_PKS1_S4_.kd
    .uniform_work_group_size: 1
    .uses_dynamic_stack: false
    .vgpr_count:     42
    .vgpr_spill_count: 0
    .wavefront_size: 64
  - .args:
      - .offset:         0
        .size:           4
        .value_kind:     by_value
      - .offset:         4
        .size:           4
        .value_kind:     by_value
      - .offset:         8
        .size:           4
        .value_kind:     by_value
      - .address_space:  global
        .offset:         16
        .size:           8
        .value_kind:     global_buffer
      - .actual_access:  read_only
        .address_space:  global
        .offset:         24
        .size:           8
        .value_kind:     global_buffer
      - .actual_access:  read_only
        .address_space:  global
        .offset:         32
        .size:           8
        .value_kind:     global_buffer
    .group_segment_fixed_size: 1536
    .kernarg_segment_align: 8
    .kernarg_segment_size: 40
    .language:       OpenCL C
    .language_version:
      - 2
      - 0
    .max_flat_workgroup_size: 32
    .name:           _ZN9rocsparseL34gtsv_solve_spike_grid_level_kernelILj32EdEEviiiPT0_PKS1_S4_
    .private_segment_fixed_size: 0
    .sgpr_count:     16
    .sgpr_spill_count: 0
    .symbol:         _ZN9rocsparseL34gtsv_solve_spike_grid_level_kernelILj32EdEEviiiPT0_PKS1_S4_.kd
    .uniform_work_group_size: 1
    .uses_dynamic_stack: false
    .vgpr_count:     42
    .vgpr_spill_count: 0
    .wavefront_size: 64
  - .args:
      - .offset:         0
        .size:           4
        .value_kind:     by_value
      - .offset:         4
        .size:           4
        .value_kind:     by_value
      - .offset:         8
        .size:           4
        .value_kind:     by_value
      - .address_space:  global
        .offset:         16
        .size:           8
        .value_kind:     global_buffer
      - .actual_access:  read_only
        .address_space:  global
        .offset:         24
        .size:           8
        .value_kind:     global_buffer
      - .actual_access:  read_only
        .address_space:  global
        .offset:         32
        .size:           8
        .value_kind:     global_buffer
    .group_segment_fixed_size: 3072
    .kernarg_segment_align: 8
    .kernarg_segment_size: 40
    .language:       OpenCL C
    .language_version:
      - 2
      - 0
    .max_flat_workgroup_size: 64
    .name:           _ZN9rocsparseL34gtsv_solve_spike_grid_level_kernelILj64EdEEviiiPT0_PKS1_S4_
    .private_segment_fixed_size: 0
    .sgpr_count:     18
    .sgpr_spill_count: 0
    .symbol:         _ZN9rocsparseL34gtsv_solve_spike_grid_level_kernelILj64EdEEviiiPT0_PKS1_S4_.kd
    .uniform_work_group_size: 1
    .uses_dynamic_stack: false
    .vgpr_count:     42
    .vgpr_spill_count: 0
    .wavefront_size: 64
  - .args:
      - .offset:         0
        .size:           4
        .value_kind:     by_value
      - .offset:         4
        .size:           4
        .value_kind:     by_value
      - .offset:         8
        .size:           4
        .value_kind:     by_value
      - .address_space:  global
        .offset:         16
        .size:           8
        .value_kind:     global_buffer
      - .actual_access:  read_only
        .address_space:  global
        .offset:         24
        .size:           8
        .value_kind:     global_buffer
      - .actual_access:  read_only
        .address_space:  global
        .offset:         32
        .size:           8
        .value_kind:     global_buffer
    .group_segment_fixed_size: 6144
    .kernarg_segment_align: 8
    .kernarg_segment_size: 40
    .language:       OpenCL C
    .language_version:
      - 2
      - 0
    .max_flat_workgroup_size: 128
    .name:           _ZN9rocsparseL34gtsv_solve_spike_grid_level_kernelILj128EdEEviiiPT0_PKS1_S4_
    .private_segment_fixed_size: 0
    .sgpr_count:     20
    .sgpr_spill_count: 0
    .symbol:         _ZN9rocsparseL34gtsv_solve_spike_grid_level_kernelILj128EdEEviiiPT0_PKS1_S4_.kd
    .uniform_work_group_size: 1
    .uses_dynamic_stack: false
    .vgpr_count:     44
    .vgpr_spill_count: 0
    .wavefront_size: 64
  - .args:
      - .offset:         0
        .size:           4
        .value_kind:     by_value
      - .offset:         4
        .size:           4
        .value_kind:     by_value
      - .offset:         8
        .size:           4
        .value_kind:     by_value
      - .address_space:  global
        .offset:         16
        .size:           8
        .value_kind:     global_buffer
      - .actual_access:  read_only
        .address_space:  global
        .offset:         24
        .size:           8
        .value_kind:     global_buffer
      - .actual_access:  read_only
        .address_space:  global
        .offset:         32
        .size:           8
        .value_kind:     global_buffer
    .group_segment_fixed_size: 12288
    .kernarg_segment_align: 8
    .kernarg_segment_size: 40
    .language:       OpenCL C
    .language_version:
      - 2
      - 0
    .max_flat_workgroup_size: 256
    .name:           _ZN9rocsparseL34gtsv_solve_spike_grid_level_kernelILj256EdEEviiiPT0_PKS1_S4_
    .private_segment_fixed_size: 0
    .sgpr_count:     22
    .sgpr_spill_count: 0
    .symbol:         _ZN9rocsparseL34gtsv_solve_spike_grid_level_kernelILj256EdEEviiiPT0_PKS1_S4_.kd
    .uniform_work_group_size: 1
    .uses_dynamic_stack: false
    .vgpr_count:     46
    .vgpr_spill_count: 0
    .wavefront_size: 64
  - .args:
      - .offset:         0
        .size:           4
        .value_kind:     by_value
      - .offset:         4
        .size:           4
        .value_kind:     by_value
      - .offset:         8
        .size:           4
        .value_kind:     by_value
      - .address_space:  global
        .offset:         16
        .size:           8
        .value_kind:     global_buffer
      - .actual_access:  read_only
        .address_space:  global
        .offset:         24
        .size:           8
        .value_kind:     global_buffer
      - .actual_access:  read_only
        .address_space:  global
        .offset:         32
        .size:           8
        .value_kind:     global_buffer
    .group_segment_fixed_size: 24576
    .kernarg_segment_align: 8
    .kernarg_segment_size: 40
    .language:       OpenCL C
    .language_version:
      - 2
      - 0
    .max_flat_workgroup_size: 512
    .name:           _ZN9rocsparseL34gtsv_solve_spike_grid_level_kernelILj512EdEEviiiPT0_PKS1_S4_
    .private_segment_fixed_size: 0
    .sgpr_count:     24
    .sgpr_spill_count: 0
    .symbol:         _ZN9rocsparseL34gtsv_solve_spike_grid_level_kernelILj512EdEEviiiPT0_PKS1_S4_.kd
    .uniform_work_group_size: 1
    .uses_dynamic_stack: false
    .vgpr_count:     46
    .vgpr_spill_count: 0
    .wavefront_size: 64
  - .args:
      - .offset:         0
        .size:           4
        .value_kind:     by_value
      - .offset:         4
        .size:           4
        .value_kind:     by_value
      - .offset:         8
        .size:           4
        .value_kind:     by_value
      - .address_space:  global
        .offset:         16
        .size:           8
        .value_kind:     global_buffer
      - .actual_access:  read_only
        .address_space:  global
        .offset:         24
        .size:           8
        .value_kind:     global_buffer
      - .actual_access:  read_only
        .address_space:  global
        .offset:         32
        .size:           8
        .value_kind:     global_buffer
      - .actual_access:  read_only
        .address_space:  global
        .offset:         40
        .size:           8
        .value_kind:     global_buffer
      - .offset:         48
        .size:           4
        .value_kind:     hidden_block_count_x
      - .offset:         52
        .size:           4
        .value_kind:     hidden_block_count_y
      - .offset:         56
        .size:           4
        .value_kind:     hidden_block_count_z
      - .offset:         60
        .size:           2
        .value_kind:     hidden_group_size_x
      - .offset:         62
        .size:           2
        .value_kind:     hidden_group_size_y
      - .offset:         64
        .size:           2
        .value_kind:     hidden_group_size_z
      - .offset:         66
        .size:           2
        .value_kind:     hidden_remainder_x
      - .offset:         68
        .size:           2
        .value_kind:     hidden_remainder_y
      - .offset:         70
        .size:           2
        .value_kind:     hidden_remainder_z
      - .offset:         88
        .size:           8
        .value_kind:     hidden_global_offset_x
      - .offset:         96
        .size:           8
        .value_kind:     hidden_global_offset_y
      - .offset:         104
        .size:           8
        .value_kind:     hidden_global_offset_z
      - .offset:         112
        .size:           2
        .value_kind:     hidden_grid_dims
    .group_segment_fixed_size: 12304
    .kernarg_segment_align: 8
    .kernarg_segment_size: 304
    .language:       OpenCL C
    .language_version:
      - 2
      - 0
    .max_flat_workgroup_size: 256
    .name:           _ZN9rocsparseL33gtsv_solve_spike_propagate_kernelILj256ELj2EdEEviiiPT1_PKS1_S4_S4_
    .private_segment_fixed_size: 0
    .sgpr_count:     22
    .sgpr_spill_count: 0
    .symbol:         _ZN9rocsparseL33gtsv_solve_spike_propagate_kernelILj256ELj2EdEEviiiPT1_PKS1_S4_S4_.kd
    .uniform_work_group_size: 1
    .uses_dynamic_stack: false
    .vgpr_count:     18
    .vgpr_spill_count: 0
    .wavefront_size: 64
  - .args:
      - .offset:         0
        .size:           4
        .value_kind:     by_value
      - .offset:         4
        .size:           4
        .value_kind:     by_value
      - .offset:         8
        .size:           4
        .value_kind:     by_value
      - .actual_access:  read_only
        .address_space:  global
        .offset:         16
        .size:           8
        .value_kind:     global_buffer
      - .actual_access:  read_only
        .address_space:  global
        .offset:         24
        .size:           8
        .value_kind:     global_buffer
      - .actual_access:  read_only
        .address_space:  global
        .offset:         32
        .size:           8
        .value_kind:     global_buffer
    .group_segment_fixed_size: 0
    .kernarg_segment_align: 8
    .kernarg_segment_size: 40
    .language:       OpenCL C
    .language_version:
      - 2
      - 0
    .max_flat_workgroup_size: 256
    .name:           _ZN9rocsparseL39gtsv_spike_backward_substitution_kernelILj256ELj2EdEEviiiPT1_PKS1_S4_
    .private_segment_fixed_size: 0
    .sgpr_count:     4
    .sgpr_spill_count: 0
    .symbol:         _ZN9rocsparseL39gtsv_spike_backward_substitution_kernelILj256ELj2EdEEviiiPT1_PKS1_S4_.kd
    .uniform_work_group_size: 1
    .uses_dynamic_stack: false
    .vgpr_count:     0
    .vgpr_spill_count: 0
    .wavefront_size: 64
  - .args:
      - .offset:         0
        .size:           4
        .value_kind:     by_value
      - .offset:         4
        .size:           4
        .value_kind:     by_value
      - .offset:         8
        .size:           4
        .value_kind:     by_value
      - .actual_access:  read_only
        .address_space:  global
        .offset:         16
        .size:           8
        .value_kind:     global_buffer
      - .actual_access:  write_only
        .address_space:  global
        .offset:         24
        .size:           8
        .value_kind:     global_buffer
    .group_segment_fixed_size: 0
    .kernarg_segment_align: 8
    .kernarg_segment_size: 32
    .language:       OpenCL C
    .language_version:
      - 2
      - 0
    .max_flat_workgroup_size: 256
    .name:           _ZN9rocsparseL32gtsv_transpose_back_array_kernelILj256ELj2EdEEviiiPKT1_PS1_
    .private_segment_fixed_size: 0
    .sgpr_count:     16
    .sgpr_spill_count: 0
    .symbol:         _ZN9rocsparseL32gtsv_transpose_back_array_kernelILj256ELj2EdEEviiiPKT1_PS1_.kd
    .uniform_work_group_size: 1
    .uses_dynamic_stack: false
    .vgpr_count:     5
    .vgpr_spill_count: 0
    .wavefront_size: 64
  - .args:
      - .offset:         0
        .size:           4
        .value_kind:     by_value
      - .offset:         4
        .size:           4
        .value_kind:     by_value
      - .offset:         8
        .size:           4
        .value_kind:     by_value
      - .actual_access:  read_only
        .address_space:  global
        .offset:         16
        .size:           8
        .value_kind:     global_buffer
      - .actual_access:  write_only
        .address_space:  global
        .offset:         24
        .size:           8
        .value_kind:     global_buffer
      - .offset:         32
        .size:           8
        .value_kind:     by_value
    .group_segment_fixed_size: 2048
    .kernarg_segment_align: 8
    .kernarg_segment_size: 40
    .language:       OpenCL C
    .language_version:
      - 2
      - 0
    .max_flat_workgroup_size: 256
    .name:           _ZN9rocsparseL42gtsv_transpose_and_pad_array_shared_kernelILj256ELj4EdEEviiiPKT1_PS1_S1_
    .private_segment_fixed_size: 0
    .sgpr_count:     16
    .sgpr_spill_count: 0
    .symbol:         _ZN9rocsparseL42gtsv_transpose_and_pad_array_shared_kernelILj256ELj4EdEEviiiPKT1_PS1_S1_.kd
    .uniform_work_group_size: 1
    .uses_dynamic_stack: false
    .vgpr_count:     5
    .vgpr_spill_count: 0
    .wavefront_size: 64
  - .args:
      - .offset:         0
        .size:           4
        .value_kind:     by_value
      - .offset:         4
        .size:           4
        .value_kind:     by_value
      - .offset:         8
        .size:           4
        .value_kind:     by_value
      - .actual_access:  read_only
        .address_space:  global
        .offset:         16
        .size:           8
        .value_kind:     global_buffer
      - .actual_access:  read_only
        .address_space:  global
        .offset:         24
        .size:           8
        .value_kind:     global_buffer
      - .actual_access:  read_only
        .address_space:  global
        .offset:         32
        .size:           8
        .value_kind:     global_buffer
      - .address_space:  global
        .offset:         40
        .size:           8
        .value_kind:     global_buffer
      - .address_space:  global
        .offset:         48
        .size:           8
        .value_kind:     global_buffer
      - .address_space:  global
        .offset:         56
        .size:           8
        .value_kind:     global_buffer
      - .address_space:  global
        .offset:         64
        .size:           8
        .value_kind:     global_buffer
    .group_segment_fixed_size: 0
    .kernarg_segment_align: 8
    .kernarg_segment_size: 72
    .language:       OpenCL C
    .language_version:
      - 2
      - 0
    .max_flat_workgroup_size: 256
    .name:           _ZN9rocsparseL18gtsv_LBM_wv_kernelILj256ELj4EdEEviiiPKT1_S3_S3_PS1_S4_S4_Pi
    .private_segment_fixed_size: 0
    .sgpr_count:     34
    .sgpr_spill_count: 0
    .symbol:         _ZN9rocsparseL18gtsv_LBM_wv_kernelILj256ELj4EdEEviiiPKT1_S3_S3_PS1_S4_S4_Pi.kd
    .uniform_work_group_size: 1
    .uses_dynamic_stack: false
    .vgpr_count:     56
    .vgpr_spill_count: 0
    .wavefront_size: 64
  - .args:
      - .offset:         0
        .size:           4
        .value_kind:     by_value
      - .offset:         4
        .size:           4
        .value_kind:     by_value
      - .offset:         8
        .size:           4
        .value_kind:     by_value
      - .actual_access:  read_only
        .address_space:  global
        .offset:         16
        .size:           8
        .value_kind:     global_buffer
      - .actual_access:  read_only
        .address_space:  global
        .offset:         24
        .size:           8
        .value_kind:     global_buffer
      - .actual_access:  read_only
        .address_space:  global
        .offset:         32
        .size:           8
        .value_kind:     global_buffer
      - .address_space:  global
        .offset:         40
        .size:           8
        .value_kind:     global_buffer
      - .actual_access:  read_only
        .address_space:  global
        .offset:         48
        .size:           8
        .value_kind:     global_buffer
      - .actual_access:  read_only
        .address_space:  global
        .offset:         56
        .size:           8
        .value_kind:     global_buffer
    .group_segment_fixed_size: 0
    .kernarg_segment_align: 8
    .kernarg_segment_size: 64
    .language:       OpenCL C
    .language_version:
      - 2
      - 0
    .max_flat_workgroup_size: 256
    .name:           _ZN9rocsparseL19gtsv_LBM_rhs_kernelILj256ELj4ELj8EdEEviiiPKT2_S3_S3_PS1_S3_PKi
    .private_segment_fixed_size: 0
    .sgpr_count:     40
    .sgpr_spill_count: 0
    .symbol:         _ZN9rocsparseL19gtsv_LBM_rhs_kernelILj256ELj4ELj8EdEEviiiPKT2_S3_S3_PS1_S3_PKi.kd
    .uniform_work_group_size: 1
    .uses_dynamic_stack: false
    .vgpr_count:     117
    .vgpr_spill_count: 0
    .wavefront_size: 64
  - .args:
      - .offset:         0
        .size:           4
        .value_kind:     by_value
      - .offset:         4
        .size:           4
        .value_kind:     by_value
      - .offset:         8
        .size:           4
        .value_kind:     by_value
      - .actual_access:  read_only
        .address_space:  global
        .offset:         16
        .size:           8
        .value_kind:     global_buffer
      - .actual_access:  read_only
        .address_space:  global
        .offset:         24
        .size:           8
        .value_kind:     global_buffer
      - .actual_access:  read_only
        .address_space:  global
        .offset:         32
        .size:           8
        .value_kind:     global_buffer
      - .address_space:  global
        .offset:         40
        .size:           8
        .value_kind:     global_buffer
      - .actual_access:  read_only
        .address_space:  global
        .offset:         48
        .size:           8
        .value_kind:     global_buffer
      - .actual_access:  read_only
        .address_space:  global
        .offset:         56
        .size:           8
        .value_kind:     global_buffer
    .group_segment_fixed_size: 0
    .kernarg_segment_align: 8
    .kernarg_segment_size: 64
    .language:       OpenCL C
    .language_version:
      - 2
      - 0
    .max_flat_workgroup_size: 256
    .name:           _ZN9rocsparseL19gtsv_LBM_rhs_kernelILj256ELj4ELj4EdEEviiiPKT2_S3_S3_PS1_S3_PKi
    .private_segment_fixed_size: 0
    .sgpr_count:     35
    .sgpr_spill_count: 0
    .symbol:         _ZN9rocsparseL19gtsv_LBM_rhs_kernelILj256ELj4ELj4EdEEviiiPKT2_S3_S3_PS1_S3_PKi.kd
    .uniform_work_group_size: 1
    .uses_dynamic_stack: false
    .vgpr_count:     55
    .vgpr_spill_count: 0
    .wavefront_size: 64
  - .args:
      - .offset:         0
        .size:           4
        .value_kind:     by_value
      - .offset:         4
        .size:           4
        .value_kind:     by_value
      - .offset:         8
        .size:           4
        .value_kind:     by_value
      - .actual_access:  read_only
        .address_space:  global
        .offset:         16
        .size:           8
        .value_kind:     global_buffer
      - .actual_access:  read_only
        .address_space:  global
        .offset:         24
        .size:           8
        .value_kind:     global_buffer
      - .actual_access:  read_only
        .address_space:  global
        .offset:         32
        .size:           8
        .value_kind:     global_buffer
      - .address_space:  global
        .offset:         40
        .size:           8
        .value_kind:     global_buffer
      - .actual_access:  read_only
        .address_space:  global
        .offset:         48
        .size:           8
        .value_kind:     global_buffer
      - .actual_access:  read_only
        .address_space:  global
        .offset:         56
        .size:           8
        .value_kind:     global_buffer
    .group_segment_fixed_size: 0
    .kernarg_segment_align: 8
    .kernarg_segment_size: 64
    .language:       OpenCL C
    .language_version:
      - 2
      - 0
    .max_flat_workgroup_size: 256
    .name:           _ZN9rocsparseL19gtsv_LBM_rhs_kernelILj256ELj4ELj2EdEEviiiPKT2_S3_S3_PS1_S3_PKi
    .private_segment_fixed_size: 0
    .sgpr_count:     33
    .sgpr_spill_count: 0
    .symbol:         _ZN9rocsparseL19gtsv_LBM_rhs_kernelILj256ELj4ELj2EdEEviiiPKT2_S3_S3_PS1_S3_PKi.kd
    .uniform_work_group_size: 1
    .uses_dynamic_stack: false
    .vgpr_count:     39
    .vgpr_spill_count: 0
    .wavefront_size: 64
  - .args:
      - .offset:         0
        .size:           4
        .value_kind:     by_value
      - .offset:         4
        .size:           4
        .value_kind:     by_value
      - .offset:         8
        .size:           4
        .value_kind:     by_value
      - .actual_access:  read_only
        .address_space:  global
        .offset:         16
        .size:           8
        .value_kind:     global_buffer
      - .actual_access:  read_only
        .address_space:  global
        .offset:         24
        .size:           8
        .value_kind:     global_buffer
      - .actual_access:  read_only
        .address_space:  global
        .offset:         32
        .size:           8
        .value_kind:     global_buffer
      - .address_space:  global
        .offset:         40
        .size:           8
        .value_kind:     global_buffer
      - .actual_access:  read_only
        .address_space:  global
        .offset:         48
        .size:           8
        .value_kind:     global_buffer
      - .actual_access:  read_only
        .address_space:  global
        .offset:         56
        .size:           8
        .value_kind:     global_buffer
    .group_segment_fixed_size: 0
    .kernarg_segment_align: 8
    .kernarg_segment_size: 64
    .language:       OpenCL C
    .language_version:
      - 2
      - 0
    .max_flat_workgroup_size: 256
    .name:           _ZN9rocsparseL19gtsv_LBM_rhs_kernelILj256ELj4ELj1EdEEviiiPKT2_S3_S3_PS1_S3_PKi
    .private_segment_fixed_size: 0
    .sgpr_count:     31
    .sgpr_spill_count: 0
    .symbol:         _ZN9rocsparseL19gtsv_LBM_rhs_kernelILj256ELj4ELj1EdEEviiiPKT2_S3_S3_PS1_S3_PKi.kd
    .uniform_work_group_size: 1
    .uses_dynamic_stack: false
    .vgpr_count:     34
    .vgpr_spill_count: 0
    .wavefront_size: 64
  - .args:
      - .offset:         0
        .size:           4
        .value_kind:     by_value
      - .offset:         4
        .size:           4
        .value_kind:     by_value
      - .offset:         8
        .size:           4
        .value_kind:     by_value
      - .address_space:  global
        .offset:         16
        .size:           8
        .value_kind:     global_buffer
      - .actual_access:  read_only
        .address_space:  global
        .offset:         24
        .size:           8
        .value_kind:     global_buffer
      - .actual_access:  read_only
        .address_space:  global
        .offset:         32
        .size:           8
        .value_kind:     global_buffer
      - .actual_access:  write_only
        .address_space:  global
        .offset:         40
        .size:           8
        .value_kind:     global_buffer
      - .actual_access:  write_only
        .address_space:  global
        .offset:         48
        .size:           8
        .value_kind:     global_buffer
      - .actual_access:  write_only
        .address_space:  global
        .offset:         56
        .size:           8
        .value_kind:     global_buffer
      - .actual_access:  write_only
        .address_space:  global
        .offset:         64
        .size:           8
        .value_kind:     global_buffer
      - .actual_access:  write_only
        .address_space:  global
        .offset:         72
        .size:           8
        .value_kind:     global_buffer
      - .offset:         80
        .size:           4
        .value_kind:     hidden_block_count_x
      - .offset:         84
        .size:           4
        .value_kind:     hidden_block_count_y
      - .offset:         88
        .size:           4
        .value_kind:     hidden_block_count_z
      - .offset:         92
        .size:           2
        .value_kind:     hidden_group_size_x
      - .offset:         94
        .size:           2
        .value_kind:     hidden_group_size_y
      - .offset:         96
        .size:           2
        .value_kind:     hidden_group_size_z
      - .offset:         98
        .size:           2
        .value_kind:     hidden_remainder_x
      - .offset:         100
        .size:           2
        .value_kind:     hidden_remainder_y
      - .offset:         102
        .size:           2
        .value_kind:     hidden_remainder_z
      - .offset:         120
        .size:           8
        .value_kind:     hidden_global_offset_x
      - .offset:         128
        .size:           8
        .value_kind:     hidden_global_offset_y
      - .offset:         136
        .size:           8
        .value_kind:     hidden_global_offset_z
      - .offset:         144
        .size:           2
        .value_kind:     hidden_grid_dims
    .group_segment_fixed_size: 12288
    .kernarg_segment_align: 8
    .kernarg_segment_size: 336
    .language:       OpenCL C
    .language_version:
      - 2
      - 0
    .max_flat_workgroup_size: 256
    .name:           _ZN9rocsparseL29gtsv_spike_block_level_kernelILj256ELj4EdEEviiiPT1_PKS1_S4_S2_S2_S2_S2_S2_
    .private_segment_fixed_size: 0
    .sgpr_count:     28
    .sgpr_spill_count: 0
    .symbol:         _ZN9rocsparseL29gtsv_spike_block_level_kernelILj256ELj4EdEEviiiPT1_PKS1_S4_S2_S2_S2_S2_S2_.kd
    .uniform_work_group_size: 1
    .uses_dynamic_stack: false
    .vgpr_count:     42
    .vgpr_spill_count: 0
    .wavefront_size: 64
  - .args:
      - .offset:         0
        .size:           4
        .value_kind:     by_value
      - .offset:         4
        .size:           4
        .value_kind:     by_value
      - .offset:         8
        .size:           4
        .value_kind:     by_value
      - .address_space:  global
        .offset:         16
        .size:           8
        .value_kind:     global_buffer
      - .actual_access:  read_only
        .address_space:  global
        .offset:         24
        .size:           8
        .value_kind:     global_buffer
      - .actual_access:  read_only
        .address_space:  global
        .offset:         32
        .size:           8
        .value_kind:     global_buffer
      - .actual_access:  read_only
        .address_space:  global
        .offset:         40
        .size:           8
        .value_kind:     global_buffer
      - .offset:         48
        .size:           4
        .value_kind:     hidden_block_count_x
      - .offset:         52
        .size:           4
        .value_kind:     hidden_block_count_y
      - .offset:         56
        .size:           4
        .value_kind:     hidden_block_count_z
      - .offset:         60
        .size:           2
        .value_kind:     hidden_group_size_x
      - .offset:         62
        .size:           2
        .value_kind:     hidden_group_size_y
      - .offset:         64
        .size:           2
        .value_kind:     hidden_group_size_z
      - .offset:         66
        .size:           2
        .value_kind:     hidden_remainder_x
      - .offset:         68
        .size:           2
        .value_kind:     hidden_remainder_y
      - .offset:         70
        .size:           2
        .value_kind:     hidden_remainder_z
      - .offset:         88
        .size:           8
        .value_kind:     hidden_global_offset_x
      - .offset:         96
        .size:           8
        .value_kind:     hidden_global_offset_y
      - .offset:         104
        .size:           8
        .value_kind:     hidden_global_offset_z
      - .offset:         112
        .size:           2
        .value_kind:     hidden_grid_dims
    .group_segment_fixed_size: 12304
    .kernarg_segment_align: 8
    .kernarg_segment_size: 304
    .language:       OpenCL C
    .language_version:
      - 2
      - 0
    .max_flat_workgroup_size: 256
    .name:           _ZN9rocsparseL33gtsv_solve_spike_propagate_kernelILj256ELj4EdEEviiiPT1_PKS1_S4_S4_
    .private_segment_fixed_size: 0
    .sgpr_count:     22
    .sgpr_spill_count: 0
    .symbol:         _ZN9rocsparseL33gtsv_solve_spike_propagate_kernelILj256ELj4EdEEviiiPT1_PKS1_S4_S4_.kd
    .uniform_work_group_size: 1
    .uses_dynamic_stack: false
    .vgpr_count:     17
    .vgpr_spill_count: 0
    .wavefront_size: 64
  - .args:
      - .offset:         0
        .size:           4
        .value_kind:     by_value
      - .offset:         4
        .size:           4
        .value_kind:     by_value
      - .offset:         8
        .size:           4
        .value_kind:     by_value
      - .address_space:  global
        .offset:         16
        .size:           8
        .value_kind:     global_buffer
      - .actual_access:  read_only
        .address_space:  global
        .offset:         24
        .size:           8
        .value_kind:     global_buffer
      - .actual_access:  read_only
        .address_space:  global
        .offset:         32
        .size:           8
        .value_kind:     global_buffer
    .group_segment_fixed_size: 0
    .kernarg_segment_align: 8
    .kernarg_segment_size: 40
    .language:       OpenCL C
    .language_version:
      - 2
      - 0
    .max_flat_workgroup_size: 256
    .name:           _ZN9rocsparseL39gtsv_spike_backward_substitution_kernelILj256ELj4EdEEviiiPT1_PKS1_S4_
    .private_segment_fixed_size: 0
    .sgpr_count:     16
    .sgpr_spill_count: 0
    .symbol:         _ZN9rocsparseL39gtsv_spike_backward_substitution_kernelILj256ELj4EdEEviiiPT1_PKS1_S4_.kd
    .uniform_work_group_size: 1
    .uses_dynamic_stack: false
    .vgpr_count:     17
    .vgpr_spill_count: 0
    .wavefront_size: 64
  - .args:
      - .offset:         0
        .size:           4
        .value_kind:     by_value
      - .offset:         4
        .size:           4
        .value_kind:     by_value
      - .offset:         8
        .size:           4
        .value_kind:     by_value
      - .actual_access:  read_only
        .address_space:  global
        .offset:         16
        .size:           8
        .value_kind:     global_buffer
      - .actual_access:  write_only
        .address_space:  global
        .offset:         24
        .size:           8
        .value_kind:     global_buffer
    .group_segment_fixed_size: 0
    .kernarg_segment_align: 8
    .kernarg_segment_size: 32
    .language:       OpenCL C
    .language_version:
      - 2
      - 0
    .max_flat_workgroup_size: 256
    .name:           _ZN9rocsparseL32gtsv_transpose_back_array_kernelILj256ELj4EdEEviiiPKT1_PS1_
    .private_segment_fixed_size: 0
    .sgpr_count:     16
    .sgpr_spill_count: 0
    .symbol:         _ZN9rocsparseL32gtsv_transpose_back_array_kernelILj256ELj4EdEEviiiPKT1_PS1_.kd
    .uniform_work_group_size: 1
    .uses_dynamic_stack: false
    .vgpr_count:     5
    .vgpr_spill_count: 0
    .wavefront_size: 64
  - .args:
      - .offset:         0
        .size:           4
        .value_kind:     by_value
      - .offset:         4
        .size:           4
        .value_kind:     by_value
      - .offset:         8
        .size:           4
        .value_kind:     by_value
      - .actual_access:  read_only
        .address_space:  global
        .offset:         16
        .size:           8
        .value_kind:     global_buffer
      - .actual_access:  write_only
        .address_space:  global
        .offset:         24
        .size:           8
        .value_kind:     global_buffer
      - .offset:         32
        .size:           8
        .value_kind:     by_value
    .group_segment_fixed_size: 2048
    .kernarg_segment_align: 8
    .kernarg_segment_size: 40
    .language:       OpenCL C
    .language_version:
      - 2
      - 0
    .max_flat_workgroup_size: 256
    .name:           _ZN9rocsparseL42gtsv_transpose_and_pad_array_shared_kernelILj256ELj8EdEEviiiPKT1_PS1_S1_
    .private_segment_fixed_size: 0
    .sgpr_count:     16
    .sgpr_spill_count: 0
    .symbol:         _ZN9rocsparseL42gtsv_transpose_and_pad_array_shared_kernelILj256ELj8EdEEviiiPKT1_PS1_S1_.kd
    .uniform_work_group_size: 1
    .uses_dynamic_stack: false
    .vgpr_count:     5
    .vgpr_spill_count: 0
    .wavefront_size: 64
  - .args:
      - .offset:         0
        .size:           4
        .value_kind:     by_value
      - .offset:         4
        .size:           4
        .value_kind:     by_value
      - .offset:         8
        .size:           4
        .value_kind:     by_value
      - .actual_access:  read_only
        .address_space:  global
        .offset:         16
        .size:           8
        .value_kind:     global_buffer
      - .actual_access:  read_only
        .address_space:  global
        .offset:         24
        .size:           8
        .value_kind:     global_buffer
      - .actual_access:  read_only
        .address_space:  global
        .offset:         32
        .size:           8
        .value_kind:     global_buffer
      - .address_space:  global
        .offset:         40
        .size:           8
        .value_kind:     global_buffer
      - .address_space:  global
        .offset:         48
        .size:           8
        .value_kind:     global_buffer
      - .address_space:  global
        .offset:         56
        .size:           8
        .value_kind:     global_buffer
      - .address_space:  global
        .offset:         64
        .size:           8
        .value_kind:     global_buffer
    .group_segment_fixed_size: 0
    .kernarg_segment_align: 8
    .kernarg_segment_size: 72
    .language:       OpenCL C
    .language_version:
      - 2
      - 0
    .max_flat_workgroup_size: 256
    .name:           _ZN9rocsparseL18gtsv_LBM_wv_kernelILj256ELj8EdEEviiiPKT1_S3_S3_PS1_S4_S4_Pi
    .private_segment_fixed_size: 0
    .sgpr_count:     35
    .sgpr_spill_count: 0
    .symbol:         _ZN9rocsparseL18gtsv_LBM_wv_kernelILj256ELj8EdEEviiiPKT1_S3_S3_PS1_S4_S4_Pi.kd
    .uniform_work_group_size: 1
    .uses_dynamic_stack: false
    .vgpr_count:     53
    .vgpr_spill_count: 0
    .wavefront_size: 64
  - .args:
      - .offset:         0
        .size:           4
        .value_kind:     by_value
      - .offset:         4
        .size:           4
        .value_kind:     by_value
      - .offset:         8
        .size:           4
        .value_kind:     by_value
      - .actual_access:  read_only
        .address_space:  global
        .offset:         16
        .size:           8
        .value_kind:     global_buffer
      - .actual_access:  read_only
        .address_space:  global
        .offset:         24
        .size:           8
        .value_kind:     global_buffer
      - .actual_access:  read_only
        .address_space:  global
        .offset:         32
        .size:           8
        .value_kind:     global_buffer
      - .address_space:  global
        .offset:         40
        .size:           8
        .value_kind:     global_buffer
      - .actual_access:  read_only
        .address_space:  global
        .offset:         48
        .size:           8
        .value_kind:     global_buffer
      - .actual_access:  read_only
        .address_space:  global
        .offset:         56
        .size:           8
        .value_kind:     global_buffer
    .group_segment_fixed_size: 0
    .kernarg_segment_align: 8
    .kernarg_segment_size: 64
    .language:       OpenCL C
    .language_version:
      - 2
      - 0
    .max_flat_workgroup_size: 256
    .name:           _ZN9rocsparseL19gtsv_LBM_rhs_kernelILj256ELj8ELj8EdEEviiiPKT2_S3_S3_PS1_S3_PKi
    .private_segment_fixed_size: 0
    .sgpr_count:     41
    .sgpr_spill_count: 0
    .symbol:         _ZN9rocsparseL19gtsv_LBM_rhs_kernelILj256ELj8ELj8EdEEviiiPKT2_S3_S3_PS1_S3_PKi.kd
    .uniform_work_group_size: 1
    .uses_dynamic_stack: false
    .vgpr_count:     117
    .vgpr_spill_count: 0
    .wavefront_size: 64
  - .args:
      - .offset:         0
        .size:           4
        .value_kind:     by_value
      - .offset:         4
        .size:           4
        .value_kind:     by_value
      - .offset:         8
        .size:           4
        .value_kind:     by_value
      - .actual_access:  read_only
        .address_space:  global
        .offset:         16
        .size:           8
        .value_kind:     global_buffer
      - .actual_access:  read_only
        .address_space:  global
        .offset:         24
        .size:           8
        .value_kind:     global_buffer
      - .actual_access:  read_only
        .address_space:  global
        .offset:         32
        .size:           8
        .value_kind:     global_buffer
      - .address_space:  global
        .offset:         40
        .size:           8
        .value_kind:     global_buffer
      - .actual_access:  read_only
        .address_space:  global
        .offset:         48
        .size:           8
        .value_kind:     global_buffer
      - .actual_access:  read_only
        .address_space:  global
        .offset:         56
        .size:           8
        .value_kind:     global_buffer
    .group_segment_fixed_size: 0
    .kernarg_segment_align: 8
    .kernarg_segment_size: 64
    .language:       OpenCL C
    .language_version:
      - 2
      - 0
    .max_flat_workgroup_size: 256
    .name:           _ZN9rocsparseL19gtsv_LBM_rhs_kernelILj256ELj8ELj4EdEEviiiPKT2_S3_S3_PS1_S3_PKi
    .private_segment_fixed_size: 0
    .sgpr_count:     36
    .sgpr_spill_count: 0
    .symbol:         _ZN9rocsparseL19gtsv_LBM_rhs_kernelILj256ELj8ELj4EdEEviiiPKT2_S3_S3_PS1_S3_PKi.kd
    .uniform_work_group_size: 1
    .uses_dynamic_stack: false
    .vgpr_count:     55
    .vgpr_spill_count: 0
    .wavefront_size: 64
  - .args:
      - .offset:         0
        .size:           4
        .value_kind:     by_value
      - .offset:         4
        .size:           4
        .value_kind:     by_value
      - .offset:         8
        .size:           4
        .value_kind:     by_value
      - .actual_access:  read_only
        .address_space:  global
        .offset:         16
        .size:           8
        .value_kind:     global_buffer
      - .actual_access:  read_only
        .address_space:  global
        .offset:         24
        .size:           8
        .value_kind:     global_buffer
      - .actual_access:  read_only
        .address_space:  global
        .offset:         32
        .size:           8
        .value_kind:     global_buffer
      - .address_space:  global
        .offset:         40
        .size:           8
        .value_kind:     global_buffer
      - .actual_access:  read_only
        .address_space:  global
        .offset:         48
        .size:           8
        .value_kind:     global_buffer
      - .actual_access:  read_only
        .address_space:  global
        .offset:         56
        .size:           8
        .value_kind:     global_buffer
    .group_segment_fixed_size: 0
    .kernarg_segment_align: 8
    .kernarg_segment_size: 64
    .language:       OpenCL C
    .language_version:
      - 2
      - 0
    .max_flat_workgroup_size: 256
    .name:           _ZN9rocsparseL19gtsv_LBM_rhs_kernelILj256ELj8ELj2EdEEviiiPKT2_S3_S3_PS1_S3_PKi
    .private_segment_fixed_size: 0
    .sgpr_count:     34
    .sgpr_spill_count: 0
    .symbol:         _ZN9rocsparseL19gtsv_LBM_rhs_kernelILj256ELj8ELj2EdEEviiiPKT2_S3_S3_PS1_S3_PKi.kd
    .uniform_work_group_size: 1
    .uses_dynamic_stack: false
    .vgpr_count:     39
    .vgpr_spill_count: 0
    .wavefront_size: 64
  - .args:
      - .offset:         0
        .size:           4
        .value_kind:     by_value
      - .offset:         4
        .size:           4
        .value_kind:     by_value
      - .offset:         8
        .size:           4
        .value_kind:     by_value
      - .actual_access:  read_only
        .address_space:  global
        .offset:         16
        .size:           8
        .value_kind:     global_buffer
      - .actual_access:  read_only
        .address_space:  global
        .offset:         24
        .size:           8
        .value_kind:     global_buffer
      - .actual_access:  read_only
        .address_space:  global
        .offset:         32
        .size:           8
        .value_kind:     global_buffer
      - .address_space:  global
        .offset:         40
        .size:           8
        .value_kind:     global_buffer
      - .actual_access:  read_only
        .address_space:  global
        .offset:         48
        .size:           8
        .value_kind:     global_buffer
      - .actual_access:  read_only
        .address_space:  global
        .offset:         56
        .size:           8
        .value_kind:     global_buffer
    .group_segment_fixed_size: 0
    .kernarg_segment_align: 8
    .kernarg_segment_size: 64
    .language:       OpenCL C
    .language_version:
      - 2
      - 0
    .max_flat_workgroup_size: 256
    .name:           _ZN9rocsparseL19gtsv_LBM_rhs_kernelILj256ELj8ELj1EdEEviiiPKT2_S3_S3_PS1_S3_PKi
    .private_segment_fixed_size: 0
    .sgpr_count:     32
    .sgpr_spill_count: 0
    .symbol:         _ZN9rocsparseL19gtsv_LBM_rhs_kernelILj256ELj8ELj1EdEEviiiPKT2_S3_S3_PS1_S3_PKi.kd
    .uniform_work_group_size: 1
    .uses_dynamic_stack: false
    .vgpr_count:     34
    .vgpr_spill_count: 0
    .wavefront_size: 64
  - .args:
      - .offset:         0
        .size:           4
        .value_kind:     by_value
      - .offset:         4
        .size:           4
        .value_kind:     by_value
      - .offset:         8
        .size:           4
        .value_kind:     by_value
      - .address_space:  global
        .offset:         16
        .size:           8
        .value_kind:     global_buffer
      - .actual_access:  read_only
        .address_space:  global
        .offset:         24
        .size:           8
        .value_kind:     global_buffer
      - .actual_access:  read_only
        .address_space:  global
        .offset:         32
        .size:           8
        .value_kind:     global_buffer
      - .actual_access:  write_only
        .address_space:  global
        .offset:         40
        .size:           8
        .value_kind:     global_buffer
      - .actual_access:  write_only
        .address_space:  global
        .offset:         48
        .size:           8
        .value_kind:     global_buffer
      - .actual_access:  write_only
        .address_space:  global
        .offset:         56
        .size:           8
        .value_kind:     global_buffer
      - .actual_access:  write_only
        .address_space:  global
        .offset:         64
        .size:           8
        .value_kind:     global_buffer
      - .actual_access:  write_only
        .address_space:  global
        .offset:         72
        .size:           8
        .value_kind:     global_buffer
      - .offset:         80
        .size:           4
        .value_kind:     hidden_block_count_x
      - .offset:         84
        .size:           4
        .value_kind:     hidden_block_count_y
      - .offset:         88
        .size:           4
        .value_kind:     hidden_block_count_z
      - .offset:         92
        .size:           2
        .value_kind:     hidden_group_size_x
      - .offset:         94
        .size:           2
        .value_kind:     hidden_group_size_y
      - .offset:         96
        .size:           2
        .value_kind:     hidden_group_size_z
      - .offset:         98
        .size:           2
        .value_kind:     hidden_remainder_x
      - .offset:         100
        .size:           2
        .value_kind:     hidden_remainder_y
      - .offset:         102
        .size:           2
        .value_kind:     hidden_remainder_z
      - .offset:         120
        .size:           8
        .value_kind:     hidden_global_offset_x
      - .offset:         128
        .size:           8
        .value_kind:     hidden_global_offset_y
      - .offset:         136
        .size:           8
        .value_kind:     hidden_global_offset_z
      - .offset:         144
        .size:           2
        .value_kind:     hidden_grid_dims
    .group_segment_fixed_size: 12288
    .kernarg_segment_align: 8
    .kernarg_segment_size: 336
    .language:       OpenCL C
    .language_version:
      - 2
      - 0
    .max_flat_workgroup_size: 256
    .name:           _ZN9rocsparseL29gtsv_spike_block_level_kernelILj256ELj8EdEEviiiPT1_PKS1_S4_S2_S2_S2_S2_S2_
    .private_segment_fixed_size: 0
    .sgpr_count:     28
    .sgpr_spill_count: 0
    .symbol:         _ZN9rocsparseL29gtsv_spike_block_level_kernelILj256ELj8EdEEviiiPT1_PKS1_S4_S2_S2_S2_S2_S2_.kd
    .uniform_work_group_size: 1
    .uses_dynamic_stack: false
    .vgpr_count:     42
    .vgpr_spill_count: 0
    .wavefront_size: 64
  - .args:
      - .offset:         0
        .size:           4
        .value_kind:     by_value
      - .offset:         4
        .size:           4
        .value_kind:     by_value
      - .offset:         8
        .size:           4
        .value_kind:     by_value
      - .address_space:  global
        .offset:         16
        .size:           8
        .value_kind:     global_buffer
      - .actual_access:  read_only
        .address_space:  global
        .offset:         24
        .size:           8
        .value_kind:     global_buffer
      - .actual_access:  read_only
        .address_space:  global
        .offset:         32
        .size:           8
        .value_kind:     global_buffer
      - .actual_access:  read_only
        .address_space:  global
        .offset:         40
        .size:           8
        .value_kind:     global_buffer
      - .offset:         48
        .size:           4
        .value_kind:     hidden_block_count_x
      - .offset:         52
        .size:           4
        .value_kind:     hidden_block_count_y
      - .offset:         56
        .size:           4
        .value_kind:     hidden_block_count_z
      - .offset:         60
        .size:           2
        .value_kind:     hidden_group_size_x
      - .offset:         62
        .size:           2
        .value_kind:     hidden_group_size_y
      - .offset:         64
        .size:           2
        .value_kind:     hidden_group_size_z
      - .offset:         66
        .size:           2
        .value_kind:     hidden_remainder_x
      - .offset:         68
        .size:           2
        .value_kind:     hidden_remainder_y
      - .offset:         70
        .size:           2
        .value_kind:     hidden_remainder_z
      - .offset:         88
        .size:           8
        .value_kind:     hidden_global_offset_x
      - .offset:         96
        .size:           8
        .value_kind:     hidden_global_offset_y
      - .offset:         104
        .size:           8
        .value_kind:     hidden_global_offset_z
      - .offset:         112
        .size:           2
        .value_kind:     hidden_grid_dims
    .group_segment_fixed_size: 12304
    .kernarg_segment_align: 8
    .kernarg_segment_size: 304
    .language:       OpenCL C
    .language_version:
      - 2
      - 0
    .max_flat_workgroup_size: 256
    .name:           _ZN9rocsparseL33gtsv_solve_spike_propagate_kernelILj256ELj8EdEEviiiPT1_PKS1_S4_S4_
    .private_segment_fixed_size: 0
    .sgpr_count:     22
    .sgpr_spill_count: 0
    .symbol:         _ZN9rocsparseL33gtsv_solve_spike_propagate_kernelILj256ELj8EdEEviiiPT1_PKS1_S4_S4_.kd
    .uniform_work_group_size: 1
    .uses_dynamic_stack: false
    .vgpr_count:     17
    .vgpr_spill_count: 0
    .wavefront_size: 64
  - .args:
      - .offset:         0
        .size:           4
        .value_kind:     by_value
      - .offset:         4
        .size:           4
        .value_kind:     by_value
      - .offset:         8
        .size:           4
        .value_kind:     by_value
      - .address_space:  global
        .offset:         16
        .size:           8
        .value_kind:     global_buffer
      - .actual_access:  read_only
        .address_space:  global
        .offset:         24
        .size:           8
        .value_kind:     global_buffer
      - .actual_access:  read_only
        .address_space:  global
        .offset:         32
        .size:           8
        .value_kind:     global_buffer
    .group_segment_fixed_size: 0
    .kernarg_segment_align: 8
    .kernarg_segment_size: 40
    .language:       OpenCL C
    .language_version:
      - 2
      - 0
    .max_flat_workgroup_size: 256
    .name:           _ZN9rocsparseL39gtsv_spike_backward_substitution_kernelILj256ELj8EdEEviiiPT1_PKS1_S4_
    .private_segment_fixed_size: 0
    .sgpr_count:     16
    .sgpr_spill_count: 0
    .symbol:         _ZN9rocsparseL39gtsv_spike_backward_substitution_kernelILj256ELj8EdEEviiiPT1_PKS1_S4_.kd
    .uniform_work_group_size: 1
    .uses_dynamic_stack: false
    .vgpr_count:     20
    .vgpr_spill_count: 0
    .wavefront_size: 64
  - .args:
      - .offset:         0
        .size:           4
        .value_kind:     by_value
      - .offset:         4
        .size:           4
        .value_kind:     by_value
      - .offset:         8
        .size:           4
        .value_kind:     by_value
      - .actual_access:  read_only
        .address_space:  global
        .offset:         16
        .size:           8
        .value_kind:     global_buffer
      - .actual_access:  write_only
        .address_space:  global
        .offset:         24
        .size:           8
        .value_kind:     global_buffer
    .group_segment_fixed_size: 0
    .kernarg_segment_align: 8
    .kernarg_segment_size: 32
    .language:       OpenCL C
    .language_version:
      - 2
      - 0
    .max_flat_workgroup_size: 256
    .name:           _ZN9rocsparseL32gtsv_transpose_back_array_kernelILj256ELj8EdEEviiiPKT1_PS1_
    .private_segment_fixed_size: 0
    .sgpr_count:     16
    .sgpr_spill_count: 0
    .symbol:         _ZN9rocsparseL32gtsv_transpose_back_array_kernelILj256ELj8EdEEviiiPKT1_PS1_.kd
    .uniform_work_group_size: 1
    .uses_dynamic_stack: false
    .vgpr_count:     5
    .vgpr_spill_count: 0
    .wavefront_size: 64
  - .args:
      - .offset:         0
        .size:           4
        .value_kind:     by_value
      - .offset:         4
        .size:           4
        .value_kind:     by_value
      - .offset:         8
        .size:           4
        .value_kind:     by_value
      - .actual_access:  read_only
        .address_space:  global
        .offset:         16
        .size:           8
        .value_kind:     global_buffer
      - .actual_access:  write_only
        .address_space:  global
        .offset:         24
        .size:           8
        .value_kind:     global_buffer
      - .offset:         32
        .size:           8
        .value_kind:     by_value
    .group_segment_fixed_size: 2048
    .kernarg_segment_align: 8
    .kernarg_segment_size: 40
    .language:       OpenCL C
    .language_version:
      - 2
      - 0
    .max_flat_workgroup_size: 256
    .name:           _ZN9rocsparseL42gtsv_transpose_and_pad_array_shared_kernelILj256ELj16EdEEviiiPKT1_PS1_S1_
    .private_segment_fixed_size: 0
    .sgpr_count:     16
    .sgpr_spill_count: 0
    .symbol:         _ZN9rocsparseL42gtsv_transpose_and_pad_array_shared_kernelILj256ELj16EdEEviiiPKT1_PS1_S1_.kd
    .uniform_work_group_size: 1
    .uses_dynamic_stack: false
    .vgpr_count:     5
    .vgpr_spill_count: 0
    .wavefront_size: 64
  - .args:
      - .offset:         0
        .size:           4
        .value_kind:     by_value
      - .offset:         4
        .size:           4
        .value_kind:     by_value
      - .offset:         8
        .size:           4
        .value_kind:     by_value
      - .actual_access:  read_only
        .address_space:  global
        .offset:         16
        .size:           8
        .value_kind:     global_buffer
      - .actual_access:  read_only
        .address_space:  global
        .offset:         24
        .size:           8
        .value_kind:     global_buffer
      - .actual_access:  read_only
        .address_space:  global
        .offset:         32
        .size:           8
        .value_kind:     global_buffer
      - .address_space:  global
        .offset:         40
        .size:           8
        .value_kind:     global_buffer
      - .address_space:  global
        .offset:         48
        .size:           8
        .value_kind:     global_buffer
      - .address_space:  global
        .offset:         56
        .size:           8
        .value_kind:     global_buffer
      - .address_space:  global
        .offset:         64
        .size:           8
        .value_kind:     global_buffer
    .group_segment_fixed_size: 0
    .kernarg_segment_align: 8
    .kernarg_segment_size: 72
    .language:       OpenCL C
    .language_version:
      - 2
      - 0
    .max_flat_workgroup_size: 256
    .name:           _ZN9rocsparseL18gtsv_LBM_wv_kernelILj256ELj16EdEEviiiPKT1_S3_S3_PS1_S4_S4_Pi
    .private_segment_fixed_size: 0
    .sgpr_count:     35
    .sgpr_spill_count: 0
    .symbol:         _ZN9rocsparseL18gtsv_LBM_wv_kernelILj256ELj16EdEEviiiPKT1_S3_S3_PS1_S4_S4_Pi.kd
    .uniform_work_group_size: 1
    .uses_dynamic_stack: false
    .vgpr_count:     56
    .vgpr_spill_count: 0
    .wavefront_size: 64
  - .args:
      - .offset:         0
        .size:           4
        .value_kind:     by_value
      - .offset:         4
        .size:           4
        .value_kind:     by_value
      - .offset:         8
        .size:           4
        .value_kind:     by_value
      - .actual_access:  read_only
        .address_space:  global
        .offset:         16
        .size:           8
        .value_kind:     global_buffer
      - .actual_access:  read_only
        .address_space:  global
        .offset:         24
        .size:           8
        .value_kind:     global_buffer
      - .actual_access:  read_only
        .address_space:  global
        .offset:         32
        .size:           8
        .value_kind:     global_buffer
      - .address_space:  global
        .offset:         40
        .size:           8
        .value_kind:     global_buffer
      - .actual_access:  read_only
        .address_space:  global
        .offset:         48
        .size:           8
        .value_kind:     global_buffer
      - .actual_access:  read_only
        .address_space:  global
        .offset:         56
        .size:           8
        .value_kind:     global_buffer
    .group_segment_fixed_size: 0
    .kernarg_segment_align: 8
    .kernarg_segment_size: 64
    .language:       OpenCL C
    .language_version:
      - 2
      - 0
    .max_flat_workgroup_size: 256
    .name:           _ZN9rocsparseL19gtsv_LBM_rhs_kernelILj256ELj16ELj8EdEEviiiPKT2_S3_S3_PS1_S3_PKi
    .private_segment_fixed_size: 0
    .sgpr_count:     41
    .sgpr_spill_count: 0
    .symbol:         _ZN9rocsparseL19gtsv_LBM_rhs_kernelILj256ELj16ELj8EdEEviiiPKT2_S3_S3_PS1_S3_PKi.kd
    .uniform_work_group_size: 1
    .uses_dynamic_stack: false
    .vgpr_count:     117
    .vgpr_spill_count: 0
    .wavefront_size: 64
  - .args:
      - .offset:         0
        .size:           4
        .value_kind:     by_value
      - .offset:         4
        .size:           4
        .value_kind:     by_value
      - .offset:         8
        .size:           4
        .value_kind:     by_value
      - .actual_access:  read_only
        .address_space:  global
        .offset:         16
        .size:           8
        .value_kind:     global_buffer
      - .actual_access:  read_only
        .address_space:  global
        .offset:         24
        .size:           8
        .value_kind:     global_buffer
      - .actual_access:  read_only
        .address_space:  global
        .offset:         32
        .size:           8
        .value_kind:     global_buffer
      - .address_space:  global
        .offset:         40
        .size:           8
        .value_kind:     global_buffer
      - .actual_access:  read_only
        .address_space:  global
        .offset:         48
        .size:           8
        .value_kind:     global_buffer
      - .actual_access:  read_only
        .address_space:  global
        .offset:         56
        .size:           8
        .value_kind:     global_buffer
    .group_segment_fixed_size: 0
    .kernarg_segment_align: 8
    .kernarg_segment_size: 64
    .language:       OpenCL C
    .language_version:
      - 2
      - 0
    .max_flat_workgroup_size: 256
    .name:           _ZN9rocsparseL19gtsv_LBM_rhs_kernelILj256ELj16ELj4EdEEviiiPKT2_S3_S3_PS1_S3_PKi
    .private_segment_fixed_size: 0
    .sgpr_count:     36
    .sgpr_spill_count: 0
    .symbol:         _ZN9rocsparseL19gtsv_LBM_rhs_kernelILj256ELj16ELj4EdEEviiiPKT2_S3_S3_PS1_S3_PKi.kd
    .uniform_work_group_size: 1
    .uses_dynamic_stack: false
    .vgpr_count:     55
    .vgpr_spill_count: 0
    .wavefront_size: 64
  - .args:
      - .offset:         0
        .size:           4
        .value_kind:     by_value
      - .offset:         4
        .size:           4
        .value_kind:     by_value
      - .offset:         8
        .size:           4
        .value_kind:     by_value
      - .actual_access:  read_only
        .address_space:  global
        .offset:         16
        .size:           8
        .value_kind:     global_buffer
      - .actual_access:  read_only
        .address_space:  global
        .offset:         24
        .size:           8
        .value_kind:     global_buffer
      - .actual_access:  read_only
        .address_space:  global
        .offset:         32
        .size:           8
        .value_kind:     global_buffer
      - .address_space:  global
        .offset:         40
        .size:           8
        .value_kind:     global_buffer
      - .actual_access:  read_only
        .address_space:  global
        .offset:         48
        .size:           8
        .value_kind:     global_buffer
      - .actual_access:  read_only
        .address_space:  global
        .offset:         56
        .size:           8
        .value_kind:     global_buffer
    .group_segment_fixed_size: 0
    .kernarg_segment_align: 8
    .kernarg_segment_size: 64
    .language:       OpenCL C
    .language_version:
      - 2
      - 0
    .max_flat_workgroup_size: 256
    .name:           _ZN9rocsparseL19gtsv_LBM_rhs_kernelILj256ELj16ELj2EdEEviiiPKT2_S3_S3_PS1_S3_PKi
    .private_segment_fixed_size: 0
    .sgpr_count:     34
    .sgpr_spill_count: 0
    .symbol:         _ZN9rocsparseL19gtsv_LBM_rhs_kernelILj256ELj16ELj2EdEEviiiPKT2_S3_S3_PS1_S3_PKi.kd
    .uniform_work_group_size: 1
    .uses_dynamic_stack: false
    .vgpr_count:     39
    .vgpr_spill_count: 0
    .wavefront_size: 64
  - .args:
      - .offset:         0
        .size:           4
        .value_kind:     by_value
      - .offset:         4
        .size:           4
        .value_kind:     by_value
      - .offset:         8
        .size:           4
        .value_kind:     by_value
      - .actual_access:  read_only
        .address_space:  global
        .offset:         16
        .size:           8
        .value_kind:     global_buffer
      - .actual_access:  read_only
        .address_space:  global
        .offset:         24
        .size:           8
        .value_kind:     global_buffer
      - .actual_access:  read_only
        .address_space:  global
        .offset:         32
        .size:           8
        .value_kind:     global_buffer
      - .address_space:  global
        .offset:         40
        .size:           8
        .value_kind:     global_buffer
      - .actual_access:  read_only
        .address_space:  global
        .offset:         48
        .size:           8
        .value_kind:     global_buffer
      - .actual_access:  read_only
        .address_space:  global
        .offset:         56
        .size:           8
        .value_kind:     global_buffer
    .group_segment_fixed_size: 0
    .kernarg_segment_align: 8
    .kernarg_segment_size: 64
    .language:       OpenCL C
    .language_version:
      - 2
      - 0
    .max_flat_workgroup_size: 256
    .name:           _ZN9rocsparseL19gtsv_LBM_rhs_kernelILj256ELj16ELj1EdEEviiiPKT2_S3_S3_PS1_S3_PKi
    .private_segment_fixed_size: 0
    .sgpr_count:     32
    .sgpr_spill_count: 0
    .symbol:         _ZN9rocsparseL19gtsv_LBM_rhs_kernelILj256ELj16ELj1EdEEviiiPKT2_S3_S3_PS1_S3_PKi.kd
    .uniform_work_group_size: 1
    .uses_dynamic_stack: false
    .vgpr_count:     34
    .vgpr_spill_count: 0
    .wavefront_size: 64
  - .args:
      - .offset:         0
        .size:           4
        .value_kind:     by_value
      - .offset:         4
        .size:           4
        .value_kind:     by_value
      - .offset:         8
        .size:           4
        .value_kind:     by_value
      - .address_space:  global
        .offset:         16
        .size:           8
        .value_kind:     global_buffer
      - .actual_access:  read_only
        .address_space:  global
        .offset:         24
        .size:           8
        .value_kind:     global_buffer
      - .actual_access:  read_only
        .address_space:  global
        .offset:         32
        .size:           8
        .value_kind:     global_buffer
      - .actual_access:  write_only
        .address_space:  global
        .offset:         40
        .size:           8
        .value_kind:     global_buffer
      - .actual_access:  write_only
        .address_space:  global
        .offset:         48
        .size:           8
        .value_kind:     global_buffer
      - .actual_access:  write_only
        .address_space:  global
        .offset:         56
        .size:           8
        .value_kind:     global_buffer
      - .actual_access:  write_only
        .address_space:  global
        .offset:         64
        .size:           8
        .value_kind:     global_buffer
      - .actual_access:  write_only
        .address_space:  global
        .offset:         72
        .size:           8
        .value_kind:     global_buffer
      - .offset:         80
        .size:           4
        .value_kind:     hidden_block_count_x
      - .offset:         84
        .size:           4
        .value_kind:     hidden_block_count_y
      - .offset:         88
        .size:           4
        .value_kind:     hidden_block_count_z
      - .offset:         92
        .size:           2
        .value_kind:     hidden_group_size_x
      - .offset:         94
        .size:           2
        .value_kind:     hidden_group_size_y
      - .offset:         96
        .size:           2
        .value_kind:     hidden_group_size_z
      - .offset:         98
        .size:           2
        .value_kind:     hidden_remainder_x
      - .offset:         100
        .size:           2
        .value_kind:     hidden_remainder_y
      - .offset:         102
        .size:           2
        .value_kind:     hidden_remainder_z
      - .offset:         120
        .size:           8
        .value_kind:     hidden_global_offset_x
      - .offset:         128
        .size:           8
        .value_kind:     hidden_global_offset_y
      - .offset:         136
        .size:           8
        .value_kind:     hidden_global_offset_z
      - .offset:         144
        .size:           2
        .value_kind:     hidden_grid_dims
    .group_segment_fixed_size: 12288
    .kernarg_segment_align: 8
    .kernarg_segment_size: 336
    .language:       OpenCL C
    .language_version:
      - 2
      - 0
    .max_flat_workgroup_size: 256
    .name:           _ZN9rocsparseL29gtsv_spike_block_level_kernelILj256ELj16EdEEviiiPT1_PKS1_S4_S2_S2_S2_S2_S2_
    .private_segment_fixed_size: 0
    .sgpr_count:     28
    .sgpr_spill_count: 0
    .symbol:         _ZN9rocsparseL29gtsv_spike_block_level_kernelILj256ELj16EdEEviiiPT1_PKS1_S4_S2_S2_S2_S2_S2_.kd
    .uniform_work_group_size: 1
    .uses_dynamic_stack: false
    .vgpr_count:     42
    .vgpr_spill_count: 0
    .wavefront_size: 64
  - .args:
      - .offset:         0
        .size:           4
        .value_kind:     by_value
      - .offset:         4
        .size:           4
        .value_kind:     by_value
      - .offset:         8
        .size:           4
        .value_kind:     by_value
      - .address_space:  global
        .offset:         16
        .size:           8
        .value_kind:     global_buffer
      - .actual_access:  read_only
        .address_space:  global
        .offset:         24
        .size:           8
        .value_kind:     global_buffer
      - .actual_access:  read_only
        .address_space:  global
        .offset:         32
        .size:           8
        .value_kind:     global_buffer
      - .actual_access:  read_only
        .address_space:  global
        .offset:         40
        .size:           8
        .value_kind:     global_buffer
      - .offset:         48
        .size:           4
        .value_kind:     hidden_block_count_x
      - .offset:         52
        .size:           4
        .value_kind:     hidden_block_count_y
      - .offset:         56
        .size:           4
        .value_kind:     hidden_block_count_z
      - .offset:         60
        .size:           2
        .value_kind:     hidden_group_size_x
      - .offset:         62
        .size:           2
        .value_kind:     hidden_group_size_y
      - .offset:         64
        .size:           2
        .value_kind:     hidden_group_size_z
      - .offset:         66
        .size:           2
        .value_kind:     hidden_remainder_x
      - .offset:         68
        .size:           2
        .value_kind:     hidden_remainder_y
      - .offset:         70
        .size:           2
        .value_kind:     hidden_remainder_z
      - .offset:         88
        .size:           8
        .value_kind:     hidden_global_offset_x
      - .offset:         96
        .size:           8
        .value_kind:     hidden_global_offset_y
      - .offset:         104
        .size:           8
        .value_kind:     hidden_global_offset_z
      - .offset:         112
        .size:           2
        .value_kind:     hidden_grid_dims
    .group_segment_fixed_size: 12304
    .kernarg_segment_align: 8
    .kernarg_segment_size: 304
    .language:       OpenCL C
    .language_version:
      - 2
      - 0
    .max_flat_workgroup_size: 256
    .name:           _ZN9rocsparseL33gtsv_solve_spike_propagate_kernelILj256ELj16EdEEviiiPT1_PKS1_S4_S4_
    .private_segment_fixed_size: 0
    .sgpr_count:     22
    .sgpr_spill_count: 0
    .symbol:         _ZN9rocsparseL33gtsv_solve_spike_propagate_kernelILj256ELj16EdEEviiiPT1_PKS1_S4_S4_.kd
    .uniform_work_group_size: 1
    .uses_dynamic_stack: false
    .vgpr_count:     17
    .vgpr_spill_count: 0
    .wavefront_size: 64
  - .args:
      - .offset:         0
        .size:           4
        .value_kind:     by_value
      - .offset:         4
        .size:           4
        .value_kind:     by_value
      - .offset:         8
        .size:           4
        .value_kind:     by_value
      - .address_space:  global
        .offset:         16
        .size:           8
        .value_kind:     global_buffer
      - .actual_access:  read_only
        .address_space:  global
        .offset:         24
        .size:           8
        .value_kind:     global_buffer
      - .actual_access:  read_only
        .address_space:  global
        .offset:         32
        .size:           8
        .value_kind:     global_buffer
    .group_segment_fixed_size: 0
    .kernarg_segment_align: 8
    .kernarg_segment_size: 40
    .language:       OpenCL C
    .language_version:
      - 2
      - 0
    .max_flat_workgroup_size: 256
    .name:           _ZN9rocsparseL39gtsv_spike_backward_substitution_kernelILj256ELj16EdEEviiiPT1_PKS1_S4_
    .private_segment_fixed_size: 0
    .sgpr_count:     16
    .sgpr_spill_count: 0
    .symbol:         _ZN9rocsparseL39gtsv_spike_backward_substitution_kernelILj256ELj16EdEEviiiPT1_PKS1_S4_.kd
    .uniform_work_group_size: 1
    .uses_dynamic_stack: false
    .vgpr_count:     20
    .vgpr_spill_count: 0
    .wavefront_size: 64
  - .args:
      - .offset:         0
        .size:           4
        .value_kind:     by_value
      - .offset:         4
        .size:           4
        .value_kind:     by_value
      - .offset:         8
        .size:           4
        .value_kind:     by_value
      - .actual_access:  read_only
        .address_space:  global
        .offset:         16
        .size:           8
        .value_kind:     global_buffer
      - .actual_access:  write_only
        .address_space:  global
        .offset:         24
        .size:           8
        .value_kind:     global_buffer
    .group_segment_fixed_size: 0
    .kernarg_segment_align: 8
    .kernarg_segment_size: 32
    .language:       OpenCL C
    .language_version:
      - 2
      - 0
    .max_flat_workgroup_size: 256
    .name:           _ZN9rocsparseL32gtsv_transpose_back_array_kernelILj256ELj16EdEEviiiPKT1_PS1_
    .private_segment_fixed_size: 0
    .sgpr_count:     16
    .sgpr_spill_count: 0
    .symbol:         _ZN9rocsparseL32gtsv_transpose_back_array_kernelILj256ELj16EdEEviiiPKT1_PS1_.kd
    .uniform_work_group_size: 1
    .uses_dynamic_stack: false
    .vgpr_count:     5
    .vgpr_spill_count: 0
    .wavefront_size: 64
  - .args:
      - .offset:         0
        .size:           4
        .value_kind:     by_value
      - .offset:         4
        .size:           4
        .value_kind:     by_value
      - .offset:         8
        .size:           4
        .value_kind:     by_value
      - .actual_access:  read_only
        .address_space:  global
        .offset:         16
        .size:           8
        .value_kind:     global_buffer
      - .actual_access:  write_only
        .address_space:  global
        .offset:         24
        .size:           8
        .value_kind:     global_buffer
      - .offset:         32
        .size:           8
        .value_kind:     by_value
    .group_segment_fixed_size: 2048
    .kernarg_segment_align: 8
    .kernarg_segment_size: 40
    .language:       OpenCL C
    .language_version:
      - 2
      - 0
    .max_flat_workgroup_size: 256
    .name:           _ZN9rocsparseL42gtsv_transpose_and_pad_array_shared_kernelILj256ELj32EdEEviiiPKT1_PS1_S1_
    .private_segment_fixed_size: 0
    .sgpr_count:     16
    .sgpr_spill_count: 0
    .symbol:         _ZN9rocsparseL42gtsv_transpose_and_pad_array_shared_kernelILj256ELj32EdEEviiiPKT1_PS1_S1_.kd
    .uniform_work_group_size: 1
    .uses_dynamic_stack: false
    .vgpr_count:     5
    .vgpr_spill_count: 0
    .wavefront_size: 64
  - .args:
      - .offset:         0
        .size:           4
        .value_kind:     by_value
      - .offset:         4
        .size:           4
        .value_kind:     by_value
      - .offset:         8
        .size:           4
        .value_kind:     by_value
      - .actual_access:  read_only
        .address_space:  global
        .offset:         16
        .size:           8
        .value_kind:     global_buffer
      - .actual_access:  read_only
        .address_space:  global
        .offset:         24
        .size:           8
        .value_kind:     global_buffer
      - .actual_access:  read_only
        .address_space:  global
        .offset:         32
        .size:           8
        .value_kind:     global_buffer
      - .address_space:  global
        .offset:         40
        .size:           8
        .value_kind:     global_buffer
      - .address_space:  global
        .offset:         48
        .size:           8
        .value_kind:     global_buffer
      - .address_space:  global
        .offset:         56
        .size:           8
        .value_kind:     global_buffer
      - .address_space:  global
        .offset:         64
        .size:           8
        .value_kind:     global_buffer
    .group_segment_fixed_size: 0
    .kernarg_segment_align: 8
    .kernarg_segment_size: 72
    .language:       OpenCL C
    .language_version:
      - 2
      - 0
    .max_flat_workgroup_size: 256
    .name:           _ZN9rocsparseL18gtsv_LBM_wv_kernelILj256ELj32EdEEviiiPKT1_S3_S3_PS1_S4_S4_Pi
    .private_segment_fixed_size: 0
    .sgpr_count:     35
    .sgpr_spill_count: 0
    .symbol:         _ZN9rocsparseL18gtsv_LBM_wv_kernelILj256ELj32EdEEviiiPKT1_S3_S3_PS1_S4_S4_Pi.kd
    .uniform_work_group_size: 1
    .uses_dynamic_stack: false
    .vgpr_count:     56
    .vgpr_spill_count: 0
    .wavefront_size: 64
  - .args:
      - .offset:         0
        .size:           4
        .value_kind:     by_value
      - .offset:         4
        .size:           4
        .value_kind:     by_value
      - .offset:         8
        .size:           4
        .value_kind:     by_value
      - .actual_access:  read_only
        .address_space:  global
        .offset:         16
        .size:           8
        .value_kind:     global_buffer
      - .actual_access:  read_only
        .address_space:  global
        .offset:         24
        .size:           8
        .value_kind:     global_buffer
      - .actual_access:  read_only
        .address_space:  global
        .offset:         32
        .size:           8
        .value_kind:     global_buffer
      - .address_space:  global
        .offset:         40
        .size:           8
        .value_kind:     global_buffer
      - .actual_access:  read_only
        .address_space:  global
        .offset:         48
        .size:           8
        .value_kind:     global_buffer
      - .actual_access:  read_only
        .address_space:  global
        .offset:         56
        .size:           8
        .value_kind:     global_buffer
    .group_segment_fixed_size: 0
    .kernarg_segment_align: 8
    .kernarg_segment_size: 64
    .language:       OpenCL C
    .language_version:
      - 2
      - 0
    .max_flat_workgroup_size: 256
    .name:           _ZN9rocsparseL19gtsv_LBM_rhs_kernelILj256ELj32ELj8EdEEviiiPKT2_S3_S3_PS1_S3_PKi
    .private_segment_fixed_size: 0
    .sgpr_count:     41
    .sgpr_spill_count: 0
    .symbol:         _ZN9rocsparseL19gtsv_LBM_rhs_kernelILj256ELj32ELj8EdEEviiiPKT2_S3_S3_PS1_S3_PKi.kd
    .uniform_work_group_size: 1
    .uses_dynamic_stack: false
    .vgpr_count:     117
    .vgpr_spill_count: 0
    .wavefront_size: 64
  - .args:
      - .offset:         0
        .size:           4
        .value_kind:     by_value
      - .offset:         4
        .size:           4
        .value_kind:     by_value
      - .offset:         8
        .size:           4
        .value_kind:     by_value
      - .actual_access:  read_only
        .address_space:  global
        .offset:         16
        .size:           8
        .value_kind:     global_buffer
      - .actual_access:  read_only
        .address_space:  global
        .offset:         24
        .size:           8
        .value_kind:     global_buffer
      - .actual_access:  read_only
        .address_space:  global
        .offset:         32
        .size:           8
        .value_kind:     global_buffer
      - .address_space:  global
        .offset:         40
        .size:           8
        .value_kind:     global_buffer
      - .actual_access:  read_only
        .address_space:  global
        .offset:         48
        .size:           8
        .value_kind:     global_buffer
      - .actual_access:  read_only
        .address_space:  global
        .offset:         56
        .size:           8
        .value_kind:     global_buffer
    .group_segment_fixed_size: 0
    .kernarg_segment_align: 8
    .kernarg_segment_size: 64
    .language:       OpenCL C
    .language_version:
      - 2
      - 0
    .max_flat_workgroup_size: 256
    .name:           _ZN9rocsparseL19gtsv_LBM_rhs_kernelILj256ELj32ELj4EdEEviiiPKT2_S3_S3_PS1_S3_PKi
    .private_segment_fixed_size: 0
    .sgpr_count:     36
    .sgpr_spill_count: 0
    .symbol:         _ZN9rocsparseL19gtsv_LBM_rhs_kernelILj256ELj32ELj4EdEEviiiPKT2_S3_S3_PS1_S3_PKi.kd
    .uniform_work_group_size: 1
    .uses_dynamic_stack: false
    .vgpr_count:     55
    .vgpr_spill_count: 0
    .wavefront_size: 64
  - .args:
      - .offset:         0
        .size:           4
        .value_kind:     by_value
      - .offset:         4
        .size:           4
        .value_kind:     by_value
      - .offset:         8
        .size:           4
        .value_kind:     by_value
      - .actual_access:  read_only
        .address_space:  global
        .offset:         16
        .size:           8
        .value_kind:     global_buffer
      - .actual_access:  read_only
        .address_space:  global
        .offset:         24
        .size:           8
        .value_kind:     global_buffer
      - .actual_access:  read_only
        .address_space:  global
        .offset:         32
        .size:           8
        .value_kind:     global_buffer
      - .address_space:  global
        .offset:         40
        .size:           8
        .value_kind:     global_buffer
      - .actual_access:  read_only
        .address_space:  global
        .offset:         48
        .size:           8
        .value_kind:     global_buffer
      - .actual_access:  read_only
        .address_space:  global
        .offset:         56
        .size:           8
        .value_kind:     global_buffer
    .group_segment_fixed_size: 0
    .kernarg_segment_align: 8
    .kernarg_segment_size: 64
    .language:       OpenCL C
    .language_version:
      - 2
      - 0
    .max_flat_workgroup_size: 256
    .name:           _ZN9rocsparseL19gtsv_LBM_rhs_kernelILj256ELj32ELj2EdEEviiiPKT2_S3_S3_PS1_S3_PKi
    .private_segment_fixed_size: 0
    .sgpr_count:     34
    .sgpr_spill_count: 0
    .symbol:         _ZN9rocsparseL19gtsv_LBM_rhs_kernelILj256ELj32ELj2EdEEviiiPKT2_S3_S3_PS1_S3_PKi.kd
    .uniform_work_group_size: 1
    .uses_dynamic_stack: false
    .vgpr_count:     39
    .vgpr_spill_count: 0
    .wavefront_size: 64
  - .args:
      - .offset:         0
        .size:           4
        .value_kind:     by_value
      - .offset:         4
        .size:           4
        .value_kind:     by_value
      - .offset:         8
        .size:           4
        .value_kind:     by_value
      - .actual_access:  read_only
        .address_space:  global
        .offset:         16
        .size:           8
        .value_kind:     global_buffer
      - .actual_access:  read_only
        .address_space:  global
        .offset:         24
        .size:           8
        .value_kind:     global_buffer
      - .actual_access:  read_only
        .address_space:  global
        .offset:         32
        .size:           8
        .value_kind:     global_buffer
      - .address_space:  global
        .offset:         40
        .size:           8
        .value_kind:     global_buffer
      - .actual_access:  read_only
        .address_space:  global
        .offset:         48
        .size:           8
        .value_kind:     global_buffer
      - .actual_access:  read_only
        .address_space:  global
        .offset:         56
        .size:           8
        .value_kind:     global_buffer
    .group_segment_fixed_size: 0
    .kernarg_segment_align: 8
    .kernarg_segment_size: 64
    .language:       OpenCL C
    .language_version:
      - 2
      - 0
    .max_flat_workgroup_size: 256
    .name:           _ZN9rocsparseL19gtsv_LBM_rhs_kernelILj256ELj32ELj1EdEEviiiPKT2_S3_S3_PS1_S3_PKi
    .private_segment_fixed_size: 0
    .sgpr_count:     32
    .sgpr_spill_count: 0
    .symbol:         _ZN9rocsparseL19gtsv_LBM_rhs_kernelILj256ELj32ELj1EdEEviiiPKT2_S3_S3_PS1_S3_PKi.kd
    .uniform_work_group_size: 1
    .uses_dynamic_stack: false
    .vgpr_count:     34
    .vgpr_spill_count: 0
    .wavefront_size: 64
  - .args:
      - .offset:         0
        .size:           4
        .value_kind:     by_value
      - .offset:         4
        .size:           4
        .value_kind:     by_value
      - .offset:         8
        .size:           4
        .value_kind:     by_value
      - .address_space:  global
        .offset:         16
        .size:           8
        .value_kind:     global_buffer
      - .actual_access:  read_only
        .address_space:  global
        .offset:         24
        .size:           8
        .value_kind:     global_buffer
      - .actual_access:  read_only
        .address_space:  global
        .offset:         32
        .size:           8
        .value_kind:     global_buffer
      - .actual_access:  write_only
        .address_space:  global
        .offset:         40
        .size:           8
        .value_kind:     global_buffer
      - .actual_access:  write_only
        .address_space:  global
        .offset:         48
        .size:           8
        .value_kind:     global_buffer
      - .actual_access:  write_only
        .address_space:  global
        .offset:         56
        .size:           8
        .value_kind:     global_buffer
      - .actual_access:  write_only
        .address_space:  global
        .offset:         64
        .size:           8
        .value_kind:     global_buffer
      - .actual_access:  write_only
        .address_space:  global
        .offset:         72
        .size:           8
        .value_kind:     global_buffer
      - .offset:         80
        .size:           4
        .value_kind:     hidden_block_count_x
      - .offset:         84
        .size:           4
        .value_kind:     hidden_block_count_y
      - .offset:         88
        .size:           4
        .value_kind:     hidden_block_count_z
      - .offset:         92
        .size:           2
        .value_kind:     hidden_group_size_x
      - .offset:         94
        .size:           2
        .value_kind:     hidden_group_size_y
      - .offset:         96
        .size:           2
        .value_kind:     hidden_group_size_z
      - .offset:         98
        .size:           2
        .value_kind:     hidden_remainder_x
      - .offset:         100
        .size:           2
        .value_kind:     hidden_remainder_y
      - .offset:         102
        .size:           2
        .value_kind:     hidden_remainder_z
      - .offset:         120
        .size:           8
        .value_kind:     hidden_global_offset_x
      - .offset:         128
        .size:           8
        .value_kind:     hidden_global_offset_y
      - .offset:         136
        .size:           8
        .value_kind:     hidden_global_offset_z
      - .offset:         144
        .size:           2
        .value_kind:     hidden_grid_dims
    .group_segment_fixed_size: 12288
    .kernarg_segment_align: 8
    .kernarg_segment_size: 336
    .language:       OpenCL C
    .language_version:
      - 2
      - 0
    .max_flat_workgroup_size: 256
    .name:           _ZN9rocsparseL29gtsv_spike_block_level_kernelILj256ELj32EdEEviiiPT1_PKS1_S4_S2_S2_S2_S2_S2_
    .private_segment_fixed_size: 0
    .sgpr_count:     28
    .sgpr_spill_count: 0
    .symbol:         _ZN9rocsparseL29gtsv_spike_block_level_kernelILj256ELj32EdEEviiiPT1_PKS1_S4_S2_S2_S2_S2_S2_.kd
    .uniform_work_group_size: 1
    .uses_dynamic_stack: false
    .vgpr_count:     42
    .vgpr_spill_count: 0
    .wavefront_size: 64
  - .args:
      - .offset:         0
        .size:           4
        .value_kind:     by_value
      - .offset:         4
        .size:           4
        .value_kind:     by_value
      - .offset:         8
        .size:           4
        .value_kind:     by_value
      - .address_space:  global
        .offset:         16
        .size:           8
        .value_kind:     global_buffer
      - .actual_access:  read_only
        .address_space:  global
        .offset:         24
        .size:           8
        .value_kind:     global_buffer
      - .actual_access:  read_only
        .address_space:  global
        .offset:         32
        .size:           8
        .value_kind:     global_buffer
      - .actual_access:  read_only
        .address_space:  global
        .offset:         40
        .size:           8
        .value_kind:     global_buffer
      - .offset:         48
        .size:           4
        .value_kind:     hidden_block_count_x
      - .offset:         52
        .size:           4
        .value_kind:     hidden_block_count_y
      - .offset:         56
        .size:           4
        .value_kind:     hidden_block_count_z
      - .offset:         60
        .size:           2
        .value_kind:     hidden_group_size_x
      - .offset:         62
        .size:           2
        .value_kind:     hidden_group_size_y
      - .offset:         64
        .size:           2
        .value_kind:     hidden_group_size_z
      - .offset:         66
        .size:           2
        .value_kind:     hidden_remainder_x
      - .offset:         68
        .size:           2
        .value_kind:     hidden_remainder_y
      - .offset:         70
        .size:           2
        .value_kind:     hidden_remainder_z
      - .offset:         88
        .size:           8
        .value_kind:     hidden_global_offset_x
      - .offset:         96
        .size:           8
        .value_kind:     hidden_global_offset_y
      - .offset:         104
        .size:           8
        .value_kind:     hidden_global_offset_z
      - .offset:         112
        .size:           2
        .value_kind:     hidden_grid_dims
    .group_segment_fixed_size: 12304
    .kernarg_segment_align: 8
    .kernarg_segment_size: 304
    .language:       OpenCL C
    .language_version:
      - 2
      - 0
    .max_flat_workgroup_size: 256
    .name:           _ZN9rocsparseL33gtsv_solve_spike_propagate_kernelILj256ELj32EdEEviiiPT1_PKS1_S4_S4_
    .private_segment_fixed_size: 0
    .sgpr_count:     22
    .sgpr_spill_count: 0
    .symbol:         _ZN9rocsparseL33gtsv_solve_spike_propagate_kernelILj256ELj32EdEEviiiPT1_PKS1_S4_S4_.kd
    .uniform_work_group_size: 1
    .uses_dynamic_stack: false
    .vgpr_count:     17
    .vgpr_spill_count: 0
    .wavefront_size: 64
  - .args:
      - .offset:         0
        .size:           4
        .value_kind:     by_value
      - .offset:         4
        .size:           4
        .value_kind:     by_value
      - .offset:         8
        .size:           4
        .value_kind:     by_value
      - .address_space:  global
        .offset:         16
        .size:           8
        .value_kind:     global_buffer
      - .actual_access:  read_only
        .address_space:  global
        .offset:         24
        .size:           8
        .value_kind:     global_buffer
      - .actual_access:  read_only
        .address_space:  global
        .offset:         32
        .size:           8
        .value_kind:     global_buffer
    .group_segment_fixed_size: 0
    .kernarg_segment_align: 8
    .kernarg_segment_size: 40
    .language:       OpenCL C
    .language_version:
      - 2
      - 0
    .max_flat_workgroup_size: 256
    .name:           _ZN9rocsparseL39gtsv_spike_backward_substitution_kernelILj256ELj32EdEEviiiPT1_PKS1_S4_
    .private_segment_fixed_size: 0
    .sgpr_count:     17
    .sgpr_spill_count: 0
    .symbol:         _ZN9rocsparseL39gtsv_spike_backward_substitution_kernelILj256ELj32EdEEviiiPT1_PKS1_S4_.kd
    .uniform_work_group_size: 1
    .uses_dynamic_stack: false
    .vgpr_count:     31
    .vgpr_spill_count: 0
    .wavefront_size: 64
  - .args:
      - .offset:         0
        .size:           4
        .value_kind:     by_value
      - .offset:         4
        .size:           4
        .value_kind:     by_value
      - .offset:         8
        .size:           4
        .value_kind:     by_value
      - .actual_access:  read_only
        .address_space:  global
        .offset:         16
        .size:           8
        .value_kind:     global_buffer
      - .actual_access:  write_only
        .address_space:  global
        .offset:         24
        .size:           8
        .value_kind:     global_buffer
    .group_segment_fixed_size: 0
    .kernarg_segment_align: 8
    .kernarg_segment_size: 32
    .language:       OpenCL C
    .language_version:
      - 2
      - 0
    .max_flat_workgroup_size: 256
    .name:           _ZN9rocsparseL32gtsv_transpose_back_array_kernelILj256ELj32EdEEviiiPKT1_PS1_
    .private_segment_fixed_size: 0
    .sgpr_count:     16
    .sgpr_spill_count: 0
    .symbol:         _ZN9rocsparseL32gtsv_transpose_back_array_kernelILj256ELj32EdEEviiiPKT1_PS1_.kd
    .uniform_work_group_size: 1
    .uses_dynamic_stack: false
    .vgpr_count:     5
    .vgpr_spill_count: 0
    .wavefront_size: 64
  - .args:
      - .offset:         0
        .size:           4
        .value_kind:     by_value
      - .offset:         4
        .size:           4
        .value_kind:     by_value
      - .offset:         8
        .size:           4
        .value_kind:     by_value
      - .actual_access:  read_only
        .address_space:  global
        .offset:         16
        .size:           8
        .value_kind:     global_buffer
      - .actual_access:  write_only
        .address_space:  global
        .offset:         24
        .size:           8
        .value_kind:     global_buffer
      - .offset:         32
        .size:           8
        .value_kind:     by_value
    .group_segment_fixed_size: 2048
    .kernarg_segment_align: 8
    .kernarg_segment_size: 40
    .language:       OpenCL C
    .language_version:
      - 2
      - 0
    .max_flat_workgroup_size: 256
    .name:           _ZN9rocsparseL42gtsv_transpose_and_pad_array_shared_kernelILj256ELj64EdEEviiiPKT1_PS1_S1_
    .private_segment_fixed_size: 0
    .sgpr_count:     16
    .sgpr_spill_count: 0
    .symbol:         _ZN9rocsparseL42gtsv_transpose_and_pad_array_shared_kernelILj256ELj64EdEEviiiPKT1_PS1_S1_.kd
    .uniform_work_group_size: 1
    .uses_dynamic_stack: false
    .vgpr_count:     5
    .vgpr_spill_count: 0
    .wavefront_size: 64
  - .args:
      - .offset:         0
        .size:           4
        .value_kind:     by_value
      - .offset:         4
        .size:           4
        .value_kind:     by_value
      - .offset:         8
        .size:           4
        .value_kind:     by_value
      - .actual_access:  read_only
        .address_space:  global
        .offset:         16
        .size:           8
        .value_kind:     global_buffer
      - .actual_access:  read_only
        .address_space:  global
        .offset:         24
        .size:           8
        .value_kind:     global_buffer
      - .actual_access:  read_only
        .address_space:  global
        .offset:         32
        .size:           8
        .value_kind:     global_buffer
      - .address_space:  global
        .offset:         40
        .size:           8
        .value_kind:     global_buffer
      - .address_space:  global
        .offset:         48
        .size:           8
        .value_kind:     global_buffer
      - .address_space:  global
        .offset:         56
        .size:           8
        .value_kind:     global_buffer
      - .address_space:  global
        .offset:         64
        .size:           8
        .value_kind:     global_buffer
    .group_segment_fixed_size: 0
    .kernarg_segment_align: 8
    .kernarg_segment_size: 72
    .language:       OpenCL C
    .language_version:
      - 2
      - 0
    .max_flat_workgroup_size: 256
    .name:           _ZN9rocsparseL18gtsv_LBM_wv_kernelILj256ELj64EdEEviiiPKT1_S3_S3_PS1_S4_S4_Pi
    .private_segment_fixed_size: 0
    .sgpr_count:     35
    .sgpr_spill_count: 0
    .symbol:         _ZN9rocsparseL18gtsv_LBM_wv_kernelILj256ELj64EdEEviiiPKT1_S3_S3_PS1_S4_S4_Pi.kd
    .uniform_work_group_size: 1
    .uses_dynamic_stack: false
    .vgpr_count:     56
    .vgpr_spill_count: 0
    .wavefront_size: 64
  - .args:
      - .offset:         0
        .size:           4
        .value_kind:     by_value
      - .offset:         4
        .size:           4
        .value_kind:     by_value
      - .offset:         8
        .size:           4
        .value_kind:     by_value
      - .actual_access:  read_only
        .address_space:  global
        .offset:         16
        .size:           8
        .value_kind:     global_buffer
      - .actual_access:  read_only
        .address_space:  global
        .offset:         24
        .size:           8
        .value_kind:     global_buffer
      - .actual_access:  read_only
        .address_space:  global
        .offset:         32
        .size:           8
        .value_kind:     global_buffer
      - .address_space:  global
        .offset:         40
        .size:           8
        .value_kind:     global_buffer
      - .actual_access:  read_only
        .address_space:  global
        .offset:         48
        .size:           8
        .value_kind:     global_buffer
      - .actual_access:  read_only
        .address_space:  global
        .offset:         56
        .size:           8
        .value_kind:     global_buffer
    .group_segment_fixed_size: 0
    .kernarg_segment_align: 8
    .kernarg_segment_size: 64
    .language:       OpenCL C
    .language_version:
      - 2
      - 0
    .max_flat_workgroup_size: 256
    .name:           _ZN9rocsparseL19gtsv_LBM_rhs_kernelILj256ELj64ELj8EdEEviiiPKT2_S3_S3_PS1_S3_PKi
    .private_segment_fixed_size: 0
    .sgpr_count:     41
    .sgpr_spill_count: 0
    .symbol:         _ZN9rocsparseL19gtsv_LBM_rhs_kernelILj256ELj64ELj8EdEEviiiPKT2_S3_S3_PS1_S3_PKi.kd
    .uniform_work_group_size: 1
    .uses_dynamic_stack: false
    .vgpr_count:     117
    .vgpr_spill_count: 0
    .wavefront_size: 64
  - .args:
      - .offset:         0
        .size:           4
        .value_kind:     by_value
      - .offset:         4
        .size:           4
        .value_kind:     by_value
      - .offset:         8
        .size:           4
        .value_kind:     by_value
      - .actual_access:  read_only
        .address_space:  global
        .offset:         16
        .size:           8
        .value_kind:     global_buffer
      - .actual_access:  read_only
        .address_space:  global
        .offset:         24
        .size:           8
        .value_kind:     global_buffer
      - .actual_access:  read_only
        .address_space:  global
        .offset:         32
        .size:           8
        .value_kind:     global_buffer
      - .address_space:  global
        .offset:         40
        .size:           8
        .value_kind:     global_buffer
      - .actual_access:  read_only
        .address_space:  global
        .offset:         48
        .size:           8
        .value_kind:     global_buffer
      - .actual_access:  read_only
        .address_space:  global
        .offset:         56
        .size:           8
        .value_kind:     global_buffer
    .group_segment_fixed_size: 0
    .kernarg_segment_align: 8
    .kernarg_segment_size: 64
    .language:       OpenCL C
    .language_version:
      - 2
      - 0
    .max_flat_workgroup_size: 256
    .name:           _ZN9rocsparseL19gtsv_LBM_rhs_kernelILj256ELj64ELj4EdEEviiiPKT2_S3_S3_PS1_S3_PKi
    .private_segment_fixed_size: 0
    .sgpr_count:     36
    .sgpr_spill_count: 0
    .symbol:         _ZN9rocsparseL19gtsv_LBM_rhs_kernelILj256ELj64ELj4EdEEviiiPKT2_S3_S3_PS1_S3_PKi.kd
    .uniform_work_group_size: 1
    .uses_dynamic_stack: false
    .vgpr_count:     55
    .vgpr_spill_count: 0
    .wavefront_size: 64
  - .args:
      - .offset:         0
        .size:           4
        .value_kind:     by_value
      - .offset:         4
        .size:           4
        .value_kind:     by_value
      - .offset:         8
        .size:           4
        .value_kind:     by_value
      - .actual_access:  read_only
        .address_space:  global
        .offset:         16
        .size:           8
        .value_kind:     global_buffer
      - .actual_access:  read_only
        .address_space:  global
        .offset:         24
        .size:           8
        .value_kind:     global_buffer
      - .actual_access:  read_only
        .address_space:  global
        .offset:         32
        .size:           8
        .value_kind:     global_buffer
      - .address_space:  global
        .offset:         40
        .size:           8
        .value_kind:     global_buffer
      - .actual_access:  read_only
        .address_space:  global
        .offset:         48
        .size:           8
        .value_kind:     global_buffer
      - .actual_access:  read_only
        .address_space:  global
        .offset:         56
        .size:           8
        .value_kind:     global_buffer
    .group_segment_fixed_size: 0
    .kernarg_segment_align: 8
    .kernarg_segment_size: 64
    .language:       OpenCL C
    .language_version:
      - 2
      - 0
    .max_flat_workgroup_size: 256
    .name:           _ZN9rocsparseL19gtsv_LBM_rhs_kernelILj256ELj64ELj2EdEEviiiPKT2_S3_S3_PS1_S3_PKi
    .private_segment_fixed_size: 0
    .sgpr_count:     34
    .sgpr_spill_count: 0
    .symbol:         _ZN9rocsparseL19gtsv_LBM_rhs_kernelILj256ELj64ELj2EdEEviiiPKT2_S3_S3_PS1_S3_PKi.kd
    .uniform_work_group_size: 1
    .uses_dynamic_stack: false
    .vgpr_count:     39
    .vgpr_spill_count: 0
    .wavefront_size: 64
  - .args:
      - .offset:         0
        .size:           4
        .value_kind:     by_value
      - .offset:         4
        .size:           4
        .value_kind:     by_value
      - .offset:         8
        .size:           4
        .value_kind:     by_value
      - .actual_access:  read_only
        .address_space:  global
        .offset:         16
        .size:           8
        .value_kind:     global_buffer
      - .actual_access:  read_only
        .address_space:  global
        .offset:         24
        .size:           8
        .value_kind:     global_buffer
      - .actual_access:  read_only
        .address_space:  global
        .offset:         32
        .size:           8
        .value_kind:     global_buffer
      - .address_space:  global
        .offset:         40
        .size:           8
        .value_kind:     global_buffer
      - .actual_access:  read_only
        .address_space:  global
        .offset:         48
        .size:           8
        .value_kind:     global_buffer
      - .actual_access:  read_only
        .address_space:  global
        .offset:         56
        .size:           8
        .value_kind:     global_buffer
    .group_segment_fixed_size: 0
    .kernarg_segment_align: 8
    .kernarg_segment_size: 64
    .language:       OpenCL C
    .language_version:
      - 2
      - 0
    .max_flat_workgroup_size: 256
    .name:           _ZN9rocsparseL19gtsv_LBM_rhs_kernelILj256ELj64ELj1EdEEviiiPKT2_S3_S3_PS1_S3_PKi
    .private_segment_fixed_size: 0
    .sgpr_count:     32
    .sgpr_spill_count: 0
    .symbol:         _ZN9rocsparseL19gtsv_LBM_rhs_kernelILj256ELj64ELj1EdEEviiiPKT2_S3_S3_PS1_S3_PKi.kd
    .uniform_work_group_size: 1
    .uses_dynamic_stack: false
    .vgpr_count:     34
    .vgpr_spill_count: 0
    .wavefront_size: 64
  - .args:
      - .offset:         0
        .size:           4
        .value_kind:     by_value
      - .offset:         4
        .size:           4
        .value_kind:     by_value
      - .offset:         8
        .size:           4
        .value_kind:     by_value
      - .address_space:  global
        .offset:         16
        .size:           8
        .value_kind:     global_buffer
      - .actual_access:  read_only
        .address_space:  global
        .offset:         24
        .size:           8
        .value_kind:     global_buffer
      - .actual_access:  read_only
        .address_space:  global
        .offset:         32
        .size:           8
        .value_kind:     global_buffer
      - .actual_access:  write_only
        .address_space:  global
        .offset:         40
        .size:           8
        .value_kind:     global_buffer
      - .actual_access:  write_only
        .address_space:  global
        .offset:         48
        .size:           8
        .value_kind:     global_buffer
      - .actual_access:  write_only
        .address_space:  global
        .offset:         56
        .size:           8
        .value_kind:     global_buffer
      - .actual_access:  write_only
        .address_space:  global
        .offset:         64
        .size:           8
        .value_kind:     global_buffer
      - .actual_access:  write_only
        .address_space:  global
        .offset:         72
        .size:           8
        .value_kind:     global_buffer
      - .offset:         80
        .size:           4
        .value_kind:     hidden_block_count_x
      - .offset:         84
        .size:           4
        .value_kind:     hidden_block_count_y
      - .offset:         88
        .size:           4
        .value_kind:     hidden_block_count_z
      - .offset:         92
        .size:           2
        .value_kind:     hidden_group_size_x
      - .offset:         94
        .size:           2
        .value_kind:     hidden_group_size_y
      - .offset:         96
        .size:           2
        .value_kind:     hidden_group_size_z
      - .offset:         98
        .size:           2
        .value_kind:     hidden_remainder_x
      - .offset:         100
        .size:           2
        .value_kind:     hidden_remainder_y
      - .offset:         102
        .size:           2
        .value_kind:     hidden_remainder_z
      - .offset:         120
        .size:           8
        .value_kind:     hidden_global_offset_x
      - .offset:         128
        .size:           8
        .value_kind:     hidden_global_offset_y
      - .offset:         136
        .size:           8
        .value_kind:     hidden_global_offset_z
      - .offset:         144
        .size:           2
        .value_kind:     hidden_grid_dims
    .group_segment_fixed_size: 12288
    .kernarg_segment_align: 8
    .kernarg_segment_size: 336
    .language:       OpenCL C
    .language_version:
      - 2
      - 0
    .max_flat_workgroup_size: 256
    .name:           _ZN9rocsparseL29gtsv_spike_block_level_kernelILj256ELj64EdEEviiiPT1_PKS1_S4_S2_S2_S2_S2_S2_
    .private_segment_fixed_size: 0
    .sgpr_count:     28
    .sgpr_spill_count: 0
    .symbol:         _ZN9rocsparseL29gtsv_spike_block_level_kernelILj256ELj64EdEEviiiPT1_PKS1_S4_S2_S2_S2_S2_S2_.kd
    .uniform_work_group_size: 1
    .uses_dynamic_stack: false
    .vgpr_count:     42
    .vgpr_spill_count: 0
    .wavefront_size: 64
  - .args:
      - .offset:         0
        .size:           4
        .value_kind:     by_value
      - .offset:         4
        .size:           4
        .value_kind:     by_value
      - .offset:         8
        .size:           4
        .value_kind:     by_value
      - .address_space:  global
        .offset:         16
        .size:           8
        .value_kind:     global_buffer
      - .actual_access:  read_only
        .address_space:  global
        .offset:         24
        .size:           8
        .value_kind:     global_buffer
      - .actual_access:  read_only
        .address_space:  global
        .offset:         32
        .size:           8
        .value_kind:     global_buffer
      - .actual_access:  read_only
        .address_space:  global
        .offset:         40
        .size:           8
        .value_kind:     global_buffer
      - .offset:         48
        .size:           4
        .value_kind:     hidden_block_count_x
      - .offset:         52
        .size:           4
        .value_kind:     hidden_block_count_y
      - .offset:         56
        .size:           4
        .value_kind:     hidden_block_count_z
      - .offset:         60
        .size:           2
        .value_kind:     hidden_group_size_x
      - .offset:         62
        .size:           2
        .value_kind:     hidden_group_size_y
      - .offset:         64
        .size:           2
        .value_kind:     hidden_group_size_z
      - .offset:         66
        .size:           2
        .value_kind:     hidden_remainder_x
      - .offset:         68
        .size:           2
        .value_kind:     hidden_remainder_y
      - .offset:         70
        .size:           2
        .value_kind:     hidden_remainder_z
      - .offset:         88
        .size:           8
        .value_kind:     hidden_global_offset_x
      - .offset:         96
        .size:           8
        .value_kind:     hidden_global_offset_y
      - .offset:         104
        .size:           8
        .value_kind:     hidden_global_offset_z
      - .offset:         112
        .size:           2
        .value_kind:     hidden_grid_dims
    .group_segment_fixed_size: 12304
    .kernarg_segment_align: 8
    .kernarg_segment_size: 304
    .language:       OpenCL C
    .language_version:
      - 2
      - 0
    .max_flat_workgroup_size: 256
    .name:           _ZN9rocsparseL33gtsv_solve_spike_propagate_kernelILj256ELj64EdEEviiiPT1_PKS1_S4_S4_
    .private_segment_fixed_size: 0
    .sgpr_count:     22
    .sgpr_spill_count: 0
    .symbol:         _ZN9rocsparseL33gtsv_solve_spike_propagate_kernelILj256ELj64EdEEviiiPT1_PKS1_S4_S4_.kd
    .uniform_work_group_size: 1
    .uses_dynamic_stack: false
    .vgpr_count:     17
    .vgpr_spill_count: 0
    .wavefront_size: 64
  - .args:
      - .offset:         0
        .size:           4
        .value_kind:     by_value
      - .offset:         4
        .size:           4
        .value_kind:     by_value
      - .offset:         8
        .size:           4
        .value_kind:     by_value
      - .address_space:  global
        .offset:         16
        .size:           8
        .value_kind:     global_buffer
      - .actual_access:  read_only
        .address_space:  global
        .offset:         24
        .size:           8
        .value_kind:     global_buffer
      - .actual_access:  read_only
        .address_space:  global
        .offset:         32
        .size:           8
        .value_kind:     global_buffer
    .group_segment_fixed_size: 0
    .kernarg_segment_align: 8
    .kernarg_segment_size: 40
    .language:       OpenCL C
    .language_version:
      - 2
      - 0
    .max_flat_workgroup_size: 256
    .name:           _ZN9rocsparseL39gtsv_spike_backward_substitution_kernelILj256ELj64EdEEviiiPT1_PKS1_S4_
    .private_segment_fixed_size: 0
    .sgpr_count:     17
    .sgpr_spill_count: 0
    .symbol:         _ZN9rocsparseL39gtsv_spike_backward_substitution_kernelILj256ELj64EdEEviiiPT1_PKS1_S4_.kd
    .uniform_work_group_size: 1
    .uses_dynamic_stack: false
    .vgpr_count:     24
    .vgpr_spill_count: 0
    .wavefront_size: 64
  - .args:
      - .offset:         0
        .size:           4
        .value_kind:     by_value
      - .offset:         4
        .size:           4
        .value_kind:     by_value
      - .offset:         8
        .size:           4
        .value_kind:     by_value
      - .actual_access:  read_only
        .address_space:  global
        .offset:         16
        .size:           8
        .value_kind:     global_buffer
      - .actual_access:  write_only
        .address_space:  global
        .offset:         24
        .size:           8
        .value_kind:     global_buffer
    .group_segment_fixed_size: 0
    .kernarg_segment_align: 8
    .kernarg_segment_size: 32
    .language:       OpenCL C
    .language_version:
      - 2
      - 0
    .max_flat_workgroup_size: 256
    .name:           _ZN9rocsparseL32gtsv_transpose_back_array_kernelILj256ELj64EdEEviiiPKT1_PS1_
    .private_segment_fixed_size: 0
    .sgpr_count:     16
    .sgpr_spill_count: 0
    .symbol:         _ZN9rocsparseL32gtsv_transpose_back_array_kernelILj256ELj64EdEEviiiPKT1_PS1_.kd
    .uniform_work_group_size: 1
    .uses_dynamic_stack: false
    .vgpr_count:     5
    .vgpr_spill_count: 0
    .wavefront_size: 64
  - .args:
      - .offset:         0
        .size:           4
        .value_kind:     by_value
      - .offset:         4
        .size:           4
        .value_kind:     by_value
      - .offset:         8
        .size:           4
        .value_kind:     by_value
      - .actual_access:  read_only
        .address_space:  global
        .offset:         16
        .size:           8
        .value_kind:     global_buffer
      - .actual_access:  write_only
        .address_space:  global
        .offset:         24
        .size:           8
        .value_kind:     global_buffer
      - .offset:         32
        .size:           8
        .value_kind:     by_value
    .group_segment_fixed_size: 2048
    .kernarg_segment_align: 8
    .kernarg_segment_size: 40
    .language:       OpenCL C
    .language_version:
      - 2
      - 0
    .max_flat_workgroup_size: 256
    .name:           _ZN9rocsparseL42gtsv_transpose_and_pad_array_shared_kernelILj256ELj128EdEEviiiPKT1_PS1_S1_
    .private_segment_fixed_size: 0
    .sgpr_count:     16
    .sgpr_spill_count: 0
    .symbol:         _ZN9rocsparseL42gtsv_transpose_and_pad_array_shared_kernelILj256ELj128EdEEviiiPKT1_PS1_S1_.kd
    .uniform_work_group_size: 1
    .uses_dynamic_stack: false
    .vgpr_count:     5
    .vgpr_spill_count: 0
    .wavefront_size: 64
  - .args:
      - .offset:         0
        .size:           4
        .value_kind:     by_value
      - .offset:         4
        .size:           4
        .value_kind:     by_value
      - .offset:         8
        .size:           4
        .value_kind:     by_value
      - .actual_access:  read_only
        .address_space:  global
        .offset:         16
        .size:           8
        .value_kind:     global_buffer
      - .actual_access:  read_only
        .address_space:  global
        .offset:         24
        .size:           8
        .value_kind:     global_buffer
      - .actual_access:  read_only
        .address_space:  global
        .offset:         32
        .size:           8
        .value_kind:     global_buffer
      - .address_space:  global
        .offset:         40
        .size:           8
        .value_kind:     global_buffer
      - .address_space:  global
        .offset:         48
        .size:           8
        .value_kind:     global_buffer
      - .address_space:  global
        .offset:         56
        .size:           8
        .value_kind:     global_buffer
      - .address_space:  global
        .offset:         64
        .size:           8
        .value_kind:     global_buffer
    .group_segment_fixed_size: 0
    .kernarg_segment_align: 8
    .kernarg_segment_size: 72
    .language:       OpenCL C
    .language_version:
      - 2
      - 0
    .max_flat_workgroup_size: 256
    .name:           _ZN9rocsparseL18gtsv_LBM_wv_kernelILj256ELj128EdEEviiiPKT1_S3_S3_PS1_S4_S4_Pi
    .private_segment_fixed_size: 0
    .sgpr_count:     35
    .sgpr_spill_count: 0
    .symbol:         _ZN9rocsparseL18gtsv_LBM_wv_kernelILj256ELj128EdEEviiiPKT1_S3_S3_PS1_S4_S4_Pi.kd
    .uniform_work_group_size: 1
    .uses_dynamic_stack: false
    .vgpr_count:     56
    .vgpr_spill_count: 0
    .wavefront_size: 64
  - .args:
      - .offset:         0
        .size:           4
        .value_kind:     by_value
      - .offset:         4
        .size:           4
        .value_kind:     by_value
      - .offset:         8
        .size:           4
        .value_kind:     by_value
      - .actual_access:  read_only
        .address_space:  global
        .offset:         16
        .size:           8
        .value_kind:     global_buffer
      - .actual_access:  read_only
        .address_space:  global
        .offset:         24
        .size:           8
        .value_kind:     global_buffer
      - .actual_access:  read_only
        .address_space:  global
        .offset:         32
        .size:           8
        .value_kind:     global_buffer
      - .address_space:  global
        .offset:         40
        .size:           8
        .value_kind:     global_buffer
      - .actual_access:  read_only
        .address_space:  global
        .offset:         48
        .size:           8
        .value_kind:     global_buffer
      - .actual_access:  read_only
        .address_space:  global
        .offset:         56
        .size:           8
        .value_kind:     global_buffer
    .group_segment_fixed_size: 0
    .kernarg_segment_align: 8
    .kernarg_segment_size: 64
    .language:       OpenCL C
    .language_version:
      - 2
      - 0
    .max_flat_workgroup_size: 256
    .name:           _ZN9rocsparseL19gtsv_LBM_rhs_kernelILj256ELj128ELj8EdEEviiiPKT2_S3_S3_PS1_S3_PKi
    .private_segment_fixed_size: 0
    .sgpr_count:     41
    .sgpr_spill_count: 0
    .symbol:         _ZN9rocsparseL19gtsv_LBM_rhs_kernelILj256ELj128ELj8EdEEviiiPKT2_S3_S3_PS1_S3_PKi.kd
    .uniform_work_group_size: 1
    .uses_dynamic_stack: false
    .vgpr_count:     117
    .vgpr_spill_count: 0
    .wavefront_size: 64
  - .args:
      - .offset:         0
        .size:           4
        .value_kind:     by_value
      - .offset:         4
        .size:           4
        .value_kind:     by_value
      - .offset:         8
        .size:           4
        .value_kind:     by_value
      - .actual_access:  read_only
        .address_space:  global
        .offset:         16
        .size:           8
        .value_kind:     global_buffer
      - .actual_access:  read_only
        .address_space:  global
        .offset:         24
        .size:           8
        .value_kind:     global_buffer
      - .actual_access:  read_only
        .address_space:  global
        .offset:         32
        .size:           8
        .value_kind:     global_buffer
      - .address_space:  global
        .offset:         40
        .size:           8
        .value_kind:     global_buffer
      - .actual_access:  read_only
        .address_space:  global
        .offset:         48
        .size:           8
        .value_kind:     global_buffer
      - .actual_access:  read_only
        .address_space:  global
        .offset:         56
        .size:           8
        .value_kind:     global_buffer
    .group_segment_fixed_size: 0
    .kernarg_segment_align: 8
    .kernarg_segment_size: 64
    .language:       OpenCL C
    .language_version:
      - 2
      - 0
    .max_flat_workgroup_size: 256
    .name:           _ZN9rocsparseL19gtsv_LBM_rhs_kernelILj256ELj128ELj4EdEEviiiPKT2_S3_S3_PS1_S3_PKi
    .private_segment_fixed_size: 0
    .sgpr_count:     36
    .sgpr_spill_count: 0
    .symbol:         _ZN9rocsparseL19gtsv_LBM_rhs_kernelILj256ELj128ELj4EdEEviiiPKT2_S3_S3_PS1_S3_PKi.kd
    .uniform_work_group_size: 1
    .uses_dynamic_stack: false
    .vgpr_count:     55
    .vgpr_spill_count: 0
    .wavefront_size: 64
  - .args:
      - .offset:         0
        .size:           4
        .value_kind:     by_value
      - .offset:         4
        .size:           4
        .value_kind:     by_value
      - .offset:         8
        .size:           4
        .value_kind:     by_value
      - .actual_access:  read_only
        .address_space:  global
        .offset:         16
        .size:           8
        .value_kind:     global_buffer
      - .actual_access:  read_only
        .address_space:  global
        .offset:         24
        .size:           8
        .value_kind:     global_buffer
      - .actual_access:  read_only
        .address_space:  global
        .offset:         32
        .size:           8
        .value_kind:     global_buffer
      - .address_space:  global
        .offset:         40
        .size:           8
        .value_kind:     global_buffer
      - .actual_access:  read_only
        .address_space:  global
        .offset:         48
        .size:           8
        .value_kind:     global_buffer
      - .actual_access:  read_only
        .address_space:  global
        .offset:         56
        .size:           8
        .value_kind:     global_buffer
    .group_segment_fixed_size: 0
    .kernarg_segment_align: 8
    .kernarg_segment_size: 64
    .language:       OpenCL C
    .language_version:
      - 2
      - 0
    .max_flat_workgroup_size: 256
    .name:           _ZN9rocsparseL19gtsv_LBM_rhs_kernelILj256ELj128ELj2EdEEviiiPKT2_S3_S3_PS1_S3_PKi
    .private_segment_fixed_size: 0
    .sgpr_count:     34
    .sgpr_spill_count: 0
    .symbol:         _ZN9rocsparseL19gtsv_LBM_rhs_kernelILj256ELj128ELj2EdEEviiiPKT2_S3_S3_PS1_S3_PKi.kd
    .uniform_work_group_size: 1
    .uses_dynamic_stack: false
    .vgpr_count:     39
    .vgpr_spill_count: 0
    .wavefront_size: 64
  - .args:
      - .offset:         0
        .size:           4
        .value_kind:     by_value
      - .offset:         4
        .size:           4
        .value_kind:     by_value
      - .offset:         8
        .size:           4
        .value_kind:     by_value
      - .actual_access:  read_only
        .address_space:  global
        .offset:         16
        .size:           8
        .value_kind:     global_buffer
      - .actual_access:  read_only
        .address_space:  global
        .offset:         24
        .size:           8
        .value_kind:     global_buffer
      - .actual_access:  read_only
        .address_space:  global
        .offset:         32
        .size:           8
        .value_kind:     global_buffer
      - .address_space:  global
        .offset:         40
        .size:           8
        .value_kind:     global_buffer
      - .actual_access:  read_only
        .address_space:  global
        .offset:         48
        .size:           8
        .value_kind:     global_buffer
      - .actual_access:  read_only
        .address_space:  global
        .offset:         56
        .size:           8
        .value_kind:     global_buffer
    .group_segment_fixed_size: 0
    .kernarg_segment_align: 8
    .kernarg_segment_size: 64
    .language:       OpenCL C
    .language_version:
      - 2
      - 0
    .max_flat_workgroup_size: 256
    .name:           _ZN9rocsparseL19gtsv_LBM_rhs_kernelILj256ELj128ELj1EdEEviiiPKT2_S3_S3_PS1_S3_PKi
    .private_segment_fixed_size: 0
    .sgpr_count:     32
    .sgpr_spill_count: 0
    .symbol:         _ZN9rocsparseL19gtsv_LBM_rhs_kernelILj256ELj128ELj1EdEEviiiPKT2_S3_S3_PS1_S3_PKi.kd
    .uniform_work_group_size: 1
    .uses_dynamic_stack: false
    .vgpr_count:     34
    .vgpr_spill_count: 0
    .wavefront_size: 64
  - .args:
      - .offset:         0
        .size:           4
        .value_kind:     by_value
      - .offset:         4
        .size:           4
        .value_kind:     by_value
      - .offset:         8
        .size:           4
        .value_kind:     by_value
      - .address_space:  global
        .offset:         16
        .size:           8
        .value_kind:     global_buffer
      - .actual_access:  read_only
        .address_space:  global
        .offset:         24
        .size:           8
        .value_kind:     global_buffer
      - .actual_access:  read_only
        .address_space:  global
        .offset:         32
        .size:           8
        .value_kind:     global_buffer
      - .actual_access:  write_only
        .address_space:  global
        .offset:         40
        .size:           8
        .value_kind:     global_buffer
      - .actual_access:  write_only
        .address_space:  global
        .offset:         48
        .size:           8
        .value_kind:     global_buffer
      - .actual_access:  write_only
        .address_space:  global
        .offset:         56
        .size:           8
        .value_kind:     global_buffer
      - .actual_access:  write_only
        .address_space:  global
        .offset:         64
        .size:           8
        .value_kind:     global_buffer
      - .actual_access:  write_only
        .address_space:  global
        .offset:         72
        .size:           8
        .value_kind:     global_buffer
      - .offset:         80
        .size:           4
        .value_kind:     hidden_block_count_x
      - .offset:         84
        .size:           4
        .value_kind:     hidden_block_count_y
      - .offset:         88
        .size:           4
        .value_kind:     hidden_block_count_z
      - .offset:         92
        .size:           2
        .value_kind:     hidden_group_size_x
      - .offset:         94
        .size:           2
        .value_kind:     hidden_group_size_y
      - .offset:         96
        .size:           2
        .value_kind:     hidden_group_size_z
      - .offset:         98
        .size:           2
        .value_kind:     hidden_remainder_x
      - .offset:         100
        .size:           2
        .value_kind:     hidden_remainder_y
      - .offset:         102
        .size:           2
        .value_kind:     hidden_remainder_z
      - .offset:         120
        .size:           8
        .value_kind:     hidden_global_offset_x
      - .offset:         128
        .size:           8
        .value_kind:     hidden_global_offset_y
      - .offset:         136
        .size:           8
        .value_kind:     hidden_global_offset_z
      - .offset:         144
        .size:           2
        .value_kind:     hidden_grid_dims
    .group_segment_fixed_size: 12288
    .kernarg_segment_align: 8
    .kernarg_segment_size: 336
    .language:       OpenCL C
    .language_version:
      - 2
      - 0
    .max_flat_workgroup_size: 256
    .name:           _ZN9rocsparseL29gtsv_spike_block_level_kernelILj256ELj128EdEEviiiPT1_PKS1_S4_S2_S2_S2_S2_S2_
    .private_segment_fixed_size: 0
    .sgpr_count:     28
    .sgpr_spill_count: 0
    .symbol:         _ZN9rocsparseL29gtsv_spike_block_level_kernelILj256ELj128EdEEviiiPT1_PKS1_S4_S2_S2_S2_S2_S2_.kd
    .uniform_work_group_size: 1
    .uses_dynamic_stack: false
    .vgpr_count:     42
    .vgpr_spill_count: 0
    .wavefront_size: 64
  - .args:
      - .offset:         0
        .size:           4
        .value_kind:     by_value
      - .offset:         4
        .size:           4
        .value_kind:     by_value
      - .offset:         8
        .size:           4
        .value_kind:     by_value
      - .address_space:  global
        .offset:         16
        .size:           8
        .value_kind:     global_buffer
      - .actual_access:  read_only
        .address_space:  global
        .offset:         24
        .size:           8
        .value_kind:     global_buffer
      - .actual_access:  read_only
        .address_space:  global
        .offset:         32
        .size:           8
        .value_kind:     global_buffer
      - .actual_access:  read_only
        .address_space:  global
        .offset:         40
        .size:           8
        .value_kind:     global_buffer
      - .offset:         48
        .size:           4
        .value_kind:     hidden_block_count_x
      - .offset:         52
        .size:           4
        .value_kind:     hidden_block_count_y
      - .offset:         56
        .size:           4
        .value_kind:     hidden_block_count_z
      - .offset:         60
        .size:           2
        .value_kind:     hidden_group_size_x
      - .offset:         62
        .size:           2
        .value_kind:     hidden_group_size_y
      - .offset:         64
        .size:           2
        .value_kind:     hidden_group_size_z
      - .offset:         66
        .size:           2
        .value_kind:     hidden_remainder_x
      - .offset:         68
        .size:           2
        .value_kind:     hidden_remainder_y
      - .offset:         70
        .size:           2
        .value_kind:     hidden_remainder_z
      - .offset:         88
        .size:           8
        .value_kind:     hidden_global_offset_x
      - .offset:         96
        .size:           8
        .value_kind:     hidden_global_offset_y
      - .offset:         104
        .size:           8
        .value_kind:     hidden_global_offset_z
      - .offset:         112
        .size:           2
        .value_kind:     hidden_grid_dims
    .group_segment_fixed_size: 12304
    .kernarg_segment_align: 8
    .kernarg_segment_size: 304
    .language:       OpenCL C
    .language_version:
      - 2
      - 0
    .max_flat_workgroup_size: 256
    .name:           _ZN9rocsparseL33gtsv_solve_spike_propagate_kernelILj256ELj128EdEEviiiPT1_PKS1_S4_S4_
    .private_segment_fixed_size: 0
    .sgpr_count:     22
    .sgpr_spill_count: 0
    .symbol:         _ZN9rocsparseL33gtsv_solve_spike_propagate_kernelILj256ELj128EdEEviiiPT1_PKS1_S4_S4_.kd
    .uniform_work_group_size: 1
    .uses_dynamic_stack: false
    .vgpr_count:     17
    .vgpr_spill_count: 0
    .wavefront_size: 64
  - .args:
      - .offset:         0
        .size:           4
        .value_kind:     by_value
      - .offset:         4
        .size:           4
        .value_kind:     by_value
      - .offset:         8
        .size:           4
        .value_kind:     by_value
      - .address_space:  global
        .offset:         16
        .size:           8
        .value_kind:     global_buffer
      - .actual_access:  read_only
        .address_space:  global
        .offset:         24
        .size:           8
        .value_kind:     global_buffer
      - .actual_access:  read_only
        .address_space:  global
        .offset:         32
        .size:           8
        .value_kind:     global_buffer
    .group_segment_fixed_size: 0
    .kernarg_segment_align: 8
    .kernarg_segment_size: 40
    .language:       OpenCL C
    .language_version:
      - 2
      - 0
    .max_flat_workgroup_size: 256
    .name:           _ZN9rocsparseL39gtsv_spike_backward_substitution_kernelILj256ELj128EdEEviiiPT1_PKS1_S4_
    .private_segment_fixed_size: 0
    .sgpr_count:     17
    .sgpr_spill_count: 0
    .symbol:         _ZN9rocsparseL39gtsv_spike_backward_substitution_kernelILj256ELj128EdEEviiiPT1_PKS1_S4_.kd
    .uniform_work_group_size: 1
    .uses_dynamic_stack: false
    .vgpr_count:     31
    .vgpr_spill_count: 0
    .wavefront_size: 64
  - .args:
      - .offset:         0
        .size:           4
        .value_kind:     by_value
      - .offset:         4
        .size:           4
        .value_kind:     by_value
      - .offset:         8
        .size:           4
        .value_kind:     by_value
      - .actual_access:  read_only
        .address_space:  global
        .offset:         16
        .size:           8
        .value_kind:     global_buffer
      - .actual_access:  write_only
        .address_space:  global
        .offset:         24
        .size:           8
        .value_kind:     global_buffer
    .group_segment_fixed_size: 0
    .kernarg_segment_align: 8
    .kernarg_segment_size: 32
    .language:       OpenCL C
    .language_version:
      - 2
      - 0
    .max_flat_workgroup_size: 256
    .name:           _ZN9rocsparseL32gtsv_transpose_back_array_kernelILj256ELj128EdEEviiiPKT1_PS1_
    .private_segment_fixed_size: 0
    .sgpr_count:     16
    .sgpr_spill_count: 0
    .symbol:         _ZN9rocsparseL32gtsv_transpose_back_array_kernelILj256ELj128EdEEviiiPKT1_PS1_.kd
    .uniform_work_group_size: 1
    .uses_dynamic_stack: false
    .vgpr_count:     5
    .vgpr_spill_count: 0
    .wavefront_size: 64
  - .args:
      - .offset:         0
        .size:           4
        .value_kind:     by_value
      - .offset:         4
        .size:           4
        .value_kind:     by_value
      - .offset:         8
        .size:           4
        .value_kind:     by_value
      - .actual_access:  read_only
        .address_space:  global
        .offset:         16
        .size:           8
        .value_kind:     global_buffer
      - .actual_access:  write_only
        .address_space:  global
        .offset:         24
        .size:           8
        .value_kind:     global_buffer
      - .offset:         32
        .size:           8
        .value_kind:     by_value
    .group_segment_fixed_size: 2048
    .kernarg_segment_align: 8
    .kernarg_segment_size: 40
    .language:       OpenCL C
    .language_version:
      - 2
      - 0
    .max_flat_workgroup_size: 256
    .name:           _ZN9rocsparseL42gtsv_transpose_and_pad_array_shared_kernelILj256ELj256EdEEviiiPKT1_PS1_S1_
    .private_segment_fixed_size: 0
    .sgpr_count:     16
    .sgpr_spill_count: 0
    .symbol:         _ZN9rocsparseL42gtsv_transpose_and_pad_array_shared_kernelILj256ELj256EdEEviiiPKT1_PS1_S1_.kd
    .uniform_work_group_size: 1
    .uses_dynamic_stack: false
    .vgpr_count:     5
    .vgpr_spill_count: 0
    .wavefront_size: 64
  - .args:
      - .offset:         0
        .size:           4
        .value_kind:     by_value
      - .offset:         4
        .size:           4
        .value_kind:     by_value
      - .offset:         8
        .size:           4
        .value_kind:     by_value
      - .actual_access:  read_only
        .address_space:  global
        .offset:         16
        .size:           8
        .value_kind:     global_buffer
      - .actual_access:  read_only
        .address_space:  global
        .offset:         24
        .size:           8
        .value_kind:     global_buffer
      - .actual_access:  read_only
        .address_space:  global
        .offset:         32
        .size:           8
        .value_kind:     global_buffer
      - .address_space:  global
        .offset:         40
        .size:           8
        .value_kind:     global_buffer
      - .address_space:  global
        .offset:         48
        .size:           8
        .value_kind:     global_buffer
      - .address_space:  global
        .offset:         56
        .size:           8
        .value_kind:     global_buffer
      - .address_space:  global
        .offset:         64
        .size:           8
        .value_kind:     global_buffer
    .group_segment_fixed_size: 0
    .kernarg_segment_align: 8
    .kernarg_segment_size: 72
    .language:       OpenCL C
    .language_version:
      - 2
      - 0
    .max_flat_workgroup_size: 256
    .name:           _ZN9rocsparseL18gtsv_LBM_wv_kernelILj256ELj256EdEEviiiPKT1_S3_S3_PS1_S4_S4_Pi
    .private_segment_fixed_size: 0
    .sgpr_count:     35
    .sgpr_spill_count: 0
    .symbol:         _ZN9rocsparseL18gtsv_LBM_wv_kernelILj256ELj256EdEEviiiPKT1_S3_S3_PS1_S4_S4_Pi.kd
    .uniform_work_group_size: 1
    .uses_dynamic_stack: false
    .vgpr_count:     56
    .vgpr_spill_count: 0
    .wavefront_size: 64
  - .args:
      - .offset:         0
        .size:           4
        .value_kind:     by_value
      - .offset:         4
        .size:           4
        .value_kind:     by_value
      - .offset:         8
        .size:           4
        .value_kind:     by_value
      - .actual_access:  read_only
        .address_space:  global
        .offset:         16
        .size:           8
        .value_kind:     global_buffer
      - .actual_access:  read_only
        .address_space:  global
        .offset:         24
        .size:           8
        .value_kind:     global_buffer
      - .actual_access:  read_only
        .address_space:  global
        .offset:         32
        .size:           8
        .value_kind:     global_buffer
      - .address_space:  global
        .offset:         40
        .size:           8
        .value_kind:     global_buffer
      - .actual_access:  read_only
        .address_space:  global
        .offset:         48
        .size:           8
        .value_kind:     global_buffer
      - .actual_access:  read_only
        .address_space:  global
        .offset:         56
        .size:           8
        .value_kind:     global_buffer
    .group_segment_fixed_size: 0
    .kernarg_segment_align: 8
    .kernarg_segment_size: 64
    .language:       OpenCL C
    .language_version:
      - 2
      - 0
    .max_flat_workgroup_size: 256
    .name:           _ZN9rocsparseL19gtsv_LBM_rhs_kernelILj256ELj256ELj8EdEEviiiPKT2_S3_S3_PS1_S3_PKi
    .private_segment_fixed_size: 0
    .sgpr_count:     41
    .sgpr_spill_count: 0
    .symbol:         _ZN9rocsparseL19gtsv_LBM_rhs_kernelILj256ELj256ELj8EdEEviiiPKT2_S3_S3_PS1_S3_PKi.kd
    .uniform_work_group_size: 1
    .uses_dynamic_stack: false
    .vgpr_count:     117
    .vgpr_spill_count: 0
    .wavefront_size: 64
  - .args:
      - .offset:         0
        .size:           4
        .value_kind:     by_value
      - .offset:         4
        .size:           4
        .value_kind:     by_value
      - .offset:         8
        .size:           4
        .value_kind:     by_value
      - .actual_access:  read_only
        .address_space:  global
        .offset:         16
        .size:           8
        .value_kind:     global_buffer
      - .actual_access:  read_only
        .address_space:  global
        .offset:         24
        .size:           8
        .value_kind:     global_buffer
      - .actual_access:  read_only
        .address_space:  global
        .offset:         32
        .size:           8
        .value_kind:     global_buffer
      - .address_space:  global
        .offset:         40
        .size:           8
        .value_kind:     global_buffer
      - .actual_access:  read_only
        .address_space:  global
        .offset:         48
        .size:           8
        .value_kind:     global_buffer
      - .actual_access:  read_only
        .address_space:  global
        .offset:         56
        .size:           8
        .value_kind:     global_buffer
    .group_segment_fixed_size: 0
    .kernarg_segment_align: 8
    .kernarg_segment_size: 64
    .language:       OpenCL C
    .language_version:
      - 2
      - 0
    .max_flat_workgroup_size: 256
    .name:           _ZN9rocsparseL19gtsv_LBM_rhs_kernelILj256ELj256ELj4EdEEviiiPKT2_S3_S3_PS1_S3_PKi
    .private_segment_fixed_size: 0
    .sgpr_count:     36
    .sgpr_spill_count: 0
    .symbol:         _ZN9rocsparseL19gtsv_LBM_rhs_kernelILj256ELj256ELj4EdEEviiiPKT2_S3_S3_PS1_S3_PKi.kd
    .uniform_work_group_size: 1
    .uses_dynamic_stack: false
    .vgpr_count:     55
    .vgpr_spill_count: 0
    .wavefront_size: 64
  - .args:
      - .offset:         0
        .size:           4
        .value_kind:     by_value
      - .offset:         4
        .size:           4
        .value_kind:     by_value
      - .offset:         8
        .size:           4
        .value_kind:     by_value
      - .actual_access:  read_only
        .address_space:  global
        .offset:         16
        .size:           8
        .value_kind:     global_buffer
      - .actual_access:  read_only
        .address_space:  global
        .offset:         24
        .size:           8
        .value_kind:     global_buffer
      - .actual_access:  read_only
        .address_space:  global
        .offset:         32
        .size:           8
        .value_kind:     global_buffer
      - .address_space:  global
        .offset:         40
        .size:           8
        .value_kind:     global_buffer
      - .actual_access:  read_only
        .address_space:  global
        .offset:         48
        .size:           8
        .value_kind:     global_buffer
      - .actual_access:  read_only
        .address_space:  global
        .offset:         56
        .size:           8
        .value_kind:     global_buffer
    .group_segment_fixed_size: 0
    .kernarg_segment_align: 8
    .kernarg_segment_size: 64
    .language:       OpenCL C
    .language_version:
      - 2
      - 0
    .max_flat_workgroup_size: 256
    .name:           _ZN9rocsparseL19gtsv_LBM_rhs_kernelILj256ELj256ELj2EdEEviiiPKT2_S3_S3_PS1_S3_PKi
    .private_segment_fixed_size: 0
    .sgpr_count:     34
    .sgpr_spill_count: 0
    .symbol:         _ZN9rocsparseL19gtsv_LBM_rhs_kernelILj256ELj256ELj2EdEEviiiPKT2_S3_S3_PS1_S3_PKi.kd
    .uniform_work_group_size: 1
    .uses_dynamic_stack: false
    .vgpr_count:     39
    .vgpr_spill_count: 0
    .wavefront_size: 64
  - .args:
      - .offset:         0
        .size:           4
        .value_kind:     by_value
      - .offset:         4
        .size:           4
        .value_kind:     by_value
      - .offset:         8
        .size:           4
        .value_kind:     by_value
      - .actual_access:  read_only
        .address_space:  global
        .offset:         16
        .size:           8
        .value_kind:     global_buffer
      - .actual_access:  read_only
        .address_space:  global
        .offset:         24
        .size:           8
        .value_kind:     global_buffer
      - .actual_access:  read_only
        .address_space:  global
        .offset:         32
        .size:           8
        .value_kind:     global_buffer
      - .address_space:  global
        .offset:         40
        .size:           8
        .value_kind:     global_buffer
      - .actual_access:  read_only
        .address_space:  global
        .offset:         48
        .size:           8
        .value_kind:     global_buffer
      - .actual_access:  read_only
        .address_space:  global
        .offset:         56
        .size:           8
        .value_kind:     global_buffer
    .group_segment_fixed_size: 0
    .kernarg_segment_align: 8
    .kernarg_segment_size: 64
    .language:       OpenCL C
    .language_version:
      - 2
      - 0
    .max_flat_workgroup_size: 256
    .name:           _ZN9rocsparseL19gtsv_LBM_rhs_kernelILj256ELj256ELj1EdEEviiiPKT2_S3_S3_PS1_S3_PKi
    .private_segment_fixed_size: 0
    .sgpr_count:     32
    .sgpr_spill_count: 0
    .symbol:         _ZN9rocsparseL19gtsv_LBM_rhs_kernelILj256ELj256ELj1EdEEviiiPKT2_S3_S3_PS1_S3_PKi.kd
    .uniform_work_group_size: 1
    .uses_dynamic_stack: false
    .vgpr_count:     34
    .vgpr_spill_count: 0
    .wavefront_size: 64
  - .args:
      - .offset:         0
        .size:           4
        .value_kind:     by_value
      - .offset:         4
        .size:           4
        .value_kind:     by_value
      - .offset:         8
        .size:           4
        .value_kind:     by_value
      - .address_space:  global
        .offset:         16
        .size:           8
        .value_kind:     global_buffer
      - .actual_access:  read_only
        .address_space:  global
        .offset:         24
        .size:           8
        .value_kind:     global_buffer
      - .actual_access:  read_only
        .address_space:  global
        .offset:         32
        .size:           8
        .value_kind:     global_buffer
      - .actual_access:  write_only
        .address_space:  global
        .offset:         40
        .size:           8
        .value_kind:     global_buffer
      - .actual_access:  write_only
        .address_space:  global
        .offset:         48
        .size:           8
        .value_kind:     global_buffer
      - .actual_access:  write_only
        .address_space:  global
        .offset:         56
        .size:           8
        .value_kind:     global_buffer
      - .actual_access:  write_only
        .address_space:  global
        .offset:         64
        .size:           8
        .value_kind:     global_buffer
      - .actual_access:  write_only
        .address_space:  global
        .offset:         72
        .size:           8
        .value_kind:     global_buffer
      - .offset:         80
        .size:           4
        .value_kind:     hidden_block_count_x
      - .offset:         84
        .size:           4
        .value_kind:     hidden_block_count_y
      - .offset:         88
        .size:           4
        .value_kind:     hidden_block_count_z
      - .offset:         92
        .size:           2
        .value_kind:     hidden_group_size_x
      - .offset:         94
        .size:           2
        .value_kind:     hidden_group_size_y
      - .offset:         96
        .size:           2
        .value_kind:     hidden_group_size_z
      - .offset:         98
        .size:           2
        .value_kind:     hidden_remainder_x
      - .offset:         100
        .size:           2
        .value_kind:     hidden_remainder_y
      - .offset:         102
        .size:           2
        .value_kind:     hidden_remainder_z
      - .offset:         120
        .size:           8
        .value_kind:     hidden_global_offset_x
      - .offset:         128
        .size:           8
        .value_kind:     hidden_global_offset_y
      - .offset:         136
        .size:           8
        .value_kind:     hidden_global_offset_z
      - .offset:         144
        .size:           2
        .value_kind:     hidden_grid_dims
    .group_segment_fixed_size: 12288
    .kernarg_segment_align: 8
    .kernarg_segment_size: 336
    .language:       OpenCL C
    .language_version:
      - 2
      - 0
    .max_flat_workgroup_size: 256
    .name:           _ZN9rocsparseL29gtsv_spike_block_level_kernelILj256ELj256EdEEviiiPT1_PKS1_S4_S2_S2_S2_S2_S2_
    .private_segment_fixed_size: 0
    .sgpr_count:     28
    .sgpr_spill_count: 0
    .symbol:         _ZN9rocsparseL29gtsv_spike_block_level_kernelILj256ELj256EdEEviiiPT1_PKS1_S4_S2_S2_S2_S2_S2_.kd
    .uniform_work_group_size: 1
    .uses_dynamic_stack: false
    .vgpr_count:     42
    .vgpr_spill_count: 0
    .wavefront_size: 64
  - .args:
      - .offset:         0
        .size:           4
        .value_kind:     by_value
      - .offset:         4
        .size:           4
        .value_kind:     by_value
      - .offset:         8
        .size:           4
        .value_kind:     by_value
      - .address_space:  global
        .offset:         16
        .size:           8
        .value_kind:     global_buffer
      - .actual_access:  read_only
        .address_space:  global
        .offset:         24
        .size:           8
        .value_kind:     global_buffer
      - .actual_access:  read_only
        .address_space:  global
        .offset:         32
        .size:           8
        .value_kind:     global_buffer
      - .actual_access:  read_only
        .address_space:  global
        .offset:         40
        .size:           8
        .value_kind:     global_buffer
      - .offset:         48
        .size:           4
        .value_kind:     hidden_block_count_x
      - .offset:         52
        .size:           4
        .value_kind:     hidden_block_count_y
      - .offset:         56
        .size:           4
        .value_kind:     hidden_block_count_z
      - .offset:         60
        .size:           2
        .value_kind:     hidden_group_size_x
      - .offset:         62
        .size:           2
        .value_kind:     hidden_group_size_y
      - .offset:         64
        .size:           2
        .value_kind:     hidden_group_size_z
      - .offset:         66
        .size:           2
        .value_kind:     hidden_remainder_x
      - .offset:         68
        .size:           2
        .value_kind:     hidden_remainder_y
      - .offset:         70
        .size:           2
        .value_kind:     hidden_remainder_z
      - .offset:         88
        .size:           8
        .value_kind:     hidden_global_offset_x
      - .offset:         96
        .size:           8
        .value_kind:     hidden_global_offset_y
      - .offset:         104
        .size:           8
        .value_kind:     hidden_global_offset_z
      - .offset:         112
        .size:           2
        .value_kind:     hidden_grid_dims
    .group_segment_fixed_size: 12304
    .kernarg_segment_align: 8
    .kernarg_segment_size: 304
    .language:       OpenCL C
    .language_version:
      - 2
      - 0
    .max_flat_workgroup_size: 256
    .name:           _ZN9rocsparseL33gtsv_solve_spike_propagate_kernelILj256ELj256EdEEviiiPT1_PKS1_S4_S4_
    .private_segment_fixed_size: 0
    .sgpr_count:     22
    .sgpr_spill_count: 0
    .symbol:         _ZN9rocsparseL33gtsv_solve_spike_propagate_kernelILj256ELj256EdEEviiiPT1_PKS1_S4_S4_.kd
    .uniform_work_group_size: 1
    .uses_dynamic_stack: false
    .vgpr_count:     17
    .vgpr_spill_count: 0
    .wavefront_size: 64
  - .args:
      - .offset:         0
        .size:           4
        .value_kind:     by_value
      - .offset:         4
        .size:           4
        .value_kind:     by_value
      - .offset:         8
        .size:           4
        .value_kind:     by_value
      - .address_space:  global
        .offset:         16
        .size:           8
        .value_kind:     global_buffer
      - .actual_access:  read_only
        .address_space:  global
        .offset:         24
        .size:           8
        .value_kind:     global_buffer
      - .actual_access:  read_only
        .address_space:  global
        .offset:         32
        .size:           8
        .value_kind:     global_buffer
    .group_segment_fixed_size: 0
    .kernarg_segment_align: 8
    .kernarg_segment_size: 40
    .language:       OpenCL C
    .language_version:
      - 2
      - 0
    .max_flat_workgroup_size: 256
    .name:           _ZN9rocsparseL39gtsv_spike_backward_substitution_kernelILj256ELj256EdEEviiiPT1_PKS1_S4_
    .private_segment_fixed_size: 0
    .sgpr_count:     17
    .sgpr_spill_count: 0
    .symbol:         _ZN9rocsparseL39gtsv_spike_backward_substitution_kernelILj256ELj256EdEEviiiPT1_PKS1_S4_.kd
    .uniform_work_group_size: 1
    .uses_dynamic_stack: false
    .vgpr_count:     24
    .vgpr_spill_count: 0
    .wavefront_size: 64
  - .args:
      - .offset:         0
        .size:           4
        .value_kind:     by_value
      - .offset:         4
        .size:           4
        .value_kind:     by_value
      - .offset:         8
        .size:           4
        .value_kind:     by_value
      - .actual_access:  read_only
        .address_space:  global
        .offset:         16
        .size:           8
        .value_kind:     global_buffer
      - .actual_access:  write_only
        .address_space:  global
        .offset:         24
        .size:           8
        .value_kind:     global_buffer
    .group_segment_fixed_size: 0
    .kernarg_segment_align: 8
    .kernarg_segment_size: 32
    .language:       OpenCL C
    .language_version:
      - 2
      - 0
    .max_flat_workgroup_size: 256
    .name:           _ZN9rocsparseL32gtsv_transpose_back_array_kernelILj256ELj256EdEEviiiPKT1_PS1_
    .private_segment_fixed_size: 0
    .sgpr_count:     16
    .sgpr_spill_count: 0
    .symbol:         _ZN9rocsparseL32gtsv_transpose_back_array_kernelILj256ELj256EdEEviiiPKT1_PS1_.kd
    .uniform_work_group_size: 1
    .uses_dynamic_stack: false
    .vgpr_count:     5
    .vgpr_spill_count: 0
    .wavefront_size: 64
  - .args:
      - .offset:         0
        .size:           4
        .value_kind:     by_value
      - .offset:         4
        .size:           4
        .value_kind:     by_value
      - .offset:         8
        .size:           4
        .value_kind:     by_value
      - .actual_access:  read_only
        .address_space:  global
        .offset:         16
        .size:           8
        .value_kind:     global_buffer
      - .actual_access:  write_only
        .address_space:  global
        .offset:         24
        .size:           8
        .value_kind:     global_buffer
      - .offset:         32
        .size:           8
        .value_kind:     by_value
    .group_segment_fixed_size: 2048
    .kernarg_segment_align: 8
    .kernarg_segment_size: 40
    .language:       OpenCL C
    .language_version:
      - 2
      - 0
    .max_flat_workgroup_size: 256
    .name:           _ZN9rocsparseL42gtsv_transpose_and_pad_array_shared_kernelILj256ELj2E21rocsparse_complex_numIfEEEviiiPKT1_PS3_S3_
    .private_segment_fixed_size: 0
    .sgpr_count:     16
    .sgpr_spill_count: 0
    .symbol:         _ZN9rocsparseL42gtsv_transpose_and_pad_array_shared_kernelILj256ELj2E21rocsparse_complex_numIfEEEviiiPKT1_PS3_S3_.kd
    .uniform_work_group_size: 1
    .uses_dynamic_stack: false
    .vgpr_count:     5
    .vgpr_spill_count: 0
    .wavefront_size: 64
  - .args:
      - .offset:         0
        .size:           4
        .value_kind:     by_value
      - .offset:         4
        .size:           4
        .value_kind:     by_value
      - .offset:         8
        .size:           4
        .value_kind:     by_value
      - .actual_access:  read_only
        .address_space:  global
        .offset:         16
        .size:           8
        .value_kind:     global_buffer
      - .actual_access:  read_only
        .address_space:  global
        .offset:         24
        .size:           8
        .value_kind:     global_buffer
      - .actual_access:  read_only
        .address_space:  global
        .offset:         32
        .size:           8
        .value_kind:     global_buffer
      - .address_space:  global
        .offset:         40
        .size:           8
        .value_kind:     global_buffer
      - .address_space:  global
        .offset:         48
        .size:           8
        .value_kind:     global_buffer
      - .address_space:  global
        .offset:         56
        .size:           8
        .value_kind:     global_buffer
      - .address_space:  global
        .offset:         64
        .size:           8
        .value_kind:     global_buffer
    .group_segment_fixed_size: 0
    .kernarg_segment_align: 8
    .kernarg_segment_size: 72
    .language:       OpenCL C
    .language_version:
      - 2
      - 0
    .max_flat_workgroup_size: 256
    .name:           _ZN9rocsparseL18gtsv_LBM_wv_kernelILj256ELj2E21rocsparse_complex_numIfEEEviiiPKT1_S5_S5_PS3_S6_S6_Pi
    .private_segment_fixed_size: 0
    .sgpr_count:     34
    .sgpr_spill_count: 0
    .symbol:         _ZN9rocsparseL18gtsv_LBM_wv_kernelILj256ELj2E21rocsparse_complex_numIfEEEviiiPKT1_S5_S5_PS3_S6_S6_Pi.kd
    .uniform_work_group_size: 1
    .uses_dynamic_stack: false
    .vgpr_count:     45
    .vgpr_spill_count: 0
    .wavefront_size: 64
  - .args:
      - .offset:         0
        .size:           4
        .value_kind:     by_value
      - .offset:         4
        .size:           4
        .value_kind:     by_value
      - .offset:         8
        .size:           4
        .value_kind:     by_value
      - .actual_access:  read_only
        .address_space:  global
        .offset:         16
        .size:           8
        .value_kind:     global_buffer
      - .actual_access:  read_only
        .address_space:  global
        .offset:         24
        .size:           8
        .value_kind:     global_buffer
      - .actual_access:  read_only
        .address_space:  global
        .offset:         32
        .size:           8
        .value_kind:     global_buffer
      - .address_space:  global
        .offset:         40
        .size:           8
        .value_kind:     global_buffer
      - .actual_access:  read_only
        .address_space:  global
        .offset:         48
        .size:           8
        .value_kind:     global_buffer
      - .actual_access:  read_only
        .address_space:  global
        .offset:         56
        .size:           8
        .value_kind:     global_buffer
    .group_segment_fixed_size: 0
    .kernarg_segment_align: 8
    .kernarg_segment_size: 64
    .language:       OpenCL C
    .language_version:
      - 2
      - 0
    .max_flat_workgroup_size: 256
    .name:           _ZN9rocsparseL19gtsv_LBM_rhs_kernelILj256ELj2ELj8E21rocsparse_complex_numIfEEEviiiPKT2_S5_S5_PS3_S5_PKi
    .private_segment_fixed_size: 0
    .sgpr_count:     36
    .sgpr_spill_count: 0
    .symbol:         _ZN9rocsparseL19gtsv_LBM_rhs_kernelILj256ELj2ELj8E21rocsparse_complex_numIfEEEviiiPKT2_S5_S5_PS3_S5_PKi.kd
    .uniform_work_group_size: 1
    .uses_dynamic_stack: false
    .vgpr_count:     81
    .vgpr_spill_count: 0
    .wavefront_size: 64
  - .args:
      - .offset:         0
        .size:           4
        .value_kind:     by_value
      - .offset:         4
        .size:           4
        .value_kind:     by_value
      - .offset:         8
        .size:           4
        .value_kind:     by_value
      - .actual_access:  read_only
        .address_space:  global
        .offset:         16
        .size:           8
        .value_kind:     global_buffer
      - .actual_access:  read_only
        .address_space:  global
        .offset:         24
        .size:           8
        .value_kind:     global_buffer
      - .actual_access:  read_only
        .address_space:  global
        .offset:         32
        .size:           8
        .value_kind:     global_buffer
      - .address_space:  global
        .offset:         40
        .size:           8
        .value_kind:     global_buffer
      - .actual_access:  read_only
        .address_space:  global
        .offset:         48
        .size:           8
        .value_kind:     global_buffer
      - .actual_access:  read_only
        .address_space:  global
        .offset:         56
        .size:           8
        .value_kind:     global_buffer
    .group_segment_fixed_size: 0
    .kernarg_segment_align: 8
    .kernarg_segment_size: 64
    .language:       OpenCL C
    .language_version:
      - 2
      - 0
    .max_flat_workgroup_size: 256
    .name:           _ZN9rocsparseL19gtsv_LBM_rhs_kernelILj256ELj2ELj4E21rocsparse_complex_numIfEEEviiiPKT2_S5_S5_PS3_S5_PKi
    .private_segment_fixed_size: 0
    .sgpr_count:     32
    .sgpr_spill_count: 0
    .symbol:         _ZN9rocsparseL19gtsv_LBM_rhs_kernelILj256ELj2ELj4E21rocsparse_complex_numIfEEEviiiPKT2_S5_S5_PS3_S5_PKi.kd
    .uniform_work_group_size: 1
    .uses_dynamic_stack: false
    .vgpr_count:     51
    .vgpr_spill_count: 0
    .wavefront_size: 64
  - .args:
      - .offset:         0
        .size:           4
        .value_kind:     by_value
      - .offset:         4
        .size:           4
        .value_kind:     by_value
      - .offset:         8
        .size:           4
        .value_kind:     by_value
      - .actual_access:  read_only
        .address_space:  global
        .offset:         16
        .size:           8
        .value_kind:     global_buffer
      - .actual_access:  read_only
        .address_space:  global
        .offset:         24
        .size:           8
        .value_kind:     global_buffer
      - .actual_access:  read_only
        .address_space:  global
        .offset:         32
        .size:           8
        .value_kind:     global_buffer
      - .address_space:  global
        .offset:         40
        .size:           8
        .value_kind:     global_buffer
      - .actual_access:  read_only
        .address_space:  global
        .offset:         48
        .size:           8
        .value_kind:     global_buffer
      - .actual_access:  read_only
        .address_space:  global
        .offset:         56
        .size:           8
        .value_kind:     global_buffer
    .group_segment_fixed_size: 0
    .kernarg_segment_align: 8
    .kernarg_segment_size: 64
    .language:       OpenCL C
    .language_version:
      - 2
      - 0
    .max_flat_workgroup_size: 256
    .name:           _ZN9rocsparseL19gtsv_LBM_rhs_kernelILj256ELj2ELj2E21rocsparse_complex_numIfEEEviiiPKT2_S5_S5_PS3_S5_PKi
    .private_segment_fixed_size: 0
    .sgpr_count:     30
    .sgpr_spill_count: 0
    .symbol:         _ZN9rocsparseL19gtsv_LBM_rhs_kernelILj256ELj2ELj2E21rocsparse_complex_numIfEEEviiiPKT2_S5_S5_PS3_S5_PKi.kd
    .uniform_work_group_size: 1
    .uses_dynamic_stack: false
    .vgpr_count:     35
    .vgpr_spill_count: 0
    .wavefront_size: 64
  - .args:
      - .offset:         0
        .size:           4
        .value_kind:     by_value
      - .offset:         4
        .size:           4
        .value_kind:     by_value
      - .offset:         8
        .size:           4
        .value_kind:     by_value
      - .actual_access:  read_only
        .address_space:  global
        .offset:         16
        .size:           8
        .value_kind:     global_buffer
      - .actual_access:  read_only
        .address_space:  global
        .offset:         24
        .size:           8
        .value_kind:     global_buffer
      - .actual_access:  read_only
        .address_space:  global
        .offset:         32
        .size:           8
        .value_kind:     global_buffer
      - .address_space:  global
        .offset:         40
        .size:           8
        .value_kind:     global_buffer
      - .actual_access:  read_only
        .address_space:  global
        .offset:         48
        .size:           8
        .value_kind:     global_buffer
      - .actual_access:  read_only
        .address_space:  global
        .offset:         56
        .size:           8
        .value_kind:     global_buffer
    .group_segment_fixed_size: 0
    .kernarg_segment_align: 8
    .kernarg_segment_size: 64
    .language:       OpenCL C
    .language_version:
      - 2
      - 0
    .max_flat_workgroup_size: 256
    .name:           _ZN9rocsparseL19gtsv_LBM_rhs_kernelILj256ELj2ELj1E21rocsparse_complex_numIfEEEviiiPKT2_S5_S5_PS3_S5_PKi
    .private_segment_fixed_size: 0
    .sgpr_count:     28
    .sgpr_spill_count: 0
    .symbol:         _ZN9rocsparseL19gtsv_LBM_rhs_kernelILj256ELj2ELj1E21rocsparse_complex_numIfEEEviiiPKT2_S5_S5_PS3_S5_PKi.kd
    .uniform_work_group_size: 1
    .uses_dynamic_stack: false
    .vgpr_count:     26
    .vgpr_spill_count: 0
    .wavefront_size: 64
  - .args:
      - .offset:         0
        .size:           4
        .value_kind:     by_value
      - .offset:         4
        .size:           4
        .value_kind:     by_value
      - .offset:         8
        .size:           4
        .value_kind:     by_value
      - .address_space:  global
        .offset:         16
        .size:           8
        .value_kind:     global_buffer
      - .actual_access:  read_only
        .address_space:  global
        .offset:         24
        .size:           8
        .value_kind:     global_buffer
      - .actual_access:  read_only
        .address_space:  global
        .offset:         32
        .size:           8
        .value_kind:     global_buffer
      - .actual_access:  write_only
        .address_space:  global
        .offset:         40
        .size:           8
        .value_kind:     global_buffer
      - .actual_access:  write_only
        .address_space:  global
        .offset:         48
        .size:           8
        .value_kind:     global_buffer
      - .actual_access:  write_only
        .address_space:  global
        .offset:         56
        .size:           8
        .value_kind:     global_buffer
      - .actual_access:  write_only
        .address_space:  global
        .offset:         64
        .size:           8
        .value_kind:     global_buffer
      - .actual_access:  write_only
        .address_space:  global
        .offset:         72
        .size:           8
        .value_kind:     global_buffer
      - .offset:         80
        .size:           4
        .value_kind:     hidden_block_count_x
      - .offset:         84
        .size:           4
        .value_kind:     hidden_block_count_y
      - .offset:         88
        .size:           4
        .value_kind:     hidden_block_count_z
      - .offset:         92
        .size:           2
        .value_kind:     hidden_group_size_x
      - .offset:         94
        .size:           2
        .value_kind:     hidden_group_size_y
      - .offset:         96
        .size:           2
        .value_kind:     hidden_group_size_z
      - .offset:         98
        .size:           2
        .value_kind:     hidden_remainder_x
      - .offset:         100
        .size:           2
        .value_kind:     hidden_remainder_y
      - .offset:         102
        .size:           2
        .value_kind:     hidden_remainder_z
      - .offset:         120
        .size:           8
        .value_kind:     hidden_global_offset_x
      - .offset:         128
        .size:           8
        .value_kind:     hidden_global_offset_y
      - .offset:         136
        .size:           8
        .value_kind:     hidden_global_offset_z
      - .offset:         144
        .size:           2
        .value_kind:     hidden_grid_dims
    .group_segment_fixed_size: 12288
    .kernarg_segment_align: 8
    .kernarg_segment_size: 336
    .language:       OpenCL C
    .language_version:
      - 2
      - 0
    .max_flat_workgroup_size: 256
    .name:           _ZN9rocsparseL29gtsv_spike_block_level_kernelILj256ELj2E21rocsparse_complex_numIfEEEviiiPT1_PKS3_S6_S4_S4_S4_S4_S4_
    .private_segment_fixed_size: 0
    .sgpr_count:     30
    .sgpr_spill_count: 0
    .symbol:         _ZN9rocsparseL29gtsv_spike_block_level_kernelILj256ELj2E21rocsparse_complex_numIfEEEviiiPT1_PKS3_S6_S4_S4_S4_S4_S4_.kd
    .uniform_work_group_size: 1
    .uses_dynamic_stack: false
    .vgpr_count:     34
    .vgpr_spill_count: 0
    .wavefront_size: 64
  - .args:
      - .offset:         0
        .size:           4
        .value_kind:     by_value
      - .offset:         4
        .size:           4
        .value_kind:     by_value
      - .offset:         8
        .size:           4
        .value_kind:     by_value
      - .address_space:  global
        .offset:         16
        .size:           8
        .value_kind:     global_buffer
      - .actual_access:  read_only
        .address_space:  global
        .offset:         24
        .size:           8
        .value_kind:     global_buffer
      - .actual_access:  read_only
        .address_space:  global
        .offset:         32
        .size:           8
        .value_kind:     global_buffer
    .group_segment_fixed_size: 96
    .kernarg_segment_align: 8
    .kernarg_segment_size: 40
    .language:       OpenCL C
    .language_version:
      - 2
      - 0
    .max_flat_workgroup_size: 2
    .name:           _ZN9rocsparseL34gtsv_solve_spike_grid_level_kernelILj2E21rocsparse_complex_numIfEEEviiiPT0_PKS3_S6_
    .private_segment_fixed_size: 0
    .sgpr_count:     14
    .sgpr_spill_count: 0
    .symbol:         _ZN9rocsparseL34gtsv_solve_spike_grid_level_kernelILj2E21rocsparse_complex_numIfEEEviiiPT0_PKS3_S6_.kd
    .uniform_work_group_size: 1
    .uses_dynamic_stack: false
    .vgpr_count:     36
    .vgpr_spill_count: 0
    .wavefront_size: 64
  - .args:
      - .offset:         0
        .size:           4
        .value_kind:     by_value
      - .offset:         4
        .size:           4
        .value_kind:     by_value
      - .offset:         8
        .size:           4
        .value_kind:     by_value
      - .address_space:  global
        .offset:         16
        .size:           8
        .value_kind:     global_buffer
      - .actual_access:  read_only
        .address_space:  global
        .offset:         24
        .size:           8
        .value_kind:     global_buffer
      - .actual_access:  read_only
        .address_space:  global
        .offset:         32
        .size:           8
        .value_kind:     global_buffer
    .group_segment_fixed_size: 192
    .kernarg_segment_align: 8
    .kernarg_segment_size: 40
    .language:       OpenCL C
    .language_version:
      - 2
      - 0
    .max_flat_workgroup_size: 4
    .name:           _ZN9rocsparseL34gtsv_solve_spike_grid_level_kernelILj4E21rocsparse_complex_numIfEEEviiiPT0_PKS3_S6_
    .private_segment_fixed_size: 0
    .sgpr_count:     14
    .sgpr_spill_count: 0
    .symbol:         _ZN9rocsparseL34gtsv_solve_spike_grid_level_kernelILj4E21rocsparse_complex_numIfEEEviiiPT0_PKS3_S6_.kd
    .uniform_work_group_size: 1
    .uses_dynamic_stack: false
    .vgpr_count:     39
    .vgpr_spill_count: 0
    .wavefront_size: 64
  - .args:
      - .offset:         0
        .size:           4
        .value_kind:     by_value
      - .offset:         4
        .size:           4
        .value_kind:     by_value
      - .offset:         8
        .size:           4
        .value_kind:     by_value
      - .address_space:  global
        .offset:         16
        .size:           8
        .value_kind:     global_buffer
      - .actual_access:  read_only
        .address_space:  global
        .offset:         24
        .size:           8
        .value_kind:     global_buffer
      - .actual_access:  read_only
        .address_space:  global
        .offset:         32
        .size:           8
        .value_kind:     global_buffer
    .group_segment_fixed_size: 384
    .kernarg_segment_align: 8
    .kernarg_segment_size: 40
    .language:       OpenCL C
    .language_version:
      - 2
      - 0
    .max_flat_workgroup_size: 8
    .name:           _ZN9rocsparseL34gtsv_solve_spike_grid_level_kernelILj8E21rocsparse_complex_numIfEEEviiiPT0_PKS3_S6_
    .private_segment_fixed_size: 0
    .sgpr_count:     14
    .sgpr_spill_count: 0
    .symbol:         _ZN9rocsparseL34gtsv_solve_spike_grid_level_kernelILj8E21rocsparse_complex_numIfEEEviiiPT0_PKS3_S6_.kd
    .uniform_work_group_size: 1
    .uses_dynamic_stack: false
    .vgpr_count:     39
    .vgpr_spill_count: 0
    .wavefront_size: 64
  - .args:
      - .offset:         0
        .size:           4
        .value_kind:     by_value
      - .offset:         4
        .size:           4
        .value_kind:     by_value
      - .offset:         8
        .size:           4
        .value_kind:     by_value
      - .address_space:  global
        .offset:         16
        .size:           8
        .value_kind:     global_buffer
      - .actual_access:  read_only
        .address_space:  global
        .offset:         24
        .size:           8
        .value_kind:     global_buffer
      - .actual_access:  read_only
        .address_space:  global
        .offset:         32
        .size:           8
        .value_kind:     global_buffer
    .group_segment_fixed_size: 768
    .kernarg_segment_align: 8
    .kernarg_segment_size: 40
    .language:       OpenCL C
    .language_version:
      - 2
      - 0
    .max_flat_workgroup_size: 16
    .name:           _ZN9rocsparseL34gtsv_solve_spike_grid_level_kernelILj16E21rocsparse_complex_numIfEEEviiiPT0_PKS3_S6_
    .private_segment_fixed_size: 0
    .sgpr_count:     14
    .sgpr_spill_count: 0
    .symbol:         _ZN9rocsparseL34gtsv_solve_spike_grid_level_kernelILj16E21rocsparse_complex_numIfEEEviiiPT0_PKS3_S6_.kd
    .uniform_work_group_size: 1
    .uses_dynamic_stack: false
    .vgpr_count:     42
    .vgpr_spill_count: 0
    .wavefront_size: 64
  - .args:
      - .offset:         0
        .size:           4
        .value_kind:     by_value
      - .offset:         4
        .size:           4
        .value_kind:     by_value
      - .offset:         8
        .size:           4
        .value_kind:     by_value
      - .address_space:  global
        .offset:         16
        .size:           8
        .value_kind:     global_buffer
      - .actual_access:  read_only
        .address_space:  global
        .offset:         24
        .size:           8
        .value_kind:     global_buffer
      - .actual_access:  read_only
        .address_space:  global
        .offset:         32
        .size:           8
        .value_kind:     global_buffer
    .group_segment_fixed_size: 1536
    .kernarg_segment_align: 8
    .kernarg_segment_size: 40
    .language:       OpenCL C
    .language_version:
      - 2
      - 0
    .max_flat_workgroup_size: 32
    .name:           _ZN9rocsparseL34gtsv_solve_spike_grid_level_kernelILj32E21rocsparse_complex_numIfEEEviiiPT0_PKS3_S6_
    .private_segment_fixed_size: 0
    .sgpr_count:     16
    .sgpr_spill_count: 0
    .symbol:         _ZN9rocsparseL34gtsv_solve_spike_grid_level_kernelILj32E21rocsparse_complex_numIfEEEviiiPT0_PKS3_S6_.kd
    .uniform_work_group_size: 1
    .uses_dynamic_stack: false
    .vgpr_count:     43
    .vgpr_spill_count: 0
    .wavefront_size: 64
  - .args:
      - .offset:         0
        .size:           4
        .value_kind:     by_value
      - .offset:         4
        .size:           4
        .value_kind:     by_value
      - .offset:         8
        .size:           4
        .value_kind:     by_value
      - .address_space:  global
        .offset:         16
        .size:           8
        .value_kind:     global_buffer
      - .actual_access:  read_only
        .address_space:  global
        .offset:         24
        .size:           8
        .value_kind:     global_buffer
      - .actual_access:  read_only
        .address_space:  global
        .offset:         32
        .size:           8
        .value_kind:     global_buffer
    .group_segment_fixed_size: 3072
    .kernarg_segment_align: 8
    .kernarg_segment_size: 40
    .language:       OpenCL C
    .language_version:
      - 2
      - 0
    .max_flat_workgroup_size: 64
    .name:           _ZN9rocsparseL34gtsv_solve_spike_grid_level_kernelILj64E21rocsparse_complex_numIfEEEviiiPT0_PKS3_S6_
    .private_segment_fixed_size: 0
    .sgpr_count:     14
    .sgpr_spill_count: 0
    .symbol:         _ZN9rocsparseL34gtsv_solve_spike_grid_level_kernelILj64E21rocsparse_complex_numIfEEEviiiPT0_PKS3_S6_.kd
    .uniform_work_group_size: 1
    .uses_dynamic_stack: false
    .vgpr_count:     34
    .vgpr_spill_count: 0
    .wavefront_size: 64
  - .args:
      - .offset:         0
        .size:           4
        .value_kind:     by_value
      - .offset:         4
        .size:           4
        .value_kind:     by_value
      - .offset:         8
        .size:           4
        .value_kind:     by_value
      - .address_space:  global
        .offset:         16
        .size:           8
        .value_kind:     global_buffer
      - .actual_access:  read_only
        .address_space:  global
        .offset:         24
        .size:           8
        .value_kind:     global_buffer
      - .actual_access:  read_only
        .address_space:  global
        .offset:         32
        .size:           8
        .value_kind:     global_buffer
    .group_segment_fixed_size: 6144
    .kernarg_segment_align: 8
    .kernarg_segment_size: 40
    .language:       OpenCL C
    .language_version:
      - 2
      - 0
    .max_flat_workgroup_size: 128
    .name:           _ZN9rocsparseL34gtsv_solve_spike_grid_level_kernelILj128E21rocsparse_complex_numIfEEEviiiPT0_PKS3_S6_
    .private_segment_fixed_size: 0
    .sgpr_count:     14
    .sgpr_spill_count: 0
    .symbol:         _ZN9rocsparseL34gtsv_solve_spike_grid_level_kernelILj128E21rocsparse_complex_numIfEEEviiiPT0_PKS3_S6_.kd
    .uniform_work_group_size: 1
    .uses_dynamic_stack: false
    .vgpr_count:     34
    .vgpr_spill_count: 0
    .wavefront_size: 64
  - .args:
      - .offset:         0
        .size:           4
        .value_kind:     by_value
      - .offset:         4
        .size:           4
        .value_kind:     by_value
      - .offset:         8
        .size:           4
        .value_kind:     by_value
      - .address_space:  global
        .offset:         16
        .size:           8
        .value_kind:     global_buffer
      - .actual_access:  read_only
        .address_space:  global
        .offset:         24
        .size:           8
        .value_kind:     global_buffer
      - .actual_access:  read_only
        .address_space:  global
        .offset:         32
        .size:           8
        .value_kind:     global_buffer
    .group_segment_fixed_size: 12288
    .kernarg_segment_align: 8
    .kernarg_segment_size: 40
    .language:       OpenCL C
    .language_version:
      - 2
      - 0
    .max_flat_workgroup_size: 256
    .name:           _ZN9rocsparseL34gtsv_solve_spike_grid_level_kernelILj256E21rocsparse_complex_numIfEEEviiiPT0_PKS3_S6_
    .private_segment_fixed_size: 0
    .sgpr_count:     14
    .sgpr_spill_count: 0
    .symbol:         _ZN9rocsparseL34gtsv_solve_spike_grid_level_kernelILj256E21rocsparse_complex_numIfEEEviiiPT0_PKS3_S6_.kd
    .uniform_work_group_size: 1
    .uses_dynamic_stack: false
    .vgpr_count:     34
    .vgpr_spill_count: 0
    .wavefront_size: 64
  - .args:
      - .offset:         0
        .size:           4
        .value_kind:     by_value
      - .offset:         4
        .size:           4
        .value_kind:     by_value
      - .offset:         8
        .size:           4
        .value_kind:     by_value
      - .address_space:  global
        .offset:         16
        .size:           8
        .value_kind:     global_buffer
      - .actual_access:  read_only
        .address_space:  global
        .offset:         24
        .size:           8
        .value_kind:     global_buffer
      - .actual_access:  read_only
        .address_space:  global
        .offset:         32
        .size:           8
        .value_kind:     global_buffer
    .group_segment_fixed_size: 24576
    .kernarg_segment_align: 8
    .kernarg_segment_size: 40
    .language:       OpenCL C
    .language_version:
      - 2
      - 0
    .max_flat_workgroup_size: 512
    .name:           _ZN9rocsparseL34gtsv_solve_spike_grid_level_kernelILj512E21rocsparse_complex_numIfEEEviiiPT0_PKS3_S6_
    .private_segment_fixed_size: 0
    .sgpr_count:     16
    .sgpr_spill_count: 0
    .symbol:         _ZN9rocsparseL34gtsv_solve_spike_grid_level_kernelILj512E21rocsparse_complex_numIfEEEviiiPT0_PKS3_S6_.kd
    .uniform_work_group_size: 1
    .uses_dynamic_stack: false
    .vgpr_count:     30
    .vgpr_spill_count: 0
    .wavefront_size: 64
  - .args:
      - .offset:         0
        .size:           4
        .value_kind:     by_value
      - .offset:         4
        .size:           4
        .value_kind:     by_value
      - .offset:         8
        .size:           4
        .value_kind:     by_value
      - .address_space:  global
        .offset:         16
        .size:           8
        .value_kind:     global_buffer
      - .actual_access:  read_only
        .address_space:  global
        .offset:         24
        .size:           8
        .value_kind:     global_buffer
      - .actual_access:  read_only
        .address_space:  global
        .offset:         32
        .size:           8
        .value_kind:     global_buffer
      - .actual_access:  read_only
        .address_space:  global
        .offset:         40
        .size:           8
        .value_kind:     global_buffer
      - .offset:         48
        .size:           4
        .value_kind:     hidden_block_count_x
      - .offset:         52
        .size:           4
        .value_kind:     hidden_block_count_y
      - .offset:         56
        .size:           4
        .value_kind:     hidden_block_count_z
      - .offset:         60
        .size:           2
        .value_kind:     hidden_group_size_x
      - .offset:         62
        .size:           2
        .value_kind:     hidden_group_size_y
      - .offset:         64
        .size:           2
        .value_kind:     hidden_group_size_z
      - .offset:         66
        .size:           2
        .value_kind:     hidden_remainder_x
      - .offset:         68
        .size:           2
        .value_kind:     hidden_remainder_y
      - .offset:         70
        .size:           2
        .value_kind:     hidden_remainder_z
      - .offset:         88
        .size:           8
        .value_kind:     hidden_global_offset_x
      - .offset:         96
        .size:           8
        .value_kind:     hidden_global_offset_y
      - .offset:         104
        .size:           8
        .value_kind:     hidden_global_offset_z
      - .offset:         112
        .size:           2
        .value_kind:     hidden_grid_dims
    .group_segment_fixed_size: 12304
    .kernarg_segment_align: 8
    .kernarg_segment_size: 304
    .language:       OpenCL C
    .language_version:
      - 2
      - 0
    .max_flat_workgroup_size: 256
    .name:           _ZN9rocsparseL33gtsv_solve_spike_propagate_kernelILj256ELj2E21rocsparse_complex_numIfEEEviiiPT1_PKS3_S6_S6_
    .private_segment_fixed_size: 0
    .sgpr_count:     22
    .sgpr_spill_count: 0
    .symbol:         _ZN9rocsparseL33gtsv_solve_spike_propagate_kernelILj256ELj2E21rocsparse_complex_numIfEEEviiiPT1_PKS3_S6_S6_.kd
    .uniform_work_group_size: 1
    .uses_dynamic_stack: false
    .vgpr_count:     22
    .vgpr_spill_count: 0
    .wavefront_size: 64
  - .args:
      - .offset:         0
        .size:           4
        .value_kind:     by_value
      - .offset:         4
        .size:           4
        .value_kind:     by_value
      - .offset:         8
        .size:           4
        .value_kind:     by_value
      - .actual_access:  read_only
        .address_space:  global
        .offset:         16
        .size:           8
        .value_kind:     global_buffer
      - .actual_access:  read_only
        .address_space:  global
        .offset:         24
        .size:           8
        .value_kind:     global_buffer
      - .actual_access:  read_only
        .address_space:  global
        .offset:         32
        .size:           8
        .value_kind:     global_buffer
    .group_segment_fixed_size: 0
    .kernarg_segment_align: 8
    .kernarg_segment_size: 40
    .language:       OpenCL C
    .language_version:
      - 2
      - 0
    .max_flat_workgroup_size: 256
    .name:           _ZN9rocsparseL39gtsv_spike_backward_substitution_kernelILj256ELj2E21rocsparse_complex_numIfEEEviiiPT1_PKS3_S6_
    .private_segment_fixed_size: 0
    .sgpr_count:     4
    .sgpr_spill_count: 0
    .symbol:         _ZN9rocsparseL39gtsv_spike_backward_substitution_kernelILj256ELj2E21rocsparse_complex_numIfEEEviiiPT1_PKS3_S6_.kd
    .uniform_work_group_size: 1
    .uses_dynamic_stack: false
    .vgpr_count:     0
    .vgpr_spill_count: 0
    .wavefront_size: 64
  - .args:
      - .offset:         0
        .size:           4
        .value_kind:     by_value
      - .offset:         4
        .size:           4
        .value_kind:     by_value
      - .offset:         8
        .size:           4
        .value_kind:     by_value
      - .actual_access:  read_only
        .address_space:  global
        .offset:         16
        .size:           8
        .value_kind:     global_buffer
      - .actual_access:  write_only
        .address_space:  global
        .offset:         24
        .size:           8
        .value_kind:     global_buffer
    .group_segment_fixed_size: 0
    .kernarg_segment_align: 8
    .kernarg_segment_size: 32
    .language:       OpenCL C
    .language_version:
      - 2
      - 0
    .max_flat_workgroup_size: 256
    .name:           _ZN9rocsparseL32gtsv_transpose_back_array_kernelILj256ELj2E21rocsparse_complex_numIfEEEviiiPKT1_PS3_
    .private_segment_fixed_size: 0
    .sgpr_count:     16
    .sgpr_spill_count: 0
    .symbol:         _ZN9rocsparseL32gtsv_transpose_back_array_kernelILj256ELj2E21rocsparse_complex_numIfEEEviiiPKT1_PS3_.kd
    .uniform_work_group_size: 1
    .uses_dynamic_stack: false
    .vgpr_count:     5
    .vgpr_spill_count: 0
    .wavefront_size: 64
  - .args:
      - .offset:         0
        .size:           4
        .value_kind:     by_value
      - .offset:         4
        .size:           4
        .value_kind:     by_value
      - .offset:         8
        .size:           4
        .value_kind:     by_value
      - .actual_access:  read_only
        .address_space:  global
        .offset:         16
        .size:           8
        .value_kind:     global_buffer
      - .actual_access:  write_only
        .address_space:  global
        .offset:         24
        .size:           8
        .value_kind:     global_buffer
      - .offset:         32
        .size:           8
        .value_kind:     by_value
    .group_segment_fixed_size: 2048
    .kernarg_segment_align: 8
    .kernarg_segment_size: 40
    .language:       OpenCL C
    .language_version:
      - 2
      - 0
    .max_flat_workgroup_size: 256
    .name:           _ZN9rocsparseL42gtsv_transpose_and_pad_array_shared_kernelILj256ELj4E21rocsparse_complex_numIfEEEviiiPKT1_PS3_S3_
    .private_segment_fixed_size: 0
    .sgpr_count:     16
    .sgpr_spill_count: 0
    .symbol:         _ZN9rocsparseL42gtsv_transpose_and_pad_array_shared_kernelILj256ELj4E21rocsparse_complex_numIfEEEviiiPKT1_PS3_S3_.kd
    .uniform_work_group_size: 1
    .uses_dynamic_stack: false
    .vgpr_count:     5
    .vgpr_spill_count: 0
    .wavefront_size: 64
  - .args:
      - .offset:         0
        .size:           4
        .value_kind:     by_value
      - .offset:         4
        .size:           4
        .value_kind:     by_value
      - .offset:         8
        .size:           4
        .value_kind:     by_value
      - .actual_access:  read_only
        .address_space:  global
        .offset:         16
        .size:           8
        .value_kind:     global_buffer
      - .actual_access:  read_only
        .address_space:  global
        .offset:         24
        .size:           8
        .value_kind:     global_buffer
      - .actual_access:  read_only
        .address_space:  global
        .offset:         32
        .size:           8
        .value_kind:     global_buffer
      - .address_space:  global
        .offset:         40
        .size:           8
        .value_kind:     global_buffer
      - .address_space:  global
        .offset:         48
        .size:           8
        .value_kind:     global_buffer
      - .address_space:  global
        .offset:         56
        .size:           8
        .value_kind:     global_buffer
      - .address_space:  global
        .offset:         64
        .size:           8
        .value_kind:     global_buffer
    .group_segment_fixed_size: 0
    .kernarg_segment_align: 8
    .kernarg_segment_size: 72
    .language:       OpenCL C
    .language_version:
      - 2
      - 0
    .max_flat_workgroup_size: 256
    .name:           _ZN9rocsparseL18gtsv_LBM_wv_kernelILj256ELj4E21rocsparse_complex_numIfEEEviiiPKT1_S5_S5_PS3_S6_S6_Pi
    .private_segment_fixed_size: 0
    .sgpr_count:     38
    .sgpr_spill_count: 0
    .symbol:         _ZN9rocsparseL18gtsv_LBM_wv_kernelILj256ELj4E21rocsparse_complex_numIfEEEviiiPKT1_S5_S5_PS3_S6_S6_Pi.kd
    .uniform_work_group_size: 1
    .uses_dynamic_stack: false
    .vgpr_count:     47
    .vgpr_spill_count: 0
    .wavefront_size: 64
  - .args:
      - .offset:         0
        .size:           4
        .value_kind:     by_value
      - .offset:         4
        .size:           4
        .value_kind:     by_value
      - .offset:         8
        .size:           4
        .value_kind:     by_value
      - .actual_access:  read_only
        .address_space:  global
        .offset:         16
        .size:           8
        .value_kind:     global_buffer
      - .actual_access:  read_only
        .address_space:  global
        .offset:         24
        .size:           8
        .value_kind:     global_buffer
      - .actual_access:  read_only
        .address_space:  global
        .offset:         32
        .size:           8
        .value_kind:     global_buffer
      - .address_space:  global
        .offset:         40
        .size:           8
        .value_kind:     global_buffer
      - .actual_access:  read_only
        .address_space:  global
        .offset:         48
        .size:           8
        .value_kind:     global_buffer
      - .actual_access:  read_only
        .address_space:  global
        .offset:         56
        .size:           8
        .value_kind:     global_buffer
    .group_segment_fixed_size: 0
    .kernarg_segment_align: 8
    .kernarg_segment_size: 64
    .language:       OpenCL C
    .language_version:
      - 2
      - 0
    .max_flat_workgroup_size: 256
    .name:           _ZN9rocsparseL19gtsv_LBM_rhs_kernelILj256ELj4ELj8E21rocsparse_complex_numIfEEEviiiPKT2_S5_S5_PS3_S5_PKi
    .private_segment_fixed_size: 0
    .sgpr_count:     40
    .sgpr_spill_count: 0
    .symbol:         _ZN9rocsparseL19gtsv_LBM_rhs_kernelILj256ELj4ELj8E21rocsparse_complex_numIfEEEviiiPKT2_S5_S5_PS3_S5_PKi.kd
    .uniform_work_group_size: 1
    .uses_dynamic_stack: false
    .vgpr_count:     95
    .vgpr_spill_count: 0
    .wavefront_size: 64
  - .args:
      - .offset:         0
        .size:           4
        .value_kind:     by_value
      - .offset:         4
        .size:           4
        .value_kind:     by_value
      - .offset:         8
        .size:           4
        .value_kind:     by_value
      - .actual_access:  read_only
        .address_space:  global
        .offset:         16
        .size:           8
        .value_kind:     global_buffer
      - .actual_access:  read_only
        .address_space:  global
        .offset:         24
        .size:           8
        .value_kind:     global_buffer
      - .actual_access:  read_only
        .address_space:  global
        .offset:         32
        .size:           8
        .value_kind:     global_buffer
      - .address_space:  global
        .offset:         40
        .size:           8
        .value_kind:     global_buffer
      - .actual_access:  read_only
        .address_space:  global
        .offset:         48
        .size:           8
        .value_kind:     global_buffer
      - .actual_access:  read_only
        .address_space:  global
        .offset:         56
        .size:           8
        .value_kind:     global_buffer
    .group_segment_fixed_size: 0
    .kernarg_segment_align: 8
    .kernarg_segment_size: 64
    .language:       OpenCL C
    .language_version:
      - 2
      - 0
    .max_flat_workgroup_size: 256
    .name:           _ZN9rocsparseL19gtsv_LBM_rhs_kernelILj256ELj4ELj4E21rocsparse_complex_numIfEEEviiiPKT2_S5_S5_PS3_S5_PKi
    .private_segment_fixed_size: 0
    .sgpr_count:     35
    .sgpr_spill_count: 0
    .symbol:         _ZN9rocsparseL19gtsv_LBM_rhs_kernelILj256ELj4ELj4E21rocsparse_complex_numIfEEEviiiPKT2_S5_S5_PS3_S5_PKi.kd
    .uniform_work_group_size: 1
    .uses_dynamic_stack: false
    .vgpr_count:     61
    .vgpr_spill_count: 0
    .wavefront_size: 64
  - .args:
      - .offset:         0
        .size:           4
        .value_kind:     by_value
      - .offset:         4
        .size:           4
        .value_kind:     by_value
      - .offset:         8
        .size:           4
        .value_kind:     by_value
      - .actual_access:  read_only
        .address_space:  global
        .offset:         16
        .size:           8
        .value_kind:     global_buffer
      - .actual_access:  read_only
        .address_space:  global
        .offset:         24
        .size:           8
        .value_kind:     global_buffer
      - .actual_access:  read_only
        .address_space:  global
        .offset:         32
        .size:           8
        .value_kind:     global_buffer
      - .address_space:  global
        .offset:         40
        .size:           8
        .value_kind:     global_buffer
      - .actual_access:  read_only
        .address_space:  global
        .offset:         48
        .size:           8
        .value_kind:     global_buffer
      - .actual_access:  read_only
        .address_space:  global
        .offset:         56
        .size:           8
        .value_kind:     global_buffer
    .group_segment_fixed_size: 0
    .kernarg_segment_align: 8
    .kernarg_segment_size: 64
    .language:       OpenCL C
    .language_version:
      - 2
      - 0
    .max_flat_workgroup_size: 256
    .name:           _ZN9rocsparseL19gtsv_LBM_rhs_kernelILj256ELj4ELj2E21rocsparse_complex_numIfEEEviiiPKT2_S5_S5_PS3_S5_PKi
    .private_segment_fixed_size: 0
    .sgpr_count:     33
    .sgpr_spill_count: 0
    .symbol:         _ZN9rocsparseL19gtsv_LBM_rhs_kernelILj256ELj4ELj2E21rocsparse_complex_numIfEEEviiiPKT2_S5_S5_PS3_S5_PKi.kd
    .uniform_work_group_size: 1
    .uses_dynamic_stack: false
    .vgpr_count:     39
    .vgpr_spill_count: 0
    .wavefront_size: 64
  - .args:
      - .offset:         0
        .size:           4
        .value_kind:     by_value
      - .offset:         4
        .size:           4
        .value_kind:     by_value
      - .offset:         8
        .size:           4
        .value_kind:     by_value
      - .actual_access:  read_only
        .address_space:  global
        .offset:         16
        .size:           8
        .value_kind:     global_buffer
      - .actual_access:  read_only
        .address_space:  global
        .offset:         24
        .size:           8
        .value_kind:     global_buffer
      - .actual_access:  read_only
        .address_space:  global
        .offset:         32
        .size:           8
        .value_kind:     global_buffer
      - .address_space:  global
        .offset:         40
        .size:           8
        .value_kind:     global_buffer
      - .actual_access:  read_only
        .address_space:  global
        .offset:         48
        .size:           8
        .value_kind:     global_buffer
      - .actual_access:  read_only
        .address_space:  global
        .offset:         56
        .size:           8
        .value_kind:     global_buffer
    .group_segment_fixed_size: 0
    .kernarg_segment_align: 8
    .kernarg_segment_size: 64
    .language:       OpenCL C
    .language_version:
      - 2
      - 0
    .max_flat_workgroup_size: 256
    .name:           _ZN9rocsparseL19gtsv_LBM_rhs_kernelILj256ELj4ELj1E21rocsparse_complex_numIfEEEviiiPKT2_S5_S5_PS3_S5_PKi
    .private_segment_fixed_size: 0
    .sgpr_count:     31
    .sgpr_spill_count: 0
    .symbol:         _ZN9rocsparseL19gtsv_LBM_rhs_kernelILj256ELj4ELj1E21rocsparse_complex_numIfEEEviiiPKT2_S5_S5_PS3_S5_PKi.kd
    .uniform_work_group_size: 1
    .uses_dynamic_stack: false
    .vgpr_count:     32
    .vgpr_spill_count: 0
    .wavefront_size: 64
  - .args:
      - .offset:         0
        .size:           4
        .value_kind:     by_value
      - .offset:         4
        .size:           4
        .value_kind:     by_value
      - .offset:         8
        .size:           4
        .value_kind:     by_value
      - .address_space:  global
        .offset:         16
        .size:           8
        .value_kind:     global_buffer
      - .actual_access:  read_only
        .address_space:  global
        .offset:         24
        .size:           8
        .value_kind:     global_buffer
      - .actual_access:  read_only
        .address_space:  global
        .offset:         32
        .size:           8
        .value_kind:     global_buffer
      - .actual_access:  write_only
        .address_space:  global
        .offset:         40
        .size:           8
        .value_kind:     global_buffer
      - .actual_access:  write_only
        .address_space:  global
        .offset:         48
        .size:           8
        .value_kind:     global_buffer
      - .actual_access:  write_only
        .address_space:  global
        .offset:         56
        .size:           8
        .value_kind:     global_buffer
      - .actual_access:  write_only
        .address_space:  global
        .offset:         64
        .size:           8
        .value_kind:     global_buffer
      - .actual_access:  write_only
        .address_space:  global
        .offset:         72
        .size:           8
        .value_kind:     global_buffer
      - .offset:         80
        .size:           4
        .value_kind:     hidden_block_count_x
      - .offset:         84
        .size:           4
        .value_kind:     hidden_block_count_y
      - .offset:         88
        .size:           4
        .value_kind:     hidden_block_count_z
      - .offset:         92
        .size:           2
        .value_kind:     hidden_group_size_x
      - .offset:         94
        .size:           2
        .value_kind:     hidden_group_size_y
      - .offset:         96
        .size:           2
        .value_kind:     hidden_group_size_z
      - .offset:         98
        .size:           2
        .value_kind:     hidden_remainder_x
      - .offset:         100
        .size:           2
        .value_kind:     hidden_remainder_y
      - .offset:         102
        .size:           2
        .value_kind:     hidden_remainder_z
      - .offset:         120
        .size:           8
        .value_kind:     hidden_global_offset_x
      - .offset:         128
        .size:           8
        .value_kind:     hidden_global_offset_y
      - .offset:         136
        .size:           8
        .value_kind:     hidden_global_offset_z
      - .offset:         144
        .size:           2
        .value_kind:     hidden_grid_dims
    .group_segment_fixed_size: 12288
    .kernarg_segment_align: 8
    .kernarg_segment_size: 336
    .language:       OpenCL C
    .language_version:
      - 2
      - 0
    .max_flat_workgroup_size: 256
    .name:           _ZN9rocsparseL29gtsv_spike_block_level_kernelILj256ELj4E21rocsparse_complex_numIfEEEviiiPT1_PKS3_S6_S4_S4_S4_S4_S4_
    .private_segment_fixed_size: 0
    .sgpr_count:     30
    .sgpr_spill_count: 0
    .symbol:         _ZN9rocsparseL29gtsv_spike_block_level_kernelILj256ELj4E21rocsparse_complex_numIfEEEviiiPT1_PKS3_S6_S4_S4_S4_S4_S4_.kd
    .uniform_work_group_size: 1
    .uses_dynamic_stack: false
    .vgpr_count:     33
    .vgpr_spill_count: 0
    .wavefront_size: 64
  - .args:
      - .offset:         0
        .size:           4
        .value_kind:     by_value
      - .offset:         4
        .size:           4
        .value_kind:     by_value
      - .offset:         8
        .size:           4
        .value_kind:     by_value
      - .address_space:  global
        .offset:         16
        .size:           8
        .value_kind:     global_buffer
      - .actual_access:  read_only
        .address_space:  global
        .offset:         24
        .size:           8
        .value_kind:     global_buffer
      - .actual_access:  read_only
        .address_space:  global
        .offset:         32
        .size:           8
        .value_kind:     global_buffer
      - .actual_access:  read_only
        .address_space:  global
        .offset:         40
        .size:           8
        .value_kind:     global_buffer
      - .offset:         48
        .size:           4
        .value_kind:     hidden_block_count_x
      - .offset:         52
        .size:           4
        .value_kind:     hidden_block_count_y
      - .offset:         56
        .size:           4
        .value_kind:     hidden_block_count_z
      - .offset:         60
        .size:           2
        .value_kind:     hidden_group_size_x
      - .offset:         62
        .size:           2
        .value_kind:     hidden_group_size_y
      - .offset:         64
        .size:           2
        .value_kind:     hidden_group_size_z
      - .offset:         66
        .size:           2
        .value_kind:     hidden_remainder_x
      - .offset:         68
        .size:           2
        .value_kind:     hidden_remainder_y
      - .offset:         70
        .size:           2
        .value_kind:     hidden_remainder_z
      - .offset:         88
        .size:           8
        .value_kind:     hidden_global_offset_x
      - .offset:         96
        .size:           8
        .value_kind:     hidden_global_offset_y
      - .offset:         104
        .size:           8
        .value_kind:     hidden_global_offset_z
      - .offset:         112
        .size:           2
        .value_kind:     hidden_grid_dims
    .group_segment_fixed_size: 12304
    .kernarg_segment_align: 8
    .kernarg_segment_size: 304
    .language:       OpenCL C
    .language_version:
      - 2
      - 0
    .max_flat_workgroup_size: 256
    .name:           _ZN9rocsparseL33gtsv_solve_spike_propagate_kernelILj256ELj4E21rocsparse_complex_numIfEEEviiiPT1_PKS3_S6_S6_
    .private_segment_fixed_size: 0
    .sgpr_count:     22
    .sgpr_spill_count: 0
    .symbol:         _ZN9rocsparseL33gtsv_solve_spike_propagate_kernelILj256ELj4E21rocsparse_complex_numIfEEEviiiPT1_PKS3_S6_S6_.kd
    .uniform_work_group_size: 1
    .uses_dynamic_stack: false
    .vgpr_count:     21
    .vgpr_spill_count: 0
    .wavefront_size: 64
  - .args:
      - .offset:         0
        .size:           4
        .value_kind:     by_value
      - .offset:         4
        .size:           4
        .value_kind:     by_value
      - .offset:         8
        .size:           4
        .value_kind:     by_value
      - .address_space:  global
        .offset:         16
        .size:           8
        .value_kind:     global_buffer
      - .actual_access:  read_only
        .address_space:  global
        .offset:         24
        .size:           8
        .value_kind:     global_buffer
      - .actual_access:  read_only
        .address_space:  global
        .offset:         32
        .size:           8
        .value_kind:     global_buffer
    .group_segment_fixed_size: 0
    .kernarg_segment_align: 8
    .kernarg_segment_size: 40
    .language:       OpenCL C
    .language_version:
      - 2
      - 0
    .max_flat_workgroup_size: 256
    .name:           _ZN9rocsparseL39gtsv_spike_backward_substitution_kernelILj256ELj4E21rocsparse_complex_numIfEEEviiiPT1_PKS3_S6_
    .private_segment_fixed_size: 0
    .sgpr_count:     16
    .sgpr_spill_count: 0
    .symbol:         _ZN9rocsparseL39gtsv_spike_backward_substitution_kernelILj256ELj4E21rocsparse_complex_numIfEEEviiiPT1_PKS3_S6_.kd
    .uniform_work_group_size: 1
    .uses_dynamic_stack: false
    .vgpr_count:     20
    .vgpr_spill_count: 0
    .wavefront_size: 64
  - .args:
      - .offset:         0
        .size:           4
        .value_kind:     by_value
      - .offset:         4
        .size:           4
        .value_kind:     by_value
      - .offset:         8
        .size:           4
        .value_kind:     by_value
      - .actual_access:  read_only
        .address_space:  global
        .offset:         16
        .size:           8
        .value_kind:     global_buffer
      - .actual_access:  write_only
        .address_space:  global
        .offset:         24
        .size:           8
        .value_kind:     global_buffer
    .group_segment_fixed_size: 0
    .kernarg_segment_align: 8
    .kernarg_segment_size: 32
    .language:       OpenCL C
    .language_version:
      - 2
      - 0
    .max_flat_workgroup_size: 256
    .name:           _ZN9rocsparseL32gtsv_transpose_back_array_kernelILj256ELj4E21rocsparse_complex_numIfEEEviiiPKT1_PS3_
    .private_segment_fixed_size: 0
    .sgpr_count:     16
    .sgpr_spill_count: 0
    .symbol:         _ZN9rocsparseL32gtsv_transpose_back_array_kernelILj256ELj4E21rocsparse_complex_numIfEEEviiiPKT1_PS3_.kd
    .uniform_work_group_size: 1
    .uses_dynamic_stack: false
    .vgpr_count:     5
    .vgpr_spill_count: 0
    .wavefront_size: 64
  - .args:
      - .offset:         0
        .size:           4
        .value_kind:     by_value
      - .offset:         4
        .size:           4
        .value_kind:     by_value
      - .offset:         8
        .size:           4
        .value_kind:     by_value
      - .actual_access:  read_only
        .address_space:  global
        .offset:         16
        .size:           8
        .value_kind:     global_buffer
      - .actual_access:  write_only
        .address_space:  global
        .offset:         24
        .size:           8
        .value_kind:     global_buffer
      - .offset:         32
        .size:           8
        .value_kind:     by_value
    .group_segment_fixed_size: 2048
    .kernarg_segment_align: 8
    .kernarg_segment_size: 40
    .language:       OpenCL C
    .language_version:
      - 2
      - 0
    .max_flat_workgroup_size: 256
    .name:           _ZN9rocsparseL42gtsv_transpose_and_pad_array_shared_kernelILj256ELj8E21rocsparse_complex_numIfEEEviiiPKT1_PS3_S3_
    .private_segment_fixed_size: 0
    .sgpr_count:     16
    .sgpr_spill_count: 0
    .symbol:         _ZN9rocsparseL42gtsv_transpose_and_pad_array_shared_kernelILj256ELj8E21rocsparse_complex_numIfEEEviiiPKT1_PS3_S3_.kd
    .uniform_work_group_size: 1
    .uses_dynamic_stack: false
    .vgpr_count:     5
    .vgpr_spill_count: 0
    .wavefront_size: 64
  - .args:
      - .offset:         0
        .size:           4
        .value_kind:     by_value
      - .offset:         4
        .size:           4
        .value_kind:     by_value
      - .offset:         8
        .size:           4
        .value_kind:     by_value
      - .actual_access:  read_only
        .address_space:  global
        .offset:         16
        .size:           8
        .value_kind:     global_buffer
      - .actual_access:  read_only
        .address_space:  global
        .offset:         24
        .size:           8
        .value_kind:     global_buffer
      - .actual_access:  read_only
        .address_space:  global
        .offset:         32
        .size:           8
        .value_kind:     global_buffer
      - .address_space:  global
        .offset:         40
        .size:           8
        .value_kind:     global_buffer
      - .address_space:  global
        .offset:         48
        .size:           8
        .value_kind:     global_buffer
      - .address_space:  global
        .offset:         56
        .size:           8
        .value_kind:     global_buffer
      - .address_space:  global
        .offset:         64
        .size:           8
        .value_kind:     global_buffer
    .group_segment_fixed_size: 0
    .kernarg_segment_align: 8
    .kernarg_segment_size: 72
    .language:       OpenCL C
    .language_version:
      - 2
      - 0
    .max_flat_workgroup_size: 256
    .name:           _ZN9rocsparseL18gtsv_LBM_wv_kernelILj256ELj8E21rocsparse_complex_numIfEEEviiiPKT1_S5_S5_PS3_S6_S6_Pi
    .private_segment_fixed_size: 0
    .sgpr_count:     39
    .sgpr_spill_count: 0
    .symbol:         _ZN9rocsparseL18gtsv_LBM_wv_kernelILj256ELj8E21rocsparse_complex_numIfEEEviiiPKT1_S5_S5_PS3_S6_S6_Pi.kd
    .uniform_work_group_size: 1
    .uses_dynamic_stack: false
    .vgpr_count:     47
    .vgpr_spill_count: 0
    .wavefront_size: 64
  - .args:
      - .offset:         0
        .size:           4
        .value_kind:     by_value
      - .offset:         4
        .size:           4
        .value_kind:     by_value
      - .offset:         8
        .size:           4
        .value_kind:     by_value
      - .actual_access:  read_only
        .address_space:  global
        .offset:         16
        .size:           8
        .value_kind:     global_buffer
      - .actual_access:  read_only
        .address_space:  global
        .offset:         24
        .size:           8
        .value_kind:     global_buffer
      - .actual_access:  read_only
        .address_space:  global
        .offset:         32
        .size:           8
        .value_kind:     global_buffer
      - .address_space:  global
        .offset:         40
        .size:           8
        .value_kind:     global_buffer
      - .actual_access:  read_only
        .address_space:  global
        .offset:         48
        .size:           8
        .value_kind:     global_buffer
      - .actual_access:  read_only
        .address_space:  global
        .offset:         56
        .size:           8
        .value_kind:     global_buffer
    .group_segment_fixed_size: 0
    .kernarg_segment_align: 8
    .kernarg_segment_size: 64
    .language:       OpenCL C
    .language_version:
      - 2
      - 0
    .max_flat_workgroup_size: 256
    .name:           _ZN9rocsparseL19gtsv_LBM_rhs_kernelILj256ELj8ELj8E21rocsparse_complex_numIfEEEviiiPKT2_S5_S5_PS3_S5_PKi
    .private_segment_fixed_size: 0
    .sgpr_count:     41
    .sgpr_spill_count: 0
    .symbol:         _ZN9rocsparseL19gtsv_LBM_rhs_kernelILj256ELj8ELj8E21rocsparse_complex_numIfEEEviiiPKT2_S5_S5_PS3_S5_PKi.kd
    .uniform_work_group_size: 1
    .uses_dynamic_stack: false
    .vgpr_count:     95
    .vgpr_spill_count: 0
    .wavefront_size: 64
  - .args:
      - .offset:         0
        .size:           4
        .value_kind:     by_value
      - .offset:         4
        .size:           4
        .value_kind:     by_value
      - .offset:         8
        .size:           4
        .value_kind:     by_value
      - .actual_access:  read_only
        .address_space:  global
        .offset:         16
        .size:           8
        .value_kind:     global_buffer
      - .actual_access:  read_only
        .address_space:  global
        .offset:         24
        .size:           8
        .value_kind:     global_buffer
      - .actual_access:  read_only
        .address_space:  global
        .offset:         32
        .size:           8
        .value_kind:     global_buffer
      - .address_space:  global
        .offset:         40
        .size:           8
        .value_kind:     global_buffer
      - .actual_access:  read_only
        .address_space:  global
        .offset:         48
        .size:           8
        .value_kind:     global_buffer
      - .actual_access:  read_only
        .address_space:  global
        .offset:         56
        .size:           8
        .value_kind:     global_buffer
    .group_segment_fixed_size: 0
    .kernarg_segment_align: 8
    .kernarg_segment_size: 64
    .language:       OpenCL C
    .language_version:
      - 2
      - 0
    .max_flat_workgroup_size: 256
    .name:           _ZN9rocsparseL19gtsv_LBM_rhs_kernelILj256ELj8ELj4E21rocsparse_complex_numIfEEEviiiPKT2_S5_S5_PS3_S5_PKi
    .private_segment_fixed_size: 0
    .sgpr_count:     36
    .sgpr_spill_count: 0
    .symbol:         _ZN9rocsparseL19gtsv_LBM_rhs_kernelILj256ELj8ELj4E21rocsparse_complex_numIfEEEviiiPKT2_S5_S5_PS3_S5_PKi.kd
    .uniform_work_group_size: 1
    .uses_dynamic_stack: false
    .vgpr_count:     61
    .vgpr_spill_count: 0
    .wavefront_size: 64
  - .args:
      - .offset:         0
        .size:           4
        .value_kind:     by_value
      - .offset:         4
        .size:           4
        .value_kind:     by_value
      - .offset:         8
        .size:           4
        .value_kind:     by_value
      - .actual_access:  read_only
        .address_space:  global
        .offset:         16
        .size:           8
        .value_kind:     global_buffer
      - .actual_access:  read_only
        .address_space:  global
        .offset:         24
        .size:           8
        .value_kind:     global_buffer
      - .actual_access:  read_only
        .address_space:  global
        .offset:         32
        .size:           8
        .value_kind:     global_buffer
      - .address_space:  global
        .offset:         40
        .size:           8
        .value_kind:     global_buffer
      - .actual_access:  read_only
        .address_space:  global
        .offset:         48
        .size:           8
        .value_kind:     global_buffer
      - .actual_access:  read_only
        .address_space:  global
        .offset:         56
        .size:           8
        .value_kind:     global_buffer
    .group_segment_fixed_size: 0
    .kernarg_segment_align: 8
    .kernarg_segment_size: 64
    .language:       OpenCL C
    .language_version:
      - 2
      - 0
    .max_flat_workgroup_size: 256
    .name:           _ZN9rocsparseL19gtsv_LBM_rhs_kernelILj256ELj8ELj2E21rocsparse_complex_numIfEEEviiiPKT2_S5_S5_PS3_S5_PKi
    .private_segment_fixed_size: 0
    .sgpr_count:     34
    .sgpr_spill_count: 0
    .symbol:         _ZN9rocsparseL19gtsv_LBM_rhs_kernelILj256ELj8ELj2E21rocsparse_complex_numIfEEEviiiPKT2_S5_S5_PS3_S5_PKi.kd
    .uniform_work_group_size: 1
    .uses_dynamic_stack: false
    .vgpr_count:     39
    .vgpr_spill_count: 0
    .wavefront_size: 64
  - .args:
      - .offset:         0
        .size:           4
        .value_kind:     by_value
      - .offset:         4
        .size:           4
        .value_kind:     by_value
      - .offset:         8
        .size:           4
        .value_kind:     by_value
      - .actual_access:  read_only
        .address_space:  global
        .offset:         16
        .size:           8
        .value_kind:     global_buffer
      - .actual_access:  read_only
        .address_space:  global
        .offset:         24
        .size:           8
        .value_kind:     global_buffer
      - .actual_access:  read_only
        .address_space:  global
        .offset:         32
        .size:           8
        .value_kind:     global_buffer
      - .address_space:  global
        .offset:         40
        .size:           8
        .value_kind:     global_buffer
      - .actual_access:  read_only
        .address_space:  global
        .offset:         48
        .size:           8
        .value_kind:     global_buffer
      - .actual_access:  read_only
        .address_space:  global
        .offset:         56
        .size:           8
        .value_kind:     global_buffer
    .group_segment_fixed_size: 0
    .kernarg_segment_align: 8
    .kernarg_segment_size: 64
    .language:       OpenCL C
    .language_version:
      - 2
      - 0
    .max_flat_workgroup_size: 256
    .name:           _ZN9rocsparseL19gtsv_LBM_rhs_kernelILj256ELj8ELj1E21rocsparse_complex_numIfEEEviiiPKT2_S5_S5_PS3_S5_PKi
    .private_segment_fixed_size: 0
    .sgpr_count:     32
    .sgpr_spill_count: 0
    .symbol:         _ZN9rocsparseL19gtsv_LBM_rhs_kernelILj256ELj8ELj1E21rocsparse_complex_numIfEEEviiiPKT2_S5_S5_PS3_S5_PKi.kd
    .uniform_work_group_size: 1
    .uses_dynamic_stack: false
    .vgpr_count:     32
    .vgpr_spill_count: 0
    .wavefront_size: 64
  - .args:
      - .offset:         0
        .size:           4
        .value_kind:     by_value
      - .offset:         4
        .size:           4
        .value_kind:     by_value
      - .offset:         8
        .size:           4
        .value_kind:     by_value
      - .address_space:  global
        .offset:         16
        .size:           8
        .value_kind:     global_buffer
      - .actual_access:  read_only
        .address_space:  global
        .offset:         24
        .size:           8
        .value_kind:     global_buffer
      - .actual_access:  read_only
        .address_space:  global
        .offset:         32
        .size:           8
        .value_kind:     global_buffer
      - .actual_access:  write_only
        .address_space:  global
        .offset:         40
        .size:           8
        .value_kind:     global_buffer
      - .actual_access:  write_only
        .address_space:  global
        .offset:         48
        .size:           8
        .value_kind:     global_buffer
      - .actual_access:  write_only
        .address_space:  global
        .offset:         56
        .size:           8
        .value_kind:     global_buffer
      - .actual_access:  write_only
        .address_space:  global
        .offset:         64
        .size:           8
        .value_kind:     global_buffer
      - .actual_access:  write_only
        .address_space:  global
        .offset:         72
        .size:           8
        .value_kind:     global_buffer
      - .offset:         80
        .size:           4
        .value_kind:     hidden_block_count_x
      - .offset:         84
        .size:           4
        .value_kind:     hidden_block_count_y
      - .offset:         88
        .size:           4
        .value_kind:     hidden_block_count_z
      - .offset:         92
        .size:           2
        .value_kind:     hidden_group_size_x
      - .offset:         94
        .size:           2
        .value_kind:     hidden_group_size_y
      - .offset:         96
        .size:           2
        .value_kind:     hidden_group_size_z
      - .offset:         98
        .size:           2
        .value_kind:     hidden_remainder_x
      - .offset:         100
        .size:           2
        .value_kind:     hidden_remainder_y
      - .offset:         102
        .size:           2
        .value_kind:     hidden_remainder_z
      - .offset:         120
        .size:           8
        .value_kind:     hidden_global_offset_x
      - .offset:         128
        .size:           8
        .value_kind:     hidden_global_offset_y
      - .offset:         136
        .size:           8
        .value_kind:     hidden_global_offset_z
      - .offset:         144
        .size:           2
        .value_kind:     hidden_grid_dims
    .group_segment_fixed_size: 12288
    .kernarg_segment_align: 8
    .kernarg_segment_size: 336
    .language:       OpenCL C
    .language_version:
      - 2
      - 0
    .max_flat_workgroup_size: 256
    .name:           _ZN9rocsparseL29gtsv_spike_block_level_kernelILj256ELj8E21rocsparse_complex_numIfEEEviiiPT1_PKS3_S6_S4_S4_S4_S4_S4_
    .private_segment_fixed_size: 0
    .sgpr_count:     30
    .sgpr_spill_count: 0
    .symbol:         _ZN9rocsparseL29gtsv_spike_block_level_kernelILj256ELj8E21rocsparse_complex_numIfEEEviiiPT1_PKS3_S6_S4_S4_S4_S4_S4_.kd
    .uniform_work_group_size: 1
    .uses_dynamic_stack: false
    .vgpr_count:     33
    .vgpr_spill_count: 0
    .wavefront_size: 64
  - .args:
      - .offset:         0
        .size:           4
        .value_kind:     by_value
      - .offset:         4
        .size:           4
        .value_kind:     by_value
      - .offset:         8
        .size:           4
        .value_kind:     by_value
      - .address_space:  global
        .offset:         16
        .size:           8
        .value_kind:     global_buffer
      - .actual_access:  read_only
        .address_space:  global
        .offset:         24
        .size:           8
        .value_kind:     global_buffer
      - .actual_access:  read_only
        .address_space:  global
        .offset:         32
        .size:           8
        .value_kind:     global_buffer
      - .actual_access:  read_only
        .address_space:  global
        .offset:         40
        .size:           8
        .value_kind:     global_buffer
      - .offset:         48
        .size:           4
        .value_kind:     hidden_block_count_x
      - .offset:         52
        .size:           4
        .value_kind:     hidden_block_count_y
      - .offset:         56
        .size:           4
        .value_kind:     hidden_block_count_z
      - .offset:         60
        .size:           2
        .value_kind:     hidden_group_size_x
      - .offset:         62
        .size:           2
        .value_kind:     hidden_group_size_y
      - .offset:         64
        .size:           2
        .value_kind:     hidden_group_size_z
      - .offset:         66
        .size:           2
        .value_kind:     hidden_remainder_x
      - .offset:         68
        .size:           2
        .value_kind:     hidden_remainder_y
      - .offset:         70
        .size:           2
        .value_kind:     hidden_remainder_z
      - .offset:         88
        .size:           8
        .value_kind:     hidden_global_offset_x
      - .offset:         96
        .size:           8
        .value_kind:     hidden_global_offset_y
      - .offset:         104
        .size:           8
        .value_kind:     hidden_global_offset_z
      - .offset:         112
        .size:           2
        .value_kind:     hidden_grid_dims
    .group_segment_fixed_size: 12304
    .kernarg_segment_align: 8
    .kernarg_segment_size: 304
    .language:       OpenCL C
    .language_version:
      - 2
      - 0
    .max_flat_workgroup_size: 256
    .name:           _ZN9rocsparseL33gtsv_solve_spike_propagate_kernelILj256ELj8E21rocsparse_complex_numIfEEEviiiPT1_PKS3_S6_S6_
    .private_segment_fixed_size: 0
    .sgpr_count:     22
    .sgpr_spill_count: 0
    .symbol:         _ZN9rocsparseL33gtsv_solve_spike_propagate_kernelILj256ELj8E21rocsparse_complex_numIfEEEviiiPT1_PKS3_S6_S6_.kd
    .uniform_work_group_size: 1
    .uses_dynamic_stack: false
    .vgpr_count:     21
    .vgpr_spill_count: 0
    .wavefront_size: 64
  - .args:
      - .offset:         0
        .size:           4
        .value_kind:     by_value
      - .offset:         4
        .size:           4
        .value_kind:     by_value
      - .offset:         8
        .size:           4
        .value_kind:     by_value
      - .address_space:  global
        .offset:         16
        .size:           8
        .value_kind:     global_buffer
      - .actual_access:  read_only
        .address_space:  global
        .offset:         24
        .size:           8
        .value_kind:     global_buffer
      - .actual_access:  read_only
        .address_space:  global
        .offset:         32
        .size:           8
        .value_kind:     global_buffer
    .group_segment_fixed_size: 0
    .kernarg_segment_align: 8
    .kernarg_segment_size: 40
    .language:       OpenCL C
    .language_version:
      - 2
      - 0
    .max_flat_workgroup_size: 256
    .name:           _ZN9rocsparseL39gtsv_spike_backward_substitution_kernelILj256ELj8E21rocsparse_complex_numIfEEEviiiPT1_PKS3_S6_
    .private_segment_fixed_size: 0
    .sgpr_count:     16
    .sgpr_spill_count: 0
    .symbol:         _ZN9rocsparseL39gtsv_spike_backward_substitution_kernelILj256ELj8E21rocsparse_complex_numIfEEEviiiPT1_PKS3_S6_.kd
    .uniform_work_group_size: 1
    .uses_dynamic_stack: false
    .vgpr_count:     14
    .vgpr_spill_count: 0
    .wavefront_size: 64
  - .args:
      - .offset:         0
        .size:           4
        .value_kind:     by_value
      - .offset:         4
        .size:           4
        .value_kind:     by_value
      - .offset:         8
        .size:           4
        .value_kind:     by_value
      - .actual_access:  read_only
        .address_space:  global
        .offset:         16
        .size:           8
        .value_kind:     global_buffer
      - .actual_access:  write_only
        .address_space:  global
        .offset:         24
        .size:           8
        .value_kind:     global_buffer
    .group_segment_fixed_size: 0
    .kernarg_segment_align: 8
    .kernarg_segment_size: 32
    .language:       OpenCL C
    .language_version:
      - 2
      - 0
    .max_flat_workgroup_size: 256
    .name:           _ZN9rocsparseL32gtsv_transpose_back_array_kernelILj256ELj8E21rocsparse_complex_numIfEEEviiiPKT1_PS3_
    .private_segment_fixed_size: 0
    .sgpr_count:     16
    .sgpr_spill_count: 0
    .symbol:         _ZN9rocsparseL32gtsv_transpose_back_array_kernelILj256ELj8E21rocsparse_complex_numIfEEEviiiPKT1_PS3_.kd
    .uniform_work_group_size: 1
    .uses_dynamic_stack: false
    .vgpr_count:     5
    .vgpr_spill_count: 0
    .wavefront_size: 64
  - .args:
      - .offset:         0
        .size:           4
        .value_kind:     by_value
      - .offset:         4
        .size:           4
        .value_kind:     by_value
      - .offset:         8
        .size:           4
        .value_kind:     by_value
      - .actual_access:  read_only
        .address_space:  global
        .offset:         16
        .size:           8
        .value_kind:     global_buffer
      - .actual_access:  write_only
        .address_space:  global
        .offset:         24
        .size:           8
        .value_kind:     global_buffer
      - .offset:         32
        .size:           8
        .value_kind:     by_value
    .group_segment_fixed_size: 2048
    .kernarg_segment_align: 8
    .kernarg_segment_size: 40
    .language:       OpenCL C
    .language_version:
      - 2
      - 0
    .max_flat_workgroup_size: 256
    .name:           _ZN9rocsparseL42gtsv_transpose_and_pad_array_shared_kernelILj256ELj16E21rocsparse_complex_numIfEEEviiiPKT1_PS3_S3_
    .private_segment_fixed_size: 0
    .sgpr_count:     16
    .sgpr_spill_count: 0
    .symbol:         _ZN9rocsparseL42gtsv_transpose_and_pad_array_shared_kernelILj256ELj16E21rocsparse_complex_numIfEEEviiiPKT1_PS3_S3_.kd
    .uniform_work_group_size: 1
    .uses_dynamic_stack: false
    .vgpr_count:     5
    .vgpr_spill_count: 0
    .wavefront_size: 64
  - .args:
      - .offset:         0
        .size:           4
        .value_kind:     by_value
      - .offset:         4
        .size:           4
        .value_kind:     by_value
      - .offset:         8
        .size:           4
        .value_kind:     by_value
      - .actual_access:  read_only
        .address_space:  global
        .offset:         16
        .size:           8
        .value_kind:     global_buffer
      - .actual_access:  read_only
        .address_space:  global
        .offset:         24
        .size:           8
        .value_kind:     global_buffer
      - .actual_access:  read_only
        .address_space:  global
        .offset:         32
        .size:           8
        .value_kind:     global_buffer
      - .address_space:  global
        .offset:         40
        .size:           8
        .value_kind:     global_buffer
      - .address_space:  global
        .offset:         48
        .size:           8
        .value_kind:     global_buffer
      - .address_space:  global
        .offset:         56
        .size:           8
        .value_kind:     global_buffer
      - .address_space:  global
        .offset:         64
        .size:           8
        .value_kind:     global_buffer
    .group_segment_fixed_size: 0
    .kernarg_segment_align: 8
    .kernarg_segment_size: 72
    .language:       OpenCL C
    .language_version:
      - 2
      - 0
    .max_flat_workgroup_size: 256
    .name:           _ZN9rocsparseL18gtsv_LBM_wv_kernelILj256ELj16E21rocsparse_complex_numIfEEEviiiPKT1_S5_S5_PS3_S6_S6_Pi
    .private_segment_fixed_size: 0
    .sgpr_count:     39
    .sgpr_spill_count: 0
    .symbol:         _ZN9rocsparseL18gtsv_LBM_wv_kernelILj256ELj16E21rocsparse_complex_numIfEEEviiiPKT1_S5_S5_PS3_S6_S6_Pi.kd
    .uniform_work_group_size: 1
    .uses_dynamic_stack: false
    .vgpr_count:     47
    .vgpr_spill_count: 0
    .wavefront_size: 64
  - .args:
      - .offset:         0
        .size:           4
        .value_kind:     by_value
      - .offset:         4
        .size:           4
        .value_kind:     by_value
      - .offset:         8
        .size:           4
        .value_kind:     by_value
      - .actual_access:  read_only
        .address_space:  global
        .offset:         16
        .size:           8
        .value_kind:     global_buffer
      - .actual_access:  read_only
        .address_space:  global
        .offset:         24
        .size:           8
        .value_kind:     global_buffer
      - .actual_access:  read_only
        .address_space:  global
        .offset:         32
        .size:           8
        .value_kind:     global_buffer
      - .address_space:  global
        .offset:         40
        .size:           8
        .value_kind:     global_buffer
      - .actual_access:  read_only
        .address_space:  global
        .offset:         48
        .size:           8
        .value_kind:     global_buffer
      - .actual_access:  read_only
        .address_space:  global
        .offset:         56
        .size:           8
        .value_kind:     global_buffer
    .group_segment_fixed_size: 0
    .kernarg_segment_align: 8
    .kernarg_segment_size: 64
    .language:       OpenCL C
    .language_version:
      - 2
      - 0
    .max_flat_workgroup_size: 256
    .name:           _ZN9rocsparseL19gtsv_LBM_rhs_kernelILj256ELj16ELj8E21rocsparse_complex_numIfEEEviiiPKT2_S5_S5_PS3_S5_PKi
    .private_segment_fixed_size: 0
    .sgpr_count:     41
    .sgpr_spill_count: 0
    .symbol:         _ZN9rocsparseL19gtsv_LBM_rhs_kernelILj256ELj16ELj8E21rocsparse_complex_numIfEEEviiiPKT2_S5_S5_PS3_S5_PKi.kd
    .uniform_work_group_size: 1
    .uses_dynamic_stack: false
    .vgpr_count:     95
    .vgpr_spill_count: 0
    .wavefront_size: 64
  - .args:
      - .offset:         0
        .size:           4
        .value_kind:     by_value
      - .offset:         4
        .size:           4
        .value_kind:     by_value
      - .offset:         8
        .size:           4
        .value_kind:     by_value
      - .actual_access:  read_only
        .address_space:  global
        .offset:         16
        .size:           8
        .value_kind:     global_buffer
      - .actual_access:  read_only
        .address_space:  global
        .offset:         24
        .size:           8
        .value_kind:     global_buffer
      - .actual_access:  read_only
        .address_space:  global
        .offset:         32
        .size:           8
        .value_kind:     global_buffer
      - .address_space:  global
        .offset:         40
        .size:           8
        .value_kind:     global_buffer
      - .actual_access:  read_only
        .address_space:  global
        .offset:         48
        .size:           8
        .value_kind:     global_buffer
      - .actual_access:  read_only
        .address_space:  global
        .offset:         56
        .size:           8
        .value_kind:     global_buffer
    .group_segment_fixed_size: 0
    .kernarg_segment_align: 8
    .kernarg_segment_size: 64
    .language:       OpenCL C
    .language_version:
      - 2
      - 0
    .max_flat_workgroup_size: 256
    .name:           _ZN9rocsparseL19gtsv_LBM_rhs_kernelILj256ELj16ELj4E21rocsparse_complex_numIfEEEviiiPKT2_S5_S5_PS3_S5_PKi
    .private_segment_fixed_size: 0
    .sgpr_count:     36
    .sgpr_spill_count: 0
    .symbol:         _ZN9rocsparseL19gtsv_LBM_rhs_kernelILj256ELj16ELj4E21rocsparse_complex_numIfEEEviiiPKT2_S5_S5_PS3_S5_PKi.kd
    .uniform_work_group_size: 1
    .uses_dynamic_stack: false
    .vgpr_count:     61
    .vgpr_spill_count: 0
    .wavefront_size: 64
  - .args:
      - .offset:         0
        .size:           4
        .value_kind:     by_value
      - .offset:         4
        .size:           4
        .value_kind:     by_value
      - .offset:         8
        .size:           4
        .value_kind:     by_value
      - .actual_access:  read_only
        .address_space:  global
        .offset:         16
        .size:           8
        .value_kind:     global_buffer
      - .actual_access:  read_only
        .address_space:  global
        .offset:         24
        .size:           8
        .value_kind:     global_buffer
      - .actual_access:  read_only
        .address_space:  global
        .offset:         32
        .size:           8
        .value_kind:     global_buffer
      - .address_space:  global
        .offset:         40
        .size:           8
        .value_kind:     global_buffer
      - .actual_access:  read_only
        .address_space:  global
        .offset:         48
        .size:           8
        .value_kind:     global_buffer
      - .actual_access:  read_only
        .address_space:  global
        .offset:         56
        .size:           8
        .value_kind:     global_buffer
    .group_segment_fixed_size: 0
    .kernarg_segment_align: 8
    .kernarg_segment_size: 64
    .language:       OpenCL C
    .language_version:
      - 2
      - 0
    .max_flat_workgroup_size: 256
    .name:           _ZN9rocsparseL19gtsv_LBM_rhs_kernelILj256ELj16ELj2E21rocsparse_complex_numIfEEEviiiPKT2_S5_S5_PS3_S5_PKi
    .private_segment_fixed_size: 0
    .sgpr_count:     34
    .sgpr_spill_count: 0
    .symbol:         _ZN9rocsparseL19gtsv_LBM_rhs_kernelILj256ELj16ELj2E21rocsparse_complex_numIfEEEviiiPKT2_S5_S5_PS3_S5_PKi.kd
    .uniform_work_group_size: 1
    .uses_dynamic_stack: false
    .vgpr_count:     39
    .vgpr_spill_count: 0
    .wavefront_size: 64
  - .args:
      - .offset:         0
        .size:           4
        .value_kind:     by_value
      - .offset:         4
        .size:           4
        .value_kind:     by_value
      - .offset:         8
        .size:           4
        .value_kind:     by_value
      - .actual_access:  read_only
        .address_space:  global
        .offset:         16
        .size:           8
        .value_kind:     global_buffer
      - .actual_access:  read_only
        .address_space:  global
        .offset:         24
        .size:           8
        .value_kind:     global_buffer
      - .actual_access:  read_only
        .address_space:  global
        .offset:         32
        .size:           8
        .value_kind:     global_buffer
      - .address_space:  global
        .offset:         40
        .size:           8
        .value_kind:     global_buffer
      - .actual_access:  read_only
        .address_space:  global
        .offset:         48
        .size:           8
        .value_kind:     global_buffer
      - .actual_access:  read_only
        .address_space:  global
        .offset:         56
        .size:           8
        .value_kind:     global_buffer
    .group_segment_fixed_size: 0
    .kernarg_segment_align: 8
    .kernarg_segment_size: 64
    .language:       OpenCL C
    .language_version:
      - 2
      - 0
    .max_flat_workgroup_size: 256
    .name:           _ZN9rocsparseL19gtsv_LBM_rhs_kernelILj256ELj16ELj1E21rocsparse_complex_numIfEEEviiiPKT2_S5_S5_PS3_S5_PKi
    .private_segment_fixed_size: 0
    .sgpr_count:     32
    .sgpr_spill_count: 0
    .symbol:         _ZN9rocsparseL19gtsv_LBM_rhs_kernelILj256ELj16ELj1E21rocsparse_complex_numIfEEEviiiPKT2_S5_S5_PS3_S5_PKi.kd
    .uniform_work_group_size: 1
    .uses_dynamic_stack: false
    .vgpr_count:     32
    .vgpr_spill_count: 0
    .wavefront_size: 64
  - .args:
      - .offset:         0
        .size:           4
        .value_kind:     by_value
      - .offset:         4
        .size:           4
        .value_kind:     by_value
      - .offset:         8
        .size:           4
        .value_kind:     by_value
      - .address_space:  global
        .offset:         16
        .size:           8
        .value_kind:     global_buffer
      - .actual_access:  read_only
        .address_space:  global
        .offset:         24
        .size:           8
        .value_kind:     global_buffer
      - .actual_access:  read_only
        .address_space:  global
        .offset:         32
        .size:           8
        .value_kind:     global_buffer
      - .actual_access:  write_only
        .address_space:  global
        .offset:         40
        .size:           8
        .value_kind:     global_buffer
      - .actual_access:  write_only
        .address_space:  global
        .offset:         48
        .size:           8
        .value_kind:     global_buffer
      - .actual_access:  write_only
        .address_space:  global
        .offset:         56
        .size:           8
        .value_kind:     global_buffer
      - .actual_access:  write_only
        .address_space:  global
        .offset:         64
        .size:           8
        .value_kind:     global_buffer
      - .actual_access:  write_only
        .address_space:  global
        .offset:         72
        .size:           8
        .value_kind:     global_buffer
      - .offset:         80
        .size:           4
        .value_kind:     hidden_block_count_x
      - .offset:         84
        .size:           4
        .value_kind:     hidden_block_count_y
      - .offset:         88
        .size:           4
        .value_kind:     hidden_block_count_z
      - .offset:         92
        .size:           2
        .value_kind:     hidden_group_size_x
      - .offset:         94
        .size:           2
        .value_kind:     hidden_group_size_y
      - .offset:         96
        .size:           2
        .value_kind:     hidden_group_size_z
      - .offset:         98
        .size:           2
        .value_kind:     hidden_remainder_x
      - .offset:         100
        .size:           2
        .value_kind:     hidden_remainder_y
      - .offset:         102
        .size:           2
        .value_kind:     hidden_remainder_z
      - .offset:         120
        .size:           8
        .value_kind:     hidden_global_offset_x
      - .offset:         128
        .size:           8
        .value_kind:     hidden_global_offset_y
      - .offset:         136
        .size:           8
        .value_kind:     hidden_global_offset_z
      - .offset:         144
        .size:           2
        .value_kind:     hidden_grid_dims
    .group_segment_fixed_size: 12288
    .kernarg_segment_align: 8
    .kernarg_segment_size: 336
    .language:       OpenCL C
    .language_version:
      - 2
      - 0
    .max_flat_workgroup_size: 256
    .name:           _ZN9rocsparseL29gtsv_spike_block_level_kernelILj256ELj16E21rocsparse_complex_numIfEEEviiiPT1_PKS3_S6_S4_S4_S4_S4_S4_
    .private_segment_fixed_size: 0
    .sgpr_count:     30
    .sgpr_spill_count: 0
    .symbol:         _ZN9rocsparseL29gtsv_spike_block_level_kernelILj256ELj16E21rocsparse_complex_numIfEEEviiiPT1_PKS3_S6_S4_S4_S4_S4_S4_.kd
    .uniform_work_group_size: 1
    .uses_dynamic_stack: false
    .vgpr_count:     33
    .vgpr_spill_count: 0
    .wavefront_size: 64
  - .args:
      - .offset:         0
        .size:           4
        .value_kind:     by_value
      - .offset:         4
        .size:           4
        .value_kind:     by_value
      - .offset:         8
        .size:           4
        .value_kind:     by_value
      - .address_space:  global
        .offset:         16
        .size:           8
        .value_kind:     global_buffer
      - .actual_access:  read_only
        .address_space:  global
        .offset:         24
        .size:           8
        .value_kind:     global_buffer
      - .actual_access:  read_only
        .address_space:  global
        .offset:         32
        .size:           8
        .value_kind:     global_buffer
      - .actual_access:  read_only
        .address_space:  global
        .offset:         40
        .size:           8
        .value_kind:     global_buffer
      - .offset:         48
        .size:           4
        .value_kind:     hidden_block_count_x
      - .offset:         52
        .size:           4
        .value_kind:     hidden_block_count_y
      - .offset:         56
        .size:           4
        .value_kind:     hidden_block_count_z
      - .offset:         60
        .size:           2
        .value_kind:     hidden_group_size_x
      - .offset:         62
        .size:           2
        .value_kind:     hidden_group_size_y
      - .offset:         64
        .size:           2
        .value_kind:     hidden_group_size_z
      - .offset:         66
        .size:           2
        .value_kind:     hidden_remainder_x
      - .offset:         68
        .size:           2
        .value_kind:     hidden_remainder_y
      - .offset:         70
        .size:           2
        .value_kind:     hidden_remainder_z
      - .offset:         88
        .size:           8
        .value_kind:     hidden_global_offset_x
      - .offset:         96
        .size:           8
        .value_kind:     hidden_global_offset_y
      - .offset:         104
        .size:           8
        .value_kind:     hidden_global_offset_z
      - .offset:         112
        .size:           2
        .value_kind:     hidden_grid_dims
    .group_segment_fixed_size: 12304
    .kernarg_segment_align: 8
    .kernarg_segment_size: 304
    .language:       OpenCL C
    .language_version:
      - 2
      - 0
    .max_flat_workgroup_size: 256
    .name:           _ZN9rocsparseL33gtsv_solve_spike_propagate_kernelILj256ELj16E21rocsparse_complex_numIfEEEviiiPT1_PKS3_S6_S6_
    .private_segment_fixed_size: 0
    .sgpr_count:     22
    .sgpr_spill_count: 0
    .symbol:         _ZN9rocsparseL33gtsv_solve_spike_propagate_kernelILj256ELj16E21rocsparse_complex_numIfEEEviiiPT1_PKS3_S6_S6_.kd
    .uniform_work_group_size: 1
    .uses_dynamic_stack: false
    .vgpr_count:     21
    .vgpr_spill_count: 0
    .wavefront_size: 64
  - .args:
      - .offset:         0
        .size:           4
        .value_kind:     by_value
      - .offset:         4
        .size:           4
        .value_kind:     by_value
      - .offset:         8
        .size:           4
        .value_kind:     by_value
      - .address_space:  global
        .offset:         16
        .size:           8
        .value_kind:     global_buffer
      - .actual_access:  read_only
        .address_space:  global
        .offset:         24
        .size:           8
        .value_kind:     global_buffer
      - .actual_access:  read_only
        .address_space:  global
        .offset:         32
        .size:           8
        .value_kind:     global_buffer
    .group_segment_fixed_size: 0
    .kernarg_segment_align: 8
    .kernarg_segment_size: 40
    .language:       OpenCL C
    .language_version:
      - 2
      - 0
    .max_flat_workgroup_size: 256
    .name:           _ZN9rocsparseL39gtsv_spike_backward_substitution_kernelILj256ELj16E21rocsparse_complex_numIfEEEviiiPT1_PKS3_S6_
    .private_segment_fixed_size: 0
    .sgpr_count:     17
    .sgpr_spill_count: 0
    .symbol:         _ZN9rocsparseL39gtsv_spike_backward_substitution_kernelILj256ELj16E21rocsparse_complex_numIfEEEviiiPT1_PKS3_S6_.kd
    .uniform_work_group_size: 1
    .uses_dynamic_stack: false
    .vgpr_count:     22
    .vgpr_spill_count: 0
    .wavefront_size: 64
  - .args:
      - .offset:         0
        .size:           4
        .value_kind:     by_value
      - .offset:         4
        .size:           4
        .value_kind:     by_value
      - .offset:         8
        .size:           4
        .value_kind:     by_value
      - .actual_access:  read_only
        .address_space:  global
        .offset:         16
        .size:           8
        .value_kind:     global_buffer
      - .actual_access:  write_only
        .address_space:  global
        .offset:         24
        .size:           8
        .value_kind:     global_buffer
    .group_segment_fixed_size: 0
    .kernarg_segment_align: 8
    .kernarg_segment_size: 32
    .language:       OpenCL C
    .language_version:
      - 2
      - 0
    .max_flat_workgroup_size: 256
    .name:           _ZN9rocsparseL32gtsv_transpose_back_array_kernelILj256ELj16E21rocsparse_complex_numIfEEEviiiPKT1_PS3_
    .private_segment_fixed_size: 0
    .sgpr_count:     16
    .sgpr_spill_count: 0
    .symbol:         _ZN9rocsparseL32gtsv_transpose_back_array_kernelILj256ELj16E21rocsparse_complex_numIfEEEviiiPKT1_PS3_.kd
    .uniform_work_group_size: 1
    .uses_dynamic_stack: false
    .vgpr_count:     5
    .vgpr_spill_count: 0
    .wavefront_size: 64
  - .args:
      - .offset:         0
        .size:           4
        .value_kind:     by_value
      - .offset:         4
        .size:           4
        .value_kind:     by_value
      - .offset:         8
        .size:           4
        .value_kind:     by_value
      - .actual_access:  read_only
        .address_space:  global
        .offset:         16
        .size:           8
        .value_kind:     global_buffer
      - .actual_access:  write_only
        .address_space:  global
        .offset:         24
        .size:           8
        .value_kind:     global_buffer
      - .offset:         32
        .size:           8
        .value_kind:     by_value
    .group_segment_fixed_size: 2048
    .kernarg_segment_align: 8
    .kernarg_segment_size: 40
    .language:       OpenCL C
    .language_version:
      - 2
      - 0
    .max_flat_workgroup_size: 256
    .name:           _ZN9rocsparseL42gtsv_transpose_and_pad_array_shared_kernelILj256ELj32E21rocsparse_complex_numIfEEEviiiPKT1_PS3_S3_
    .private_segment_fixed_size: 0
    .sgpr_count:     16
    .sgpr_spill_count: 0
    .symbol:         _ZN9rocsparseL42gtsv_transpose_and_pad_array_shared_kernelILj256ELj32E21rocsparse_complex_numIfEEEviiiPKT1_PS3_S3_.kd
    .uniform_work_group_size: 1
    .uses_dynamic_stack: false
    .vgpr_count:     5
    .vgpr_spill_count: 0
    .wavefront_size: 64
  - .args:
      - .offset:         0
        .size:           4
        .value_kind:     by_value
      - .offset:         4
        .size:           4
        .value_kind:     by_value
      - .offset:         8
        .size:           4
        .value_kind:     by_value
      - .actual_access:  read_only
        .address_space:  global
        .offset:         16
        .size:           8
        .value_kind:     global_buffer
      - .actual_access:  read_only
        .address_space:  global
        .offset:         24
        .size:           8
        .value_kind:     global_buffer
      - .actual_access:  read_only
        .address_space:  global
        .offset:         32
        .size:           8
        .value_kind:     global_buffer
      - .address_space:  global
        .offset:         40
        .size:           8
        .value_kind:     global_buffer
      - .address_space:  global
        .offset:         48
        .size:           8
        .value_kind:     global_buffer
      - .address_space:  global
        .offset:         56
        .size:           8
        .value_kind:     global_buffer
      - .address_space:  global
        .offset:         64
        .size:           8
        .value_kind:     global_buffer
    .group_segment_fixed_size: 0
    .kernarg_segment_align: 8
    .kernarg_segment_size: 72
    .language:       OpenCL C
    .language_version:
      - 2
      - 0
    .max_flat_workgroup_size: 256
    .name:           _ZN9rocsparseL18gtsv_LBM_wv_kernelILj256ELj32E21rocsparse_complex_numIfEEEviiiPKT1_S5_S5_PS3_S6_S6_Pi
    .private_segment_fixed_size: 0
    .sgpr_count:     39
    .sgpr_spill_count: 0
    .symbol:         _ZN9rocsparseL18gtsv_LBM_wv_kernelILj256ELj32E21rocsparse_complex_numIfEEEviiiPKT1_S5_S5_PS3_S6_S6_Pi.kd
    .uniform_work_group_size: 1
    .uses_dynamic_stack: false
    .vgpr_count:     47
    .vgpr_spill_count: 0
    .wavefront_size: 64
  - .args:
      - .offset:         0
        .size:           4
        .value_kind:     by_value
      - .offset:         4
        .size:           4
        .value_kind:     by_value
      - .offset:         8
        .size:           4
        .value_kind:     by_value
      - .actual_access:  read_only
        .address_space:  global
        .offset:         16
        .size:           8
        .value_kind:     global_buffer
      - .actual_access:  read_only
        .address_space:  global
        .offset:         24
        .size:           8
        .value_kind:     global_buffer
      - .actual_access:  read_only
        .address_space:  global
        .offset:         32
        .size:           8
        .value_kind:     global_buffer
      - .address_space:  global
        .offset:         40
        .size:           8
        .value_kind:     global_buffer
      - .actual_access:  read_only
        .address_space:  global
        .offset:         48
        .size:           8
        .value_kind:     global_buffer
      - .actual_access:  read_only
        .address_space:  global
        .offset:         56
        .size:           8
        .value_kind:     global_buffer
    .group_segment_fixed_size: 0
    .kernarg_segment_align: 8
    .kernarg_segment_size: 64
    .language:       OpenCL C
    .language_version:
      - 2
      - 0
    .max_flat_workgroup_size: 256
    .name:           _ZN9rocsparseL19gtsv_LBM_rhs_kernelILj256ELj32ELj8E21rocsparse_complex_numIfEEEviiiPKT2_S5_S5_PS3_S5_PKi
    .private_segment_fixed_size: 0
    .sgpr_count:     41
    .sgpr_spill_count: 0
    .symbol:         _ZN9rocsparseL19gtsv_LBM_rhs_kernelILj256ELj32ELj8E21rocsparse_complex_numIfEEEviiiPKT2_S5_S5_PS3_S5_PKi.kd
    .uniform_work_group_size: 1
    .uses_dynamic_stack: false
    .vgpr_count:     95
    .vgpr_spill_count: 0
    .wavefront_size: 64
  - .args:
      - .offset:         0
        .size:           4
        .value_kind:     by_value
      - .offset:         4
        .size:           4
        .value_kind:     by_value
      - .offset:         8
        .size:           4
        .value_kind:     by_value
      - .actual_access:  read_only
        .address_space:  global
        .offset:         16
        .size:           8
        .value_kind:     global_buffer
      - .actual_access:  read_only
        .address_space:  global
        .offset:         24
        .size:           8
        .value_kind:     global_buffer
      - .actual_access:  read_only
        .address_space:  global
        .offset:         32
        .size:           8
        .value_kind:     global_buffer
      - .address_space:  global
        .offset:         40
        .size:           8
        .value_kind:     global_buffer
      - .actual_access:  read_only
        .address_space:  global
        .offset:         48
        .size:           8
        .value_kind:     global_buffer
      - .actual_access:  read_only
        .address_space:  global
        .offset:         56
        .size:           8
        .value_kind:     global_buffer
    .group_segment_fixed_size: 0
    .kernarg_segment_align: 8
    .kernarg_segment_size: 64
    .language:       OpenCL C
    .language_version:
      - 2
      - 0
    .max_flat_workgroup_size: 256
    .name:           _ZN9rocsparseL19gtsv_LBM_rhs_kernelILj256ELj32ELj4E21rocsparse_complex_numIfEEEviiiPKT2_S5_S5_PS3_S5_PKi
    .private_segment_fixed_size: 0
    .sgpr_count:     36
    .sgpr_spill_count: 0
    .symbol:         _ZN9rocsparseL19gtsv_LBM_rhs_kernelILj256ELj32ELj4E21rocsparse_complex_numIfEEEviiiPKT2_S5_S5_PS3_S5_PKi.kd
    .uniform_work_group_size: 1
    .uses_dynamic_stack: false
    .vgpr_count:     61
    .vgpr_spill_count: 0
    .wavefront_size: 64
  - .args:
      - .offset:         0
        .size:           4
        .value_kind:     by_value
      - .offset:         4
        .size:           4
        .value_kind:     by_value
      - .offset:         8
        .size:           4
        .value_kind:     by_value
      - .actual_access:  read_only
        .address_space:  global
        .offset:         16
        .size:           8
        .value_kind:     global_buffer
      - .actual_access:  read_only
        .address_space:  global
        .offset:         24
        .size:           8
        .value_kind:     global_buffer
      - .actual_access:  read_only
        .address_space:  global
        .offset:         32
        .size:           8
        .value_kind:     global_buffer
      - .address_space:  global
        .offset:         40
        .size:           8
        .value_kind:     global_buffer
      - .actual_access:  read_only
        .address_space:  global
        .offset:         48
        .size:           8
        .value_kind:     global_buffer
      - .actual_access:  read_only
        .address_space:  global
        .offset:         56
        .size:           8
        .value_kind:     global_buffer
    .group_segment_fixed_size: 0
    .kernarg_segment_align: 8
    .kernarg_segment_size: 64
    .language:       OpenCL C
    .language_version:
      - 2
      - 0
    .max_flat_workgroup_size: 256
    .name:           _ZN9rocsparseL19gtsv_LBM_rhs_kernelILj256ELj32ELj2E21rocsparse_complex_numIfEEEviiiPKT2_S5_S5_PS3_S5_PKi
    .private_segment_fixed_size: 0
    .sgpr_count:     34
    .sgpr_spill_count: 0
    .symbol:         _ZN9rocsparseL19gtsv_LBM_rhs_kernelILj256ELj32ELj2E21rocsparse_complex_numIfEEEviiiPKT2_S5_S5_PS3_S5_PKi.kd
    .uniform_work_group_size: 1
    .uses_dynamic_stack: false
    .vgpr_count:     39
    .vgpr_spill_count: 0
    .wavefront_size: 64
  - .args:
      - .offset:         0
        .size:           4
        .value_kind:     by_value
      - .offset:         4
        .size:           4
        .value_kind:     by_value
      - .offset:         8
        .size:           4
        .value_kind:     by_value
      - .actual_access:  read_only
        .address_space:  global
        .offset:         16
        .size:           8
        .value_kind:     global_buffer
      - .actual_access:  read_only
        .address_space:  global
        .offset:         24
        .size:           8
        .value_kind:     global_buffer
      - .actual_access:  read_only
        .address_space:  global
        .offset:         32
        .size:           8
        .value_kind:     global_buffer
      - .address_space:  global
        .offset:         40
        .size:           8
        .value_kind:     global_buffer
      - .actual_access:  read_only
        .address_space:  global
        .offset:         48
        .size:           8
        .value_kind:     global_buffer
      - .actual_access:  read_only
        .address_space:  global
        .offset:         56
        .size:           8
        .value_kind:     global_buffer
    .group_segment_fixed_size: 0
    .kernarg_segment_align: 8
    .kernarg_segment_size: 64
    .language:       OpenCL C
    .language_version:
      - 2
      - 0
    .max_flat_workgroup_size: 256
    .name:           _ZN9rocsparseL19gtsv_LBM_rhs_kernelILj256ELj32ELj1E21rocsparse_complex_numIfEEEviiiPKT2_S5_S5_PS3_S5_PKi
    .private_segment_fixed_size: 0
    .sgpr_count:     32
    .sgpr_spill_count: 0
    .symbol:         _ZN9rocsparseL19gtsv_LBM_rhs_kernelILj256ELj32ELj1E21rocsparse_complex_numIfEEEviiiPKT2_S5_S5_PS3_S5_PKi.kd
    .uniform_work_group_size: 1
    .uses_dynamic_stack: false
    .vgpr_count:     32
    .vgpr_spill_count: 0
    .wavefront_size: 64
  - .args:
      - .offset:         0
        .size:           4
        .value_kind:     by_value
      - .offset:         4
        .size:           4
        .value_kind:     by_value
      - .offset:         8
        .size:           4
        .value_kind:     by_value
      - .address_space:  global
        .offset:         16
        .size:           8
        .value_kind:     global_buffer
      - .actual_access:  read_only
        .address_space:  global
        .offset:         24
        .size:           8
        .value_kind:     global_buffer
      - .actual_access:  read_only
        .address_space:  global
        .offset:         32
        .size:           8
        .value_kind:     global_buffer
      - .actual_access:  write_only
        .address_space:  global
        .offset:         40
        .size:           8
        .value_kind:     global_buffer
      - .actual_access:  write_only
        .address_space:  global
        .offset:         48
        .size:           8
        .value_kind:     global_buffer
      - .actual_access:  write_only
        .address_space:  global
        .offset:         56
        .size:           8
        .value_kind:     global_buffer
      - .actual_access:  write_only
        .address_space:  global
        .offset:         64
        .size:           8
        .value_kind:     global_buffer
      - .actual_access:  write_only
        .address_space:  global
        .offset:         72
        .size:           8
        .value_kind:     global_buffer
      - .offset:         80
        .size:           4
        .value_kind:     hidden_block_count_x
      - .offset:         84
        .size:           4
        .value_kind:     hidden_block_count_y
      - .offset:         88
        .size:           4
        .value_kind:     hidden_block_count_z
      - .offset:         92
        .size:           2
        .value_kind:     hidden_group_size_x
      - .offset:         94
        .size:           2
        .value_kind:     hidden_group_size_y
      - .offset:         96
        .size:           2
        .value_kind:     hidden_group_size_z
      - .offset:         98
        .size:           2
        .value_kind:     hidden_remainder_x
      - .offset:         100
        .size:           2
        .value_kind:     hidden_remainder_y
      - .offset:         102
        .size:           2
        .value_kind:     hidden_remainder_z
      - .offset:         120
        .size:           8
        .value_kind:     hidden_global_offset_x
      - .offset:         128
        .size:           8
        .value_kind:     hidden_global_offset_y
      - .offset:         136
        .size:           8
        .value_kind:     hidden_global_offset_z
      - .offset:         144
        .size:           2
        .value_kind:     hidden_grid_dims
    .group_segment_fixed_size: 12288
    .kernarg_segment_align: 8
    .kernarg_segment_size: 336
    .language:       OpenCL C
    .language_version:
      - 2
      - 0
    .max_flat_workgroup_size: 256
    .name:           _ZN9rocsparseL29gtsv_spike_block_level_kernelILj256ELj32E21rocsparse_complex_numIfEEEviiiPT1_PKS3_S6_S4_S4_S4_S4_S4_
    .private_segment_fixed_size: 0
    .sgpr_count:     30
    .sgpr_spill_count: 0
    .symbol:         _ZN9rocsparseL29gtsv_spike_block_level_kernelILj256ELj32E21rocsparse_complex_numIfEEEviiiPT1_PKS3_S6_S4_S4_S4_S4_S4_.kd
    .uniform_work_group_size: 1
    .uses_dynamic_stack: false
    .vgpr_count:     33
    .vgpr_spill_count: 0
    .wavefront_size: 64
  - .args:
      - .offset:         0
        .size:           4
        .value_kind:     by_value
      - .offset:         4
        .size:           4
        .value_kind:     by_value
      - .offset:         8
        .size:           4
        .value_kind:     by_value
      - .address_space:  global
        .offset:         16
        .size:           8
        .value_kind:     global_buffer
      - .actual_access:  read_only
        .address_space:  global
        .offset:         24
        .size:           8
        .value_kind:     global_buffer
      - .actual_access:  read_only
        .address_space:  global
        .offset:         32
        .size:           8
        .value_kind:     global_buffer
      - .actual_access:  read_only
        .address_space:  global
        .offset:         40
        .size:           8
        .value_kind:     global_buffer
      - .offset:         48
        .size:           4
        .value_kind:     hidden_block_count_x
      - .offset:         52
        .size:           4
        .value_kind:     hidden_block_count_y
      - .offset:         56
        .size:           4
        .value_kind:     hidden_block_count_z
      - .offset:         60
        .size:           2
        .value_kind:     hidden_group_size_x
      - .offset:         62
        .size:           2
        .value_kind:     hidden_group_size_y
      - .offset:         64
        .size:           2
        .value_kind:     hidden_group_size_z
      - .offset:         66
        .size:           2
        .value_kind:     hidden_remainder_x
      - .offset:         68
        .size:           2
        .value_kind:     hidden_remainder_y
      - .offset:         70
        .size:           2
        .value_kind:     hidden_remainder_z
      - .offset:         88
        .size:           8
        .value_kind:     hidden_global_offset_x
      - .offset:         96
        .size:           8
        .value_kind:     hidden_global_offset_y
      - .offset:         104
        .size:           8
        .value_kind:     hidden_global_offset_z
      - .offset:         112
        .size:           2
        .value_kind:     hidden_grid_dims
    .group_segment_fixed_size: 12304
    .kernarg_segment_align: 8
    .kernarg_segment_size: 304
    .language:       OpenCL C
    .language_version:
      - 2
      - 0
    .max_flat_workgroup_size: 256
    .name:           _ZN9rocsparseL33gtsv_solve_spike_propagate_kernelILj256ELj32E21rocsparse_complex_numIfEEEviiiPT1_PKS3_S6_S6_
    .private_segment_fixed_size: 0
    .sgpr_count:     22
    .sgpr_spill_count: 0
    .symbol:         _ZN9rocsparseL33gtsv_solve_spike_propagate_kernelILj256ELj32E21rocsparse_complex_numIfEEEviiiPT1_PKS3_S6_S6_.kd
    .uniform_work_group_size: 1
    .uses_dynamic_stack: false
    .vgpr_count:     21
    .vgpr_spill_count: 0
    .wavefront_size: 64
  - .args:
      - .offset:         0
        .size:           4
        .value_kind:     by_value
      - .offset:         4
        .size:           4
        .value_kind:     by_value
      - .offset:         8
        .size:           4
        .value_kind:     by_value
      - .address_space:  global
        .offset:         16
        .size:           8
        .value_kind:     global_buffer
      - .actual_access:  read_only
        .address_space:  global
        .offset:         24
        .size:           8
        .value_kind:     global_buffer
      - .actual_access:  read_only
        .address_space:  global
        .offset:         32
        .size:           8
        .value_kind:     global_buffer
    .group_segment_fixed_size: 0
    .kernarg_segment_align: 8
    .kernarg_segment_size: 40
    .language:       OpenCL C
    .language_version:
      - 2
      - 0
    .max_flat_workgroup_size: 256
    .name:           _ZN9rocsparseL39gtsv_spike_backward_substitution_kernelILj256ELj32E21rocsparse_complex_numIfEEEviiiPT1_PKS3_S6_
    .private_segment_fixed_size: 0
    .sgpr_count:     17
    .sgpr_spill_count: 0
    .symbol:         _ZN9rocsparseL39gtsv_spike_backward_substitution_kernelILj256ELj32E21rocsparse_complex_numIfEEEviiiPT1_PKS3_S6_.kd
    .uniform_work_group_size: 1
    .uses_dynamic_stack: false
    .vgpr_count:     21
    .vgpr_spill_count: 0
    .wavefront_size: 64
  - .args:
      - .offset:         0
        .size:           4
        .value_kind:     by_value
      - .offset:         4
        .size:           4
        .value_kind:     by_value
      - .offset:         8
        .size:           4
        .value_kind:     by_value
      - .actual_access:  read_only
        .address_space:  global
        .offset:         16
        .size:           8
        .value_kind:     global_buffer
      - .actual_access:  write_only
        .address_space:  global
        .offset:         24
        .size:           8
        .value_kind:     global_buffer
    .group_segment_fixed_size: 0
    .kernarg_segment_align: 8
    .kernarg_segment_size: 32
    .language:       OpenCL C
    .language_version:
      - 2
      - 0
    .max_flat_workgroup_size: 256
    .name:           _ZN9rocsparseL32gtsv_transpose_back_array_kernelILj256ELj32E21rocsparse_complex_numIfEEEviiiPKT1_PS3_
    .private_segment_fixed_size: 0
    .sgpr_count:     16
    .sgpr_spill_count: 0
    .symbol:         _ZN9rocsparseL32gtsv_transpose_back_array_kernelILj256ELj32E21rocsparse_complex_numIfEEEviiiPKT1_PS3_.kd
    .uniform_work_group_size: 1
    .uses_dynamic_stack: false
    .vgpr_count:     5
    .vgpr_spill_count: 0
    .wavefront_size: 64
  - .args:
      - .offset:         0
        .size:           4
        .value_kind:     by_value
      - .offset:         4
        .size:           4
        .value_kind:     by_value
      - .offset:         8
        .size:           4
        .value_kind:     by_value
      - .actual_access:  read_only
        .address_space:  global
        .offset:         16
        .size:           8
        .value_kind:     global_buffer
      - .actual_access:  write_only
        .address_space:  global
        .offset:         24
        .size:           8
        .value_kind:     global_buffer
      - .offset:         32
        .size:           8
        .value_kind:     by_value
    .group_segment_fixed_size: 2048
    .kernarg_segment_align: 8
    .kernarg_segment_size: 40
    .language:       OpenCL C
    .language_version:
      - 2
      - 0
    .max_flat_workgroup_size: 256
    .name:           _ZN9rocsparseL42gtsv_transpose_and_pad_array_shared_kernelILj256ELj64E21rocsparse_complex_numIfEEEviiiPKT1_PS3_S3_
    .private_segment_fixed_size: 0
    .sgpr_count:     16
    .sgpr_spill_count: 0
    .symbol:         _ZN9rocsparseL42gtsv_transpose_and_pad_array_shared_kernelILj256ELj64E21rocsparse_complex_numIfEEEviiiPKT1_PS3_S3_.kd
    .uniform_work_group_size: 1
    .uses_dynamic_stack: false
    .vgpr_count:     5
    .vgpr_spill_count: 0
    .wavefront_size: 64
  - .args:
      - .offset:         0
        .size:           4
        .value_kind:     by_value
      - .offset:         4
        .size:           4
        .value_kind:     by_value
      - .offset:         8
        .size:           4
        .value_kind:     by_value
      - .actual_access:  read_only
        .address_space:  global
        .offset:         16
        .size:           8
        .value_kind:     global_buffer
      - .actual_access:  read_only
        .address_space:  global
        .offset:         24
        .size:           8
        .value_kind:     global_buffer
      - .actual_access:  read_only
        .address_space:  global
        .offset:         32
        .size:           8
        .value_kind:     global_buffer
      - .address_space:  global
        .offset:         40
        .size:           8
        .value_kind:     global_buffer
      - .address_space:  global
        .offset:         48
        .size:           8
        .value_kind:     global_buffer
      - .address_space:  global
        .offset:         56
        .size:           8
        .value_kind:     global_buffer
      - .address_space:  global
        .offset:         64
        .size:           8
        .value_kind:     global_buffer
    .group_segment_fixed_size: 0
    .kernarg_segment_align: 8
    .kernarg_segment_size: 72
    .language:       OpenCL C
    .language_version:
      - 2
      - 0
    .max_flat_workgroup_size: 256
    .name:           _ZN9rocsparseL18gtsv_LBM_wv_kernelILj256ELj64E21rocsparse_complex_numIfEEEviiiPKT1_S5_S5_PS3_S6_S6_Pi
    .private_segment_fixed_size: 0
    .sgpr_count:     39
    .sgpr_spill_count: 0
    .symbol:         _ZN9rocsparseL18gtsv_LBM_wv_kernelILj256ELj64E21rocsparse_complex_numIfEEEviiiPKT1_S5_S5_PS3_S6_S6_Pi.kd
    .uniform_work_group_size: 1
    .uses_dynamic_stack: false
    .vgpr_count:     47
    .vgpr_spill_count: 0
    .wavefront_size: 64
  - .args:
      - .offset:         0
        .size:           4
        .value_kind:     by_value
      - .offset:         4
        .size:           4
        .value_kind:     by_value
      - .offset:         8
        .size:           4
        .value_kind:     by_value
      - .actual_access:  read_only
        .address_space:  global
        .offset:         16
        .size:           8
        .value_kind:     global_buffer
      - .actual_access:  read_only
        .address_space:  global
        .offset:         24
        .size:           8
        .value_kind:     global_buffer
      - .actual_access:  read_only
        .address_space:  global
        .offset:         32
        .size:           8
        .value_kind:     global_buffer
      - .address_space:  global
        .offset:         40
        .size:           8
        .value_kind:     global_buffer
      - .actual_access:  read_only
        .address_space:  global
        .offset:         48
        .size:           8
        .value_kind:     global_buffer
      - .actual_access:  read_only
        .address_space:  global
        .offset:         56
        .size:           8
        .value_kind:     global_buffer
    .group_segment_fixed_size: 0
    .kernarg_segment_align: 8
    .kernarg_segment_size: 64
    .language:       OpenCL C
    .language_version:
      - 2
      - 0
    .max_flat_workgroup_size: 256
    .name:           _ZN9rocsparseL19gtsv_LBM_rhs_kernelILj256ELj64ELj8E21rocsparse_complex_numIfEEEviiiPKT2_S5_S5_PS3_S5_PKi
    .private_segment_fixed_size: 0
    .sgpr_count:     41
    .sgpr_spill_count: 0
    .symbol:         _ZN9rocsparseL19gtsv_LBM_rhs_kernelILj256ELj64ELj8E21rocsparse_complex_numIfEEEviiiPKT2_S5_S5_PS3_S5_PKi.kd
    .uniform_work_group_size: 1
    .uses_dynamic_stack: false
    .vgpr_count:     95
    .vgpr_spill_count: 0
    .wavefront_size: 64
  - .args:
      - .offset:         0
        .size:           4
        .value_kind:     by_value
      - .offset:         4
        .size:           4
        .value_kind:     by_value
      - .offset:         8
        .size:           4
        .value_kind:     by_value
      - .actual_access:  read_only
        .address_space:  global
        .offset:         16
        .size:           8
        .value_kind:     global_buffer
      - .actual_access:  read_only
        .address_space:  global
        .offset:         24
        .size:           8
        .value_kind:     global_buffer
      - .actual_access:  read_only
        .address_space:  global
        .offset:         32
        .size:           8
        .value_kind:     global_buffer
      - .address_space:  global
        .offset:         40
        .size:           8
        .value_kind:     global_buffer
      - .actual_access:  read_only
        .address_space:  global
        .offset:         48
        .size:           8
        .value_kind:     global_buffer
      - .actual_access:  read_only
        .address_space:  global
        .offset:         56
        .size:           8
        .value_kind:     global_buffer
    .group_segment_fixed_size: 0
    .kernarg_segment_align: 8
    .kernarg_segment_size: 64
    .language:       OpenCL C
    .language_version:
      - 2
      - 0
    .max_flat_workgroup_size: 256
    .name:           _ZN9rocsparseL19gtsv_LBM_rhs_kernelILj256ELj64ELj4E21rocsparse_complex_numIfEEEviiiPKT2_S5_S5_PS3_S5_PKi
    .private_segment_fixed_size: 0
    .sgpr_count:     36
    .sgpr_spill_count: 0
    .symbol:         _ZN9rocsparseL19gtsv_LBM_rhs_kernelILj256ELj64ELj4E21rocsparse_complex_numIfEEEviiiPKT2_S5_S5_PS3_S5_PKi.kd
    .uniform_work_group_size: 1
    .uses_dynamic_stack: false
    .vgpr_count:     61
    .vgpr_spill_count: 0
    .wavefront_size: 64
  - .args:
      - .offset:         0
        .size:           4
        .value_kind:     by_value
      - .offset:         4
        .size:           4
        .value_kind:     by_value
      - .offset:         8
        .size:           4
        .value_kind:     by_value
      - .actual_access:  read_only
        .address_space:  global
        .offset:         16
        .size:           8
        .value_kind:     global_buffer
      - .actual_access:  read_only
        .address_space:  global
        .offset:         24
        .size:           8
        .value_kind:     global_buffer
      - .actual_access:  read_only
        .address_space:  global
        .offset:         32
        .size:           8
        .value_kind:     global_buffer
      - .address_space:  global
        .offset:         40
        .size:           8
        .value_kind:     global_buffer
      - .actual_access:  read_only
        .address_space:  global
        .offset:         48
        .size:           8
        .value_kind:     global_buffer
      - .actual_access:  read_only
        .address_space:  global
        .offset:         56
        .size:           8
        .value_kind:     global_buffer
    .group_segment_fixed_size: 0
    .kernarg_segment_align: 8
    .kernarg_segment_size: 64
    .language:       OpenCL C
    .language_version:
      - 2
      - 0
    .max_flat_workgroup_size: 256
    .name:           _ZN9rocsparseL19gtsv_LBM_rhs_kernelILj256ELj64ELj2E21rocsparse_complex_numIfEEEviiiPKT2_S5_S5_PS3_S5_PKi
    .private_segment_fixed_size: 0
    .sgpr_count:     34
    .sgpr_spill_count: 0
    .symbol:         _ZN9rocsparseL19gtsv_LBM_rhs_kernelILj256ELj64ELj2E21rocsparse_complex_numIfEEEviiiPKT2_S5_S5_PS3_S5_PKi.kd
    .uniform_work_group_size: 1
    .uses_dynamic_stack: false
    .vgpr_count:     39
    .vgpr_spill_count: 0
    .wavefront_size: 64
  - .args:
      - .offset:         0
        .size:           4
        .value_kind:     by_value
      - .offset:         4
        .size:           4
        .value_kind:     by_value
      - .offset:         8
        .size:           4
        .value_kind:     by_value
      - .actual_access:  read_only
        .address_space:  global
        .offset:         16
        .size:           8
        .value_kind:     global_buffer
      - .actual_access:  read_only
        .address_space:  global
        .offset:         24
        .size:           8
        .value_kind:     global_buffer
      - .actual_access:  read_only
        .address_space:  global
        .offset:         32
        .size:           8
        .value_kind:     global_buffer
      - .address_space:  global
        .offset:         40
        .size:           8
        .value_kind:     global_buffer
      - .actual_access:  read_only
        .address_space:  global
        .offset:         48
        .size:           8
        .value_kind:     global_buffer
      - .actual_access:  read_only
        .address_space:  global
        .offset:         56
        .size:           8
        .value_kind:     global_buffer
    .group_segment_fixed_size: 0
    .kernarg_segment_align: 8
    .kernarg_segment_size: 64
    .language:       OpenCL C
    .language_version:
      - 2
      - 0
    .max_flat_workgroup_size: 256
    .name:           _ZN9rocsparseL19gtsv_LBM_rhs_kernelILj256ELj64ELj1E21rocsparse_complex_numIfEEEviiiPKT2_S5_S5_PS3_S5_PKi
    .private_segment_fixed_size: 0
    .sgpr_count:     32
    .sgpr_spill_count: 0
    .symbol:         _ZN9rocsparseL19gtsv_LBM_rhs_kernelILj256ELj64ELj1E21rocsparse_complex_numIfEEEviiiPKT2_S5_S5_PS3_S5_PKi.kd
    .uniform_work_group_size: 1
    .uses_dynamic_stack: false
    .vgpr_count:     32
    .vgpr_spill_count: 0
    .wavefront_size: 64
  - .args:
      - .offset:         0
        .size:           4
        .value_kind:     by_value
      - .offset:         4
        .size:           4
        .value_kind:     by_value
      - .offset:         8
        .size:           4
        .value_kind:     by_value
      - .address_space:  global
        .offset:         16
        .size:           8
        .value_kind:     global_buffer
      - .actual_access:  read_only
        .address_space:  global
        .offset:         24
        .size:           8
        .value_kind:     global_buffer
      - .actual_access:  read_only
        .address_space:  global
        .offset:         32
        .size:           8
        .value_kind:     global_buffer
      - .actual_access:  write_only
        .address_space:  global
        .offset:         40
        .size:           8
        .value_kind:     global_buffer
      - .actual_access:  write_only
        .address_space:  global
        .offset:         48
        .size:           8
        .value_kind:     global_buffer
      - .actual_access:  write_only
        .address_space:  global
        .offset:         56
        .size:           8
        .value_kind:     global_buffer
      - .actual_access:  write_only
        .address_space:  global
        .offset:         64
        .size:           8
        .value_kind:     global_buffer
      - .actual_access:  write_only
        .address_space:  global
        .offset:         72
        .size:           8
        .value_kind:     global_buffer
      - .offset:         80
        .size:           4
        .value_kind:     hidden_block_count_x
      - .offset:         84
        .size:           4
        .value_kind:     hidden_block_count_y
      - .offset:         88
        .size:           4
        .value_kind:     hidden_block_count_z
      - .offset:         92
        .size:           2
        .value_kind:     hidden_group_size_x
      - .offset:         94
        .size:           2
        .value_kind:     hidden_group_size_y
      - .offset:         96
        .size:           2
        .value_kind:     hidden_group_size_z
      - .offset:         98
        .size:           2
        .value_kind:     hidden_remainder_x
      - .offset:         100
        .size:           2
        .value_kind:     hidden_remainder_y
      - .offset:         102
        .size:           2
        .value_kind:     hidden_remainder_z
      - .offset:         120
        .size:           8
        .value_kind:     hidden_global_offset_x
      - .offset:         128
        .size:           8
        .value_kind:     hidden_global_offset_y
      - .offset:         136
        .size:           8
        .value_kind:     hidden_global_offset_z
      - .offset:         144
        .size:           2
        .value_kind:     hidden_grid_dims
    .group_segment_fixed_size: 12288
    .kernarg_segment_align: 8
    .kernarg_segment_size: 336
    .language:       OpenCL C
    .language_version:
      - 2
      - 0
    .max_flat_workgroup_size: 256
    .name:           _ZN9rocsparseL29gtsv_spike_block_level_kernelILj256ELj64E21rocsparse_complex_numIfEEEviiiPT1_PKS3_S6_S4_S4_S4_S4_S4_
    .private_segment_fixed_size: 0
    .sgpr_count:     30
    .sgpr_spill_count: 0
    .symbol:         _ZN9rocsparseL29gtsv_spike_block_level_kernelILj256ELj64E21rocsparse_complex_numIfEEEviiiPT1_PKS3_S6_S4_S4_S4_S4_S4_.kd
    .uniform_work_group_size: 1
    .uses_dynamic_stack: false
    .vgpr_count:     33
    .vgpr_spill_count: 0
    .wavefront_size: 64
  - .args:
      - .offset:         0
        .size:           4
        .value_kind:     by_value
      - .offset:         4
        .size:           4
        .value_kind:     by_value
      - .offset:         8
        .size:           4
        .value_kind:     by_value
      - .address_space:  global
        .offset:         16
        .size:           8
        .value_kind:     global_buffer
      - .actual_access:  read_only
        .address_space:  global
        .offset:         24
        .size:           8
        .value_kind:     global_buffer
      - .actual_access:  read_only
        .address_space:  global
        .offset:         32
        .size:           8
        .value_kind:     global_buffer
      - .actual_access:  read_only
        .address_space:  global
        .offset:         40
        .size:           8
        .value_kind:     global_buffer
      - .offset:         48
        .size:           4
        .value_kind:     hidden_block_count_x
      - .offset:         52
        .size:           4
        .value_kind:     hidden_block_count_y
      - .offset:         56
        .size:           4
        .value_kind:     hidden_block_count_z
      - .offset:         60
        .size:           2
        .value_kind:     hidden_group_size_x
      - .offset:         62
        .size:           2
        .value_kind:     hidden_group_size_y
      - .offset:         64
        .size:           2
        .value_kind:     hidden_group_size_z
      - .offset:         66
        .size:           2
        .value_kind:     hidden_remainder_x
      - .offset:         68
        .size:           2
        .value_kind:     hidden_remainder_y
      - .offset:         70
        .size:           2
        .value_kind:     hidden_remainder_z
      - .offset:         88
        .size:           8
        .value_kind:     hidden_global_offset_x
      - .offset:         96
        .size:           8
        .value_kind:     hidden_global_offset_y
      - .offset:         104
        .size:           8
        .value_kind:     hidden_global_offset_z
      - .offset:         112
        .size:           2
        .value_kind:     hidden_grid_dims
    .group_segment_fixed_size: 12304
    .kernarg_segment_align: 8
    .kernarg_segment_size: 304
    .language:       OpenCL C
    .language_version:
      - 2
      - 0
    .max_flat_workgroup_size: 256
    .name:           _ZN9rocsparseL33gtsv_solve_spike_propagate_kernelILj256ELj64E21rocsparse_complex_numIfEEEviiiPT1_PKS3_S6_S6_
    .private_segment_fixed_size: 0
    .sgpr_count:     22
    .sgpr_spill_count: 0
    .symbol:         _ZN9rocsparseL33gtsv_solve_spike_propagate_kernelILj256ELj64E21rocsparse_complex_numIfEEEviiiPT1_PKS3_S6_S6_.kd
    .uniform_work_group_size: 1
    .uses_dynamic_stack: false
    .vgpr_count:     21
    .vgpr_spill_count: 0
    .wavefront_size: 64
  - .args:
      - .offset:         0
        .size:           4
        .value_kind:     by_value
      - .offset:         4
        .size:           4
        .value_kind:     by_value
      - .offset:         8
        .size:           4
        .value_kind:     by_value
      - .address_space:  global
        .offset:         16
        .size:           8
        .value_kind:     global_buffer
      - .actual_access:  read_only
        .address_space:  global
        .offset:         24
        .size:           8
        .value_kind:     global_buffer
      - .actual_access:  read_only
        .address_space:  global
        .offset:         32
        .size:           8
        .value_kind:     global_buffer
    .group_segment_fixed_size: 0
    .kernarg_segment_align: 8
    .kernarg_segment_size: 40
    .language:       OpenCL C
    .language_version:
      - 2
      - 0
    .max_flat_workgroup_size: 256
    .name:           _ZN9rocsparseL39gtsv_spike_backward_substitution_kernelILj256ELj64E21rocsparse_complex_numIfEEEviiiPT1_PKS3_S6_
    .private_segment_fixed_size: 0
    .sgpr_count:     17
    .sgpr_spill_count: 0
    .symbol:         _ZN9rocsparseL39gtsv_spike_backward_substitution_kernelILj256ELj64E21rocsparse_complex_numIfEEEviiiPT1_PKS3_S6_.kd
    .uniform_work_group_size: 1
    .uses_dynamic_stack: false
    .vgpr_count:     22
    .vgpr_spill_count: 0
    .wavefront_size: 64
  - .args:
      - .offset:         0
        .size:           4
        .value_kind:     by_value
      - .offset:         4
        .size:           4
        .value_kind:     by_value
      - .offset:         8
        .size:           4
        .value_kind:     by_value
      - .actual_access:  read_only
        .address_space:  global
        .offset:         16
        .size:           8
        .value_kind:     global_buffer
      - .actual_access:  write_only
        .address_space:  global
        .offset:         24
        .size:           8
        .value_kind:     global_buffer
    .group_segment_fixed_size: 0
    .kernarg_segment_align: 8
    .kernarg_segment_size: 32
    .language:       OpenCL C
    .language_version:
      - 2
      - 0
    .max_flat_workgroup_size: 256
    .name:           _ZN9rocsparseL32gtsv_transpose_back_array_kernelILj256ELj64E21rocsparse_complex_numIfEEEviiiPKT1_PS3_
    .private_segment_fixed_size: 0
    .sgpr_count:     16
    .sgpr_spill_count: 0
    .symbol:         _ZN9rocsparseL32gtsv_transpose_back_array_kernelILj256ELj64E21rocsparse_complex_numIfEEEviiiPKT1_PS3_.kd
    .uniform_work_group_size: 1
    .uses_dynamic_stack: false
    .vgpr_count:     5
    .vgpr_spill_count: 0
    .wavefront_size: 64
  - .args:
      - .offset:         0
        .size:           4
        .value_kind:     by_value
      - .offset:         4
        .size:           4
        .value_kind:     by_value
      - .offset:         8
        .size:           4
        .value_kind:     by_value
      - .actual_access:  read_only
        .address_space:  global
        .offset:         16
        .size:           8
        .value_kind:     global_buffer
      - .actual_access:  write_only
        .address_space:  global
        .offset:         24
        .size:           8
        .value_kind:     global_buffer
      - .offset:         32
        .size:           8
        .value_kind:     by_value
    .group_segment_fixed_size: 2048
    .kernarg_segment_align: 8
    .kernarg_segment_size: 40
    .language:       OpenCL C
    .language_version:
      - 2
      - 0
    .max_flat_workgroup_size: 256
    .name:           _ZN9rocsparseL42gtsv_transpose_and_pad_array_shared_kernelILj256ELj128E21rocsparse_complex_numIfEEEviiiPKT1_PS3_S3_
    .private_segment_fixed_size: 0
    .sgpr_count:     16
    .sgpr_spill_count: 0
    .symbol:         _ZN9rocsparseL42gtsv_transpose_and_pad_array_shared_kernelILj256ELj128E21rocsparse_complex_numIfEEEviiiPKT1_PS3_S3_.kd
    .uniform_work_group_size: 1
    .uses_dynamic_stack: false
    .vgpr_count:     5
    .vgpr_spill_count: 0
    .wavefront_size: 64
  - .args:
      - .offset:         0
        .size:           4
        .value_kind:     by_value
      - .offset:         4
        .size:           4
        .value_kind:     by_value
      - .offset:         8
        .size:           4
        .value_kind:     by_value
      - .actual_access:  read_only
        .address_space:  global
        .offset:         16
        .size:           8
        .value_kind:     global_buffer
      - .actual_access:  read_only
        .address_space:  global
        .offset:         24
        .size:           8
        .value_kind:     global_buffer
      - .actual_access:  read_only
        .address_space:  global
        .offset:         32
        .size:           8
        .value_kind:     global_buffer
      - .address_space:  global
        .offset:         40
        .size:           8
        .value_kind:     global_buffer
      - .address_space:  global
        .offset:         48
        .size:           8
        .value_kind:     global_buffer
      - .address_space:  global
        .offset:         56
        .size:           8
        .value_kind:     global_buffer
      - .address_space:  global
        .offset:         64
        .size:           8
        .value_kind:     global_buffer
    .group_segment_fixed_size: 0
    .kernarg_segment_align: 8
    .kernarg_segment_size: 72
    .language:       OpenCL C
    .language_version:
      - 2
      - 0
    .max_flat_workgroup_size: 256
    .name:           _ZN9rocsparseL18gtsv_LBM_wv_kernelILj256ELj128E21rocsparse_complex_numIfEEEviiiPKT1_S5_S5_PS3_S6_S6_Pi
    .private_segment_fixed_size: 0
    .sgpr_count:     39
    .sgpr_spill_count: 0
    .symbol:         _ZN9rocsparseL18gtsv_LBM_wv_kernelILj256ELj128E21rocsparse_complex_numIfEEEviiiPKT1_S5_S5_PS3_S6_S6_Pi.kd
    .uniform_work_group_size: 1
    .uses_dynamic_stack: false
    .vgpr_count:     47
    .vgpr_spill_count: 0
    .wavefront_size: 64
  - .args:
      - .offset:         0
        .size:           4
        .value_kind:     by_value
      - .offset:         4
        .size:           4
        .value_kind:     by_value
      - .offset:         8
        .size:           4
        .value_kind:     by_value
      - .actual_access:  read_only
        .address_space:  global
        .offset:         16
        .size:           8
        .value_kind:     global_buffer
      - .actual_access:  read_only
        .address_space:  global
        .offset:         24
        .size:           8
        .value_kind:     global_buffer
      - .actual_access:  read_only
        .address_space:  global
        .offset:         32
        .size:           8
        .value_kind:     global_buffer
      - .address_space:  global
        .offset:         40
        .size:           8
        .value_kind:     global_buffer
      - .actual_access:  read_only
        .address_space:  global
        .offset:         48
        .size:           8
        .value_kind:     global_buffer
      - .actual_access:  read_only
        .address_space:  global
        .offset:         56
        .size:           8
        .value_kind:     global_buffer
    .group_segment_fixed_size: 0
    .kernarg_segment_align: 8
    .kernarg_segment_size: 64
    .language:       OpenCL C
    .language_version:
      - 2
      - 0
    .max_flat_workgroup_size: 256
    .name:           _ZN9rocsparseL19gtsv_LBM_rhs_kernelILj256ELj128ELj8E21rocsparse_complex_numIfEEEviiiPKT2_S5_S5_PS3_S5_PKi
    .private_segment_fixed_size: 0
    .sgpr_count:     41
    .sgpr_spill_count: 0
    .symbol:         _ZN9rocsparseL19gtsv_LBM_rhs_kernelILj256ELj128ELj8E21rocsparse_complex_numIfEEEviiiPKT2_S5_S5_PS3_S5_PKi.kd
    .uniform_work_group_size: 1
    .uses_dynamic_stack: false
    .vgpr_count:     95
    .vgpr_spill_count: 0
    .wavefront_size: 64
  - .args:
      - .offset:         0
        .size:           4
        .value_kind:     by_value
      - .offset:         4
        .size:           4
        .value_kind:     by_value
      - .offset:         8
        .size:           4
        .value_kind:     by_value
      - .actual_access:  read_only
        .address_space:  global
        .offset:         16
        .size:           8
        .value_kind:     global_buffer
      - .actual_access:  read_only
        .address_space:  global
        .offset:         24
        .size:           8
        .value_kind:     global_buffer
      - .actual_access:  read_only
        .address_space:  global
        .offset:         32
        .size:           8
        .value_kind:     global_buffer
      - .address_space:  global
        .offset:         40
        .size:           8
        .value_kind:     global_buffer
      - .actual_access:  read_only
        .address_space:  global
        .offset:         48
        .size:           8
        .value_kind:     global_buffer
      - .actual_access:  read_only
        .address_space:  global
        .offset:         56
        .size:           8
        .value_kind:     global_buffer
    .group_segment_fixed_size: 0
    .kernarg_segment_align: 8
    .kernarg_segment_size: 64
    .language:       OpenCL C
    .language_version:
      - 2
      - 0
    .max_flat_workgroup_size: 256
    .name:           _ZN9rocsparseL19gtsv_LBM_rhs_kernelILj256ELj128ELj4E21rocsparse_complex_numIfEEEviiiPKT2_S5_S5_PS3_S5_PKi
    .private_segment_fixed_size: 0
    .sgpr_count:     36
    .sgpr_spill_count: 0
    .symbol:         _ZN9rocsparseL19gtsv_LBM_rhs_kernelILj256ELj128ELj4E21rocsparse_complex_numIfEEEviiiPKT2_S5_S5_PS3_S5_PKi.kd
    .uniform_work_group_size: 1
    .uses_dynamic_stack: false
    .vgpr_count:     61
    .vgpr_spill_count: 0
    .wavefront_size: 64
  - .args:
      - .offset:         0
        .size:           4
        .value_kind:     by_value
      - .offset:         4
        .size:           4
        .value_kind:     by_value
      - .offset:         8
        .size:           4
        .value_kind:     by_value
      - .actual_access:  read_only
        .address_space:  global
        .offset:         16
        .size:           8
        .value_kind:     global_buffer
      - .actual_access:  read_only
        .address_space:  global
        .offset:         24
        .size:           8
        .value_kind:     global_buffer
      - .actual_access:  read_only
        .address_space:  global
        .offset:         32
        .size:           8
        .value_kind:     global_buffer
      - .address_space:  global
        .offset:         40
        .size:           8
        .value_kind:     global_buffer
      - .actual_access:  read_only
        .address_space:  global
        .offset:         48
        .size:           8
        .value_kind:     global_buffer
      - .actual_access:  read_only
        .address_space:  global
        .offset:         56
        .size:           8
        .value_kind:     global_buffer
    .group_segment_fixed_size: 0
    .kernarg_segment_align: 8
    .kernarg_segment_size: 64
    .language:       OpenCL C
    .language_version:
      - 2
      - 0
    .max_flat_workgroup_size: 256
    .name:           _ZN9rocsparseL19gtsv_LBM_rhs_kernelILj256ELj128ELj2E21rocsparse_complex_numIfEEEviiiPKT2_S5_S5_PS3_S5_PKi
    .private_segment_fixed_size: 0
    .sgpr_count:     34
    .sgpr_spill_count: 0
    .symbol:         _ZN9rocsparseL19gtsv_LBM_rhs_kernelILj256ELj128ELj2E21rocsparse_complex_numIfEEEviiiPKT2_S5_S5_PS3_S5_PKi.kd
    .uniform_work_group_size: 1
    .uses_dynamic_stack: false
    .vgpr_count:     39
    .vgpr_spill_count: 0
    .wavefront_size: 64
  - .args:
      - .offset:         0
        .size:           4
        .value_kind:     by_value
      - .offset:         4
        .size:           4
        .value_kind:     by_value
      - .offset:         8
        .size:           4
        .value_kind:     by_value
      - .actual_access:  read_only
        .address_space:  global
        .offset:         16
        .size:           8
        .value_kind:     global_buffer
      - .actual_access:  read_only
        .address_space:  global
        .offset:         24
        .size:           8
        .value_kind:     global_buffer
      - .actual_access:  read_only
        .address_space:  global
        .offset:         32
        .size:           8
        .value_kind:     global_buffer
      - .address_space:  global
        .offset:         40
        .size:           8
        .value_kind:     global_buffer
      - .actual_access:  read_only
        .address_space:  global
        .offset:         48
        .size:           8
        .value_kind:     global_buffer
      - .actual_access:  read_only
        .address_space:  global
        .offset:         56
        .size:           8
        .value_kind:     global_buffer
    .group_segment_fixed_size: 0
    .kernarg_segment_align: 8
    .kernarg_segment_size: 64
    .language:       OpenCL C
    .language_version:
      - 2
      - 0
    .max_flat_workgroup_size: 256
    .name:           _ZN9rocsparseL19gtsv_LBM_rhs_kernelILj256ELj128ELj1E21rocsparse_complex_numIfEEEviiiPKT2_S5_S5_PS3_S5_PKi
    .private_segment_fixed_size: 0
    .sgpr_count:     32
    .sgpr_spill_count: 0
    .symbol:         _ZN9rocsparseL19gtsv_LBM_rhs_kernelILj256ELj128ELj1E21rocsparse_complex_numIfEEEviiiPKT2_S5_S5_PS3_S5_PKi.kd
    .uniform_work_group_size: 1
    .uses_dynamic_stack: false
    .vgpr_count:     32
    .vgpr_spill_count: 0
    .wavefront_size: 64
  - .args:
      - .offset:         0
        .size:           4
        .value_kind:     by_value
      - .offset:         4
        .size:           4
        .value_kind:     by_value
      - .offset:         8
        .size:           4
        .value_kind:     by_value
      - .address_space:  global
        .offset:         16
        .size:           8
        .value_kind:     global_buffer
      - .actual_access:  read_only
        .address_space:  global
        .offset:         24
        .size:           8
        .value_kind:     global_buffer
      - .actual_access:  read_only
        .address_space:  global
        .offset:         32
        .size:           8
        .value_kind:     global_buffer
      - .actual_access:  write_only
        .address_space:  global
        .offset:         40
        .size:           8
        .value_kind:     global_buffer
      - .actual_access:  write_only
        .address_space:  global
        .offset:         48
        .size:           8
        .value_kind:     global_buffer
      - .actual_access:  write_only
        .address_space:  global
        .offset:         56
        .size:           8
        .value_kind:     global_buffer
      - .actual_access:  write_only
        .address_space:  global
        .offset:         64
        .size:           8
        .value_kind:     global_buffer
      - .actual_access:  write_only
        .address_space:  global
        .offset:         72
        .size:           8
        .value_kind:     global_buffer
      - .offset:         80
        .size:           4
        .value_kind:     hidden_block_count_x
      - .offset:         84
        .size:           4
        .value_kind:     hidden_block_count_y
      - .offset:         88
        .size:           4
        .value_kind:     hidden_block_count_z
      - .offset:         92
        .size:           2
        .value_kind:     hidden_group_size_x
      - .offset:         94
        .size:           2
        .value_kind:     hidden_group_size_y
      - .offset:         96
        .size:           2
        .value_kind:     hidden_group_size_z
      - .offset:         98
        .size:           2
        .value_kind:     hidden_remainder_x
      - .offset:         100
        .size:           2
        .value_kind:     hidden_remainder_y
      - .offset:         102
        .size:           2
        .value_kind:     hidden_remainder_z
      - .offset:         120
        .size:           8
        .value_kind:     hidden_global_offset_x
      - .offset:         128
        .size:           8
        .value_kind:     hidden_global_offset_y
      - .offset:         136
        .size:           8
        .value_kind:     hidden_global_offset_z
      - .offset:         144
        .size:           2
        .value_kind:     hidden_grid_dims
    .group_segment_fixed_size: 12288
    .kernarg_segment_align: 8
    .kernarg_segment_size: 336
    .language:       OpenCL C
    .language_version:
      - 2
      - 0
    .max_flat_workgroup_size: 256
    .name:           _ZN9rocsparseL29gtsv_spike_block_level_kernelILj256ELj128E21rocsparse_complex_numIfEEEviiiPT1_PKS3_S6_S4_S4_S4_S4_S4_
    .private_segment_fixed_size: 0
    .sgpr_count:     30
    .sgpr_spill_count: 0
    .symbol:         _ZN9rocsparseL29gtsv_spike_block_level_kernelILj256ELj128E21rocsparse_complex_numIfEEEviiiPT1_PKS3_S6_S4_S4_S4_S4_S4_.kd
    .uniform_work_group_size: 1
    .uses_dynamic_stack: false
    .vgpr_count:     33
    .vgpr_spill_count: 0
    .wavefront_size: 64
  - .args:
      - .offset:         0
        .size:           4
        .value_kind:     by_value
      - .offset:         4
        .size:           4
        .value_kind:     by_value
      - .offset:         8
        .size:           4
        .value_kind:     by_value
      - .address_space:  global
        .offset:         16
        .size:           8
        .value_kind:     global_buffer
      - .actual_access:  read_only
        .address_space:  global
        .offset:         24
        .size:           8
        .value_kind:     global_buffer
      - .actual_access:  read_only
        .address_space:  global
        .offset:         32
        .size:           8
        .value_kind:     global_buffer
      - .actual_access:  read_only
        .address_space:  global
        .offset:         40
        .size:           8
        .value_kind:     global_buffer
      - .offset:         48
        .size:           4
        .value_kind:     hidden_block_count_x
      - .offset:         52
        .size:           4
        .value_kind:     hidden_block_count_y
      - .offset:         56
        .size:           4
        .value_kind:     hidden_block_count_z
      - .offset:         60
        .size:           2
        .value_kind:     hidden_group_size_x
      - .offset:         62
        .size:           2
        .value_kind:     hidden_group_size_y
      - .offset:         64
        .size:           2
        .value_kind:     hidden_group_size_z
      - .offset:         66
        .size:           2
        .value_kind:     hidden_remainder_x
      - .offset:         68
        .size:           2
        .value_kind:     hidden_remainder_y
      - .offset:         70
        .size:           2
        .value_kind:     hidden_remainder_z
      - .offset:         88
        .size:           8
        .value_kind:     hidden_global_offset_x
      - .offset:         96
        .size:           8
        .value_kind:     hidden_global_offset_y
      - .offset:         104
        .size:           8
        .value_kind:     hidden_global_offset_z
      - .offset:         112
        .size:           2
        .value_kind:     hidden_grid_dims
    .group_segment_fixed_size: 12304
    .kernarg_segment_align: 8
    .kernarg_segment_size: 304
    .language:       OpenCL C
    .language_version:
      - 2
      - 0
    .max_flat_workgroup_size: 256
    .name:           _ZN9rocsparseL33gtsv_solve_spike_propagate_kernelILj256ELj128E21rocsparse_complex_numIfEEEviiiPT1_PKS3_S6_S6_
    .private_segment_fixed_size: 0
    .sgpr_count:     22
    .sgpr_spill_count: 0
    .symbol:         _ZN9rocsparseL33gtsv_solve_spike_propagate_kernelILj256ELj128E21rocsparse_complex_numIfEEEviiiPT1_PKS3_S6_S6_.kd
    .uniform_work_group_size: 1
    .uses_dynamic_stack: false
    .vgpr_count:     21
    .vgpr_spill_count: 0
    .wavefront_size: 64
  - .args:
      - .offset:         0
        .size:           4
        .value_kind:     by_value
      - .offset:         4
        .size:           4
        .value_kind:     by_value
      - .offset:         8
        .size:           4
        .value_kind:     by_value
      - .address_space:  global
        .offset:         16
        .size:           8
        .value_kind:     global_buffer
      - .actual_access:  read_only
        .address_space:  global
        .offset:         24
        .size:           8
        .value_kind:     global_buffer
      - .actual_access:  read_only
        .address_space:  global
        .offset:         32
        .size:           8
        .value_kind:     global_buffer
    .group_segment_fixed_size: 0
    .kernarg_segment_align: 8
    .kernarg_segment_size: 40
    .language:       OpenCL C
    .language_version:
      - 2
      - 0
    .max_flat_workgroup_size: 256
    .name:           _ZN9rocsparseL39gtsv_spike_backward_substitution_kernelILj256ELj128E21rocsparse_complex_numIfEEEviiiPT1_PKS3_S6_
    .private_segment_fixed_size: 0
    .sgpr_count:     17
    .sgpr_spill_count: 0
    .symbol:         _ZN9rocsparseL39gtsv_spike_backward_substitution_kernelILj256ELj128E21rocsparse_complex_numIfEEEviiiPT1_PKS3_S6_.kd
    .uniform_work_group_size: 1
    .uses_dynamic_stack: false
    .vgpr_count:     21
    .vgpr_spill_count: 0
    .wavefront_size: 64
  - .args:
      - .offset:         0
        .size:           4
        .value_kind:     by_value
      - .offset:         4
        .size:           4
        .value_kind:     by_value
      - .offset:         8
        .size:           4
        .value_kind:     by_value
      - .actual_access:  read_only
        .address_space:  global
        .offset:         16
        .size:           8
        .value_kind:     global_buffer
      - .actual_access:  write_only
        .address_space:  global
        .offset:         24
        .size:           8
        .value_kind:     global_buffer
    .group_segment_fixed_size: 0
    .kernarg_segment_align: 8
    .kernarg_segment_size: 32
    .language:       OpenCL C
    .language_version:
      - 2
      - 0
    .max_flat_workgroup_size: 256
    .name:           _ZN9rocsparseL32gtsv_transpose_back_array_kernelILj256ELj128E21rocsparse_complex_numIfEEEviiiPKT1_PS3_
    .private_segment_fixed_size: 0
    .sgpr_count:     16
    .sgpr_spill_count: 0
    .symbol:         _ZN9rocsparseL32gtsv_transpose_back_array_kernelILj256ELj128E21rocsparse_complex_numIfEEEviiiPKT1_PS3_.kd
    .uniform_work_group_size: 1
    .uses_dynamic_stack: false
    .vgpr_count:     5
    .vgpr_spill_count: 0
    .wavefront_size: 64
  - .args:
      - .offset:         0
        .size:           4
        .value_kind:     by_value
      - .offset:         4
        .size:           4
        .value_kind:     by_value
      - .offset:         8
        .size:           4
        .value_kind:     by_value
      - .actual_access:  read_only
        .address_space:  global
        .offset:         16
        .size:           8
        .value_kind:     global_buffer
      - .actual_access:  write_only
        .address_space:  global
        .offset:         24
        .size:           8
        .value_kind:     global_buffer
      - .offset:         32
        .size:           8
        .value_kind:     by_value
    .group_segment_fixed_size: 2048
    .kernarg_segment_align: 8
    .kernarg_segment_size: 40
    .language:       OpenCL C
    .language_version:
      - 2
      - 0
    .max_flat_workgroup_size: 256
    .name:           _ZN9rocsparseL42gtsv_transpose_and_pad_array_shared_kernelILj256ELj256E21rocsparse_complex_numIfEEEviiiPKT1_PS3_S3_
    .private_segment_fixed_size: 0
    .sgpr_count:     16
    .sgpr_spill_count: 0
    .symbol:         _ZN9rocsparseL42gtsv_transpose_and_pad_array_shared_kernelILj256ELj256E21rocsparse_complex_numIfEEEviiiPKT1_PS3_S3_.kd
    .uniform_work_group_size: 1
    .uses_dynamic_stack: false
    .vgpr_count:     5
    .vgpr_spill_count: 0
    .wavefront_size: 64
  - .args:
      - .offset:         0
        .size:           4
        .value_kind:     by_value
      - .offset:         4
        .size:           4
        .value_kind:     by_value
      - .offset:         8
        .size:           4
        .value_kind:     by_value
      - .actual_access:  read_only
        .address_space:  global
        .offset:         16
        .size:           8
        .value_kind:     global_buffer
      - .actual_access:  read_only
        .address_space:  global
        .offset:         24
        .size:           8
        .value_kind:     global_buffer
      - .actual_access:  read_only
        .address_space:  global
        .offset:         32
        .size:           8
        .value_kind:     global_buffer
      - .address_space:  global
        .offset:         40
        .size:           8
        .value_kind:     global_buffer
      - .address_space:  global
        .offset:         48
        .size:           8
        .value_kind:     global_buffer
      - .address_space:  global
        .offset:         56
        .size:           8
        .value_kind:     global_buffer
      - .address_space:  global
        .offset:         64
        .size:           8
        .value_kind:     global_buffer
    .group_segment_fixed_size: 0
    .kernarg_segment_align: 8
    .kernarg_segment_size: 72
    .language:       OpenCL C
    .language_version:
      - 2
      - 0
    .max_flat_workgroup_size: 256
    .name:           _ZN9rocsparseL18gtsv_LBM_wv_kernelILj256ELj256E21rocsparse_complex_numIfEEEviiiPKT1_S5_S5_PS3_S6_S6_Pi
    .private_segment_fixed_size: 0
    .sgpr_count:     39
    .sgpr_spill_count: 0
    .symbol:         _ZN9rocsparseL18gtsv_LBM_wv_kernelILj256ELj256E21rocsparse_complex_numIfEEEviiiPKT1_S5_S5_PS3_S6_S6_Pi.kd
    .uniform_work_group_size: 1
    .uses_dynamic_stack: false
    .vgpr_count:     47
    .vgpr_spill_count: 0
    .wavefront_size: 64
  - .args:
      - .offset:         0
        .size:           4
        .value_kind:     by_value
      - .offset:         4
        .size:           4
        .value_kind:     by_value
      - .offset:         8
        .size:           4
        .value_kind:     by_value
      - .actual_access:  read_only
        .address_space:  global
        .offset:         16
        .size:           8
        .value_kind:     global_buffer
      - .actual_access:  read_only
        .address_space:  global
        .offset:         24
        .size:           8
        .value_kind:     global_buffer
      - .actual_access:  read_only
        .address_space:  global
        .offset:         32
        .size:           8
        .value_kind:     global_buffer
      - .address_space:  global
        .offset:         40
        .size:           8
        .value_kind:     global_buffer
      - .actual_access:  read_only
        .address_space:  global
        .offset:         48
        .size:           8
        .value_kind:     global_buffer
      - .actual_access:  read_only
        .address_space:  global
        .offset:         56
        .size:           8
        .value_kind:     global_buffer
    .group_segment_fixed_size: 0
    .kernarg_segment_align: 8
    .kernarg_segment_size: 64
    .language:       OpenCL C
    .language_version:
      - 2
      - 0
    .max_flat_workgroup_size: 256
    .name:           _ZN9rocsparseL19gtsv_LBM_rhs_kernelILj256ELj256ELj8E21rocsparse_complex_numIfEEEviiiPKT2_S5_S5_PS3_S5_PKi
    .private_segment_fixed_size: 0
    .sgpr_count:     41
    .sgpr_spill_count: 0
    .symbol:         _ZN9rocsparseL19gtsv_LBM_rhs_kernelILj256ELj256ELj8E21rocsparse_complex_numIfEEEviiiPKT2_S5_S5_PS3_S5_PKi.kd
    .uniform_work_group_size: 1
    .uses_dynamic_stack: false
    .vgpr_count:     95
    .vgpr_spill_count: 0
    .wavefront_size: 64
  - .args:
      - .offset:         0
        .size:           4
        .value_kind:     by_value
      - .offset:         4
        .size:           4
        .value_kind:     by_value
      - .offset:         8
        .size:           4
        .value_kind:     by_value
      - .actual_access:  read_only
        .address_space:  global
        .offset:         16
        .size:           8
        .value_kind:     global_buffer
      - .actual_access:  read_only
        .address_space:  global
        .offset:         24
        .size:           8
        .value_kind:     global_buffer
      - .actual_access:  read_only
        .address_space:  global
        .offset:         32
        .size:           8
        .value_kind:     global_buffer
      - .address_space:  global
        .offset:         40
        .size:           8
        .value_kind:     global_buffer
      - .actual_access:  read_only
        .address_space:  global
        .offset:         48
        .size:           8
        .value_kind:     global_buffer
      - .actual_access:  read_only
        .address_space:  global
        .offset:         56
        .size:           8
        .value_kind:     global_buffer
    .group_segment_fixed_size: 0
    .kernarg_segment_align: 8
    .kernarg_segment_size: 64
    .language:       OpenCL C
    .language_version:
      - 2
      - 0
    .max_flat_workgroup_size: 256
    .name:           _ZN9rocsparseL19gtsv_LBM_rhs_kernelILj256ELj256ELj4E21rocsparse_complex_numIfEEEviiiPKT2_S5_S5_PS3_S5_PKi
    .private_segment_fixed_size: 0
    .sgpr_count:     36
    .sgpr_spill_count: 0
    .symbol:         _ZN9rocsparseL19gtsv_LBM_rhs_kernelILj256ELj256ELj4E21rocsparse_complex_numIfEEEviiiPKT2_S5_S5_PS3_S5_PKi.kd
    .uniform_work_group_size: 1
    .uses_dynamic_stack: false
    .vgpr_count:     61
    .vgpr_spill_count: 0
    .wavefront_size: 64
  - .args:
      - .offset:         0
        .size:           4
        .value_kind:     by_value
      - .offset:         4
        .size:           4
        .value_kind:     by_value
      - .offset:         8
        .size:           4
        .value_kind:     by_value
      - .actual_access:  read_only
        .address_space:  global
        .offset:         16
        .size:           8
        .value_kind:     global_buffer
      - .actual_access:  read_only
        .address_space:  global
        .offset:         24
        .size:           8
        .value_kind:     global_buffer
      - .actual_access:  read_only
        .address_space:  global
        .offset:         32
        .size:           8
        .value_kind:     global_buffer
      - .address_space:  global
        .offset:         40
        .size:           8
        .value_kind:     global_buffer
      - .actual_access:  read_only
        .address_space:  global
        .offset:         48
        .size:           8
        .value_kind:     global_buffer
      - .actual_access:  read_only
        .address_space:  global
        .offset:         56
        .size:           8
        .value_kind:     global_buffer
    .group_segment_fixed_size: 0
    .kernarg_segment_align: 8
    .kernarg_segment_size: 64
    .language:       OpenCL C
    .language_version:
      - 2
      - 0
    .max_flat_workgroup_size: 256
    .name:           _ZN9rocsparseL19gtsv_LBM_rhs_kernelILj256ELj256ELj2E21rocsparse_complex_numIfEEEviiiPKT2_S5_S5_PS3_S5_PKi
    .private_segment_fixed_size: 0
    .sgpr_count:     34
    .sgpr_spill_count: 0
    .symbol:         _ZN9rocsparseL19gtsv_LBM_rhs_kernelILj256ELj256ELj2E21rocsparse_complex_numIfEEEviiiPKT2_S5_S5_PS3_S5_PKi.kd
    .uniform_work_group_size: 1
    .uses_dynamic_stack: false
    .vgpr_count:     39
    .vgpr_spill_count: 0
    .wavefront_size: 64
  - .args:
      - .offset:         0
        .size:           4
        .value_kind:     by_value
      - .offset:         4
        .size:           4
        .value_kind:     by_value
      - .offset:         8
        .size:           4
        .value_kind:     by_value
      - .actual_access:  read_only
        .address_space:  global
        .offset:         16
        .size:           8
        .value_kind:     global_buffer
      - .actual_access:  read_only
        .address_space:  global
        .offset:         24
        .size:           8
        .value_kind:     global_buffer
      - .actual_access:  read_only
        .address_space:  global
        .offset:         32
        .size:           8
        .value_kind:     global_buffer
      - .address_space:  global
        .offset:         40
        .size:           8
        .value_kind:     global_buffer
      - .actual_access:  read_only
        .address_space:  global
        .offset:         48
        .size:           8
        .value_kind:     global_buffer
      - .actual_access:  read_only
        .address_space:  global
        .offset:         56
        .size:           8
        .value_kind:     global_buffer
    .group_segment_fixed_size: 0
    .kernarg_segment_align: 8
    .kernarg_segment_size: 64
    .language:       OpenCL C
    .language_version:
      - 2
      - 0
    .max_flat_workgroup_size: 256
    .name:           _ZN9rocsparseL19gtsv_LBM_rhs_kernelILj256ELj256ELj1E21rocsparse_complex_numIfEEEviiiPKT2_S5_S5_PS3_S5_PKi
    .private_segment_fixed_size: 0
    .sgpr_count:     32
    .sgpr_spill_count: 0
    .symbol:         _ZN9rocsparseL19gtsv_LBM_rhs_kernelILj256ELj256ELj1E21rocsparse_complex_numIfEEEviiiPKT2_S5_S5_PS3_S5_PKi.kd
    .uniform_work_group_size: 1
    .uses_dynamic_stack: false
    .vgpr_count:     32
    .vgpr_spill_count: 0
    .wavefront_size: 64
  - .args:
      - .offset:         0
        .size:           4
        .value_kind:     by_value
      - .offset:         4
        .size:           4
        .value_kind:     by_value
      - .offset:         8
        .size:           4
        .value_kind:     by_value
      - .address_space:  global
        .offset:         16
        .size:           8
        .value_kind:     global_buffer
      - .actual_access:  read_only
        .address_space:  global
        .offset:         24
        .size:           8
        .value_kind:     global_buffer
      - .actual_access:  read_only
        .address_space:  global
        .offset:         32
        .size:           8
        .value_kind:     global_buffer
      - .actual_access:  write_only
        .address_space:  global
        .offset:         40
        .size:           8
        .value_kind:     global_buffer
      - .actual_access:  write_only
        .address_space:  global
        .offset:         48
        .size:           8
        .value_kind:     global_buffer
      - .actual_access:  write_only
        .address_space:  global
        .offset:         56
        .size:           8
        .value_kind:     global_buffer
      - .actual_access:  write_only
        .address_space:  global
        .offset:         64
        .size:           8
        .value_kind:     global_buffer
      - .actual_access:  write_only
        .address_space:  global
        .offset:         72
        .size:           8
        .value_kind:     global_buffer
      - .offset:         80
        .size:           4
        .value_kind:     hidden_block_count_x
      - .offset:         84
        .size:           4
        .value_kind:     hidden_block_count_y
      - .offset:         88
        .size:           4
        .value_kind:     hidden_block_count_z
      - .offset:         92
        .size:           2
        .value_kind:     hidden_group_size_x
      - .offset:         94
        .size:           2
        .value_kind:     hidden_group_size_y
      - .offset:         96
        .size:           2
        .value_kind:     hidden_group_size_z
      - .offset:         98
        .size:           2
        .value_kind:     hidden_remainder_x
      - .offset:         100
        .size:           2
        .value_kind:     hidden_remainder_y
      - .offset:         102
        .size:           2
        .value_kind:     hidden_remainder_z
      - .offset:         120
        .size:           8
        .value_kind:     hidden_global_offset_x
      - .offset:         128
        .size:           8
        .value_kind:     hidden_global_offset_y
      - .offset:         136
        .size:           8
        .value_kind:     hidden_global_offset_z
      - .offset:         144
        .size:           2
        .value_kind:     hidden_grid_dims
    .group_segment_fixed_size: 12288
    .kernarg_segment_align: 8
    .kernarg_segment_size: 336
    .language:       OpenCL C
    .language_version:
      - 2
      - 0
    .max_flat_workgroup_size: 256
    .name:           _ZN9rocsparseL29gtsv_spike_block_level_kernelILj256ELj256E21rocsparse_complex_numIfEEEviiiPT1_PKS3_S6_S4_S4_S4_S4_S4_
    .private_segment_fixed_size: 0
    .sgpr_count:     30
    .sgpr_spill_count: 0
    .symbol:         _ZN9rocsparseL29gtsv_spike_block_level_kernelILj256ELj256E21rocsparse_complex_numIfEEEviiiPT1_PKS3_S6_S4_S4_S4_S4_S4_.kd
    .uniform_work_group_size: 1
    .uses_dynamic_stack: false
    .vgpr_count:     33
    .vgpr_spill_count: 0
    .wavefront_size: 64
  - .args:
      - .offset:         0
        .size:           4
        .value_kind:     by_value
      - .offset:         4
        .size:           4
        .value_kind:     by_value
      - .offset:         8
        .size:           4
        .value_kind:     by_value
      - .address_space:  global
        .offset:         16
        .size:           8
        .value_kind:     global_buffer
      - .actual_access:  read_only
        .address_space:  global
        .offset:         24
        .size:           8
        .value_kind:     global_buffer
      - .actual_access:  read_only
        .address_space:  global
        .offset:         32
        .size:           8
        .value_kind:     global_buffer
      - .actual_access:  read_only
        .address_space:  global
        .offset:         40
        .size:           8
        .value_kind:     global_buffer
      - .offset:         48
        .size:           4
        .value_kind:     hidden_block_count_x
      - .offset:         52
        .size:           4
        .value_kind:     hidden_block_count_y
      - .offset:         56
        .size:           4
        .value_kind:     hidden_block_count_z
      - .offset:         60
        .size:           2
        .value_kind:     hidden_group_size_x
      - .offset:         62
        .size:           2
        .value_kind:     hidden_group_size_y
      - .offset:         64
        .size:           2
        .value_kind:     hidden_group_size_z
      - .offset:         66
        .size:           2
        .value_kind:     hidden_remainder_x
      - .offset:         68
        .size:           2
        .value_kind:     hidden_remainder_y
      - .offset:         70
        .size:           2
        .value_kind:     hidden_remainder_z
      - .offset:         88
        .size:           8
        .value_kind:     hidden_global_offset_x
      - .offset:         96
        .size:           8
        .value_kind:     hidden_global_offset_y
      - .offset:         104
        .size:           8
        .value_kind:     hidden_global_offset_z
      - .offset:         112
        .size:           2
        .value_kind:     hidden_grid_dims
    .group_segment_fixed_size: 12304
    .kernarg_segment_align: 8
    .kernarg_segment_size: 304
    .language:       OpenCL C
    .language_version:
      - 2
      - 0
    .max_flat_workgroup_size: 256
    .name:           _ZN9rocsparseL33gtsv_solve_spike_propagate_kernelILj256ELj256E21rocsparse_complex_numIfEEEviiiPT1_PKS3_S6_S6_
    .private_segment_fixed_size: 0
    .sgpr_count:     22
    .sgpr_spill_count: 0
    .symbol:         _ZN9rocsparseL33gtsv_solve_spike_propagate_kernelILj256ELj256E21rocsparse_complex_numIfEEEviiiPT1_PKS3_S6_S6_.kd
    .uniform_work_group_size: 1
    .uses_dynamic_stack: false
    .vgpr_count:     21
    .vgpr_spill_count: 0
    .wavefront_size: 64
  - .args:
      - .offset:         0
        .size:           4
        .value_kind:     by_value
      - .offset:         4
        .size:           4
        .value_kind:     by_value
      - .offset:         8
        .size:           4
        .value_kind:     by_value
      - .address_space:  global
        .offset:         16
        .size:           8
        .value_kind:     global_buffer
      - .actual_access:  read_only
        .address_space:  global
        .offset:         24
        .size:           8
        .value_kind:     global_buffer
      - .actual_access:  read_only
        .address_space:  global
        .offset:         32
        .size:           8
        .value_kind:     global_buffer
    .group_segment_fixed_size: 0
    .kernarg_segment_align: 8
    .kernarg_segment_size: 40
    .language:       OpenCL C
    .language_version:
      - 2
      - 0
    .max_flat_workgroup_size: 256
    .name:           _ZN9rocsparseL39gtsv_spike_backward_substitution_kernelILj256ELj256E21rocsparse_complex_numIfEEEviiiPT1_PKS3_S6_
    .private_segment_fixed_size: 0
    .sgpr_count:     17
    .sgpr_spill_count: 0
    .symbol:         _ZN9rocsparseL39gtsv_spike_backward_substitution_kernelILj256ELj256E21rocsparse_complex_numIfEEEviiiPT1_PKS3_S6_.kd
    .uniform_work_group_size: 1
    .uses_dynamic_stack: false
    .vgpr_count:     22
    .vgpr_spill_count: 0
    .wavefront_size: 64
  - .args:
      - .offset:         0
        .size:           4
        .value_kind:     by_value
      - .offset:         4
        .size:           4
        .value_kind:     by_value
      - .offset:         8
        .size:           4
        .value_kind:     by_value
      - .actual_access:  read_only
        .address_space:  global
        .offset:         16
        .size:           8
        .value_kind:     global_buffer
      - .actual_access:  write_only
        .address_space:  global
        .offset:         24
        .size:           8
        .value_kind:     global_buffer
    .group_segment_fixed_size: 0
    .kernarg_segment_align: 8
    .kernarg_segment_size: 32
    .language:       OpenCL C
    .language_version:
      - 2
      - 0
    .max_flat_workgroup_size: 256
    .name:           _ZN9rocsparseL32gtsv_transpose_back_array_kernelILj256ELj256E21rocsparse_complex_numIfEEEviiiPKT1_PS3_
    .private_segment_fixed_size: 0
    .sgpr_count:     16
    .sgpr_spill_count: 0
    .symbol:         _ZN9rocsparseL32gtsv_transpose_back_array_kernelILj256ELj256E21rocsparse_complex_numIfEEEviiiPKT1_PS3_.kd
    .uniform_work_group_size: 1
    .uses_dynamic_stack: false
    .vgpr_count:     5
    .vgpr_spill_count: 0
    .wavefront_size: 64
  - .args:
      - .offset:         0
        .size:           4
        .value_kind:     by_value
      - .offset:         4
        .size:           4
        .value_kind:     by_value
      - .offset:         8
        .size:           4
        .value_kind:     by_value
      - .actual_access:  read_only
        .address_space:  global
        .offset:         16
        .size:           8
        .value_kind:     global_buffer
      - .actual_access:  write_only
        .address_space:  global
        .offset:         24
        .size:           8
        .value_kind:     global_buffer
      - .offset:         32
        .size:           16
        .value_kind:     by_value
    .group_segment_fixed_size: 4096
    .kernarg_segment_align: 8
    .kernarg_segment_size: 48
    .language:       OpenCL C
    .language_version:
      - 2
      - 0
    .max_flat_workgroup_size: 256
    .name:           _ZN9rocsparseL42gtsv_transpose_and_pad_array_shared_kernelILj256ELj2E21rocsparse_complex_numIdEEEviiiPKT1_PS3_S3_
    .private_segment_fixed_size: 0
    .sgpr_count:     20
    .sgpr_spill_count: 0
    .symbol:         _ZN9rocsparseL42gtsv_transpose_and_pad_array_shared_kernelILj256ELj2E21rocsparse_complex_numIdEEEviiiPKT1_PS3_S3_.kd
    .uniform_work_group_size: 1
    .uses_dynamic_stack: false
    .vgpr_count:     7
    .vgpr_spill_count: 0
    .wavefront_size: 64
  - .args:
      - .offset:         0
        .size:           4
        .value_kind:     by_value
      - .offset:         4
        .size:           4
        .value_kind:     by_value
      - .offset:         8
        .size:           4
        .value_kind:     by_value
      - .actual_access:  read_only
        .address_space:  global
        .offset:         16
        .size:           8
        .value_kind:     global_buffer
      - .actual_access:  read_only
        .address_space:  global
        .offset:         24
        .size:           8
        .value_kind:     global_buffer
      - .actual_access:  read_only
        .address_space:  global
        .offset:         32
        .size:           8
        .value_kind:     global_buffer
      - .address_space:  global
        .offset:         40
        .size:           8
        .value_kind:     global_buffer
      - .address_space:  global
        .offset:         48
        .size:           8
        .value_kind:     global_buffer
      - .address_space:  global
        .offset:         56
        .size:           8
        .value_kind:     global_buffer
      - .address_space:  global
        .offset:         64
        .size:           8
        .value_kind:     global_buffer
    .group_segment_fixed_size: 0
    .kernarg_segment_align: 8
    .kernarg_segment_size: 72
    .language:       OpenCL C
    .language_version:
      - 2
      - 0
    .max_flat_workgroup_size: 256
    .name:           _ZN9rocsparseL18gtsv_LBM_wv_kernelILj256ELj2E21rocsparse_complex_numIdEEEviiiPKT1_S5_S5_PS3_S6_S6_Pi
    .private_segment_fixed_size: 0
    .sgpr_count:     36
    .sgpr_spill_count: 0
    .symbol:         _ZN9rocsparseL18gtsv_LBM_wv_kernelILj256ELj2E21rocsparse_complex_numIdEEEviiiPKT1_S5_S5_PS3_S6_S6_Pi.kd
    .uniform_work_group_size: 1
    .uses_dynamic_stack: false
    .vgpr_count:     69
    .vgpr_spill_count: 0
    .wavefront_size: 64
  - .args:
      - .offset:         0
        .size:           4
        .value_kind:     by_value
      - .offset:         4
        .size:           4
        .value_kind:     by_value
      - .offset:         8
        .size:           4
        .value_kind:     by_value
      - .actual_access:  read_only
        .address_space:  global
        .offset:         16
        .size:           8
        .value_kind:     global_buffer
      - .actual_access:  read_only
        .address_space:  global
        .offset:         24
        .size:           8
        .value_kind:     global_buffer
      - .actual_access:  read_only
        .address_space:  global
        .offset:         32
        .size:           8
        .value_kind:     global_buffer
      - .address_space:  global
        .offset:         40
        .size:           8
        .value_kind:     global_buffer
      - .actual_access:  read_only
        .address_space:  global
        .offset:         48
        .size:           8
        .value_kind:     global_buffer
      - .actual_access:  read_only
        .address_space:  global
        .offset:         56
        .size:           8
        .value_kind:     global_buffer
    .group_segment_fixed_size: 0
    .kernarg_segment_align: 8
    .kernarg_segment_size: 64
    .language:       OpenCL C
    .language_version:
      - 2
      - 0
    .max_flat_workgroup_size: 256
    .name:           _ZN9rocsparseL19gtsv_LBM_rhs_kernelILj256ELj2ELj8E21rocsparse_complex_numIdEEEviiiPKT2_S5_S5_PS3_S5_PKi
    .private_segment_fixed_size: 0
    .sgpr_count:     36
    .sgpr_spill_count: 0
    .symbol:         _ZN9rocsparseL19gtsv_LBM_rhs_kernelILj256ELj2ELj8E21rocsparse_complex_numIdEEEviiiPKT2_S5_S5_PS3_S5_PKi.kd
    .uniform_work_group_size: 1
    .uses_dynamic_stack: false
    .vgpr_count:     126
    .vgpr_spill_count: 0
    .wavefront_size: 64
  - .args:
      - .offset:         0
        .size:           4
        .value_kind:     by_value
      - .offset:         4
        .size:           4
        .value_kind:     by_value
      - .offset:         8
        .size:           4
        .value_kind:     by_value
      - .actual_access:  read_only
        .address_space:  global
        .offset:         16
        .size:           8
        .value_kind:     global_buffer
      - .actual_access:  read_only
        .address_space:  global
        .offset:         24
        .size:           8
        .value_kind:     global_buffer
      - .actual_access:  read_only
        .address_space:  global
        .offset:         32
        .size:           8
        .value_kind:     global_buffer
      - .address_space:  global
        .offset:         40
        .size:           8
        .value_kind:     global_buffer
      - .actual_access:  read_only
        .address_space:  global
        .offset:         48
        .size:           8
        .value_kind:     global_buffer
      - .actual_access:  read_only
        .address_space:  global
        .offset:         56
        .size:           8
        .value_kind:     global_buffer
    .group_segment_fixed_size: 0
    .kernarg_segment_align: 8
    .kernarg_segment_size: 64
    .language:       OpenCL C
    .language_version:
      - 2
      - 0
    .max_flat_workgroup_size: 256
    .name:           _ZN9rocsparseL19gtsv_LBM_rhs_kernelILj256ELj2ELj4E21rocsparse_complex_numIdEEEviiiPKT2_S5_S5_PS3_S5_PKi
    .private_segment_fixed_size: 0
    .sgpr_count:     32
    .sgpr_spill_count: 0
    .symbol:         _ZN9rocsparseL19gtsv_LBM_rhs_kernelILj256ELj2ELj4E21rocsparse_complex_numIdEEEviiiPKT2_S5_S5_PS3_S5_PKi.kd
    .uniform_work_group_size: 1
    .uses_dynamic_stack: false
    .vgpr_count:     78
    .vgpr_spill_count: 0
    .wavefront_size: 64
  - .args:
      - .offset:         0
        .size:           4
        .value_kind:     by_value
      - .offset:         4
        .size:           4
        .value_kind:     by_value
      - .offset:         8
        .size:           4
        .value_kind:     by_value
      - .actual_access:  read_only
        .address_space:  global
        .offset:         16
        .size:           8
        .value_kind:     global_buffer
      - .actual_access:  read_only
        .address_space:  global
        .offset:         24
        .size:           8
        .value_kind:     global_buffer
      - .actual_access:  read_only
        .address_space:  global
        .offset:         32
        .size:           8
        .value_kind:     global_buffer
      - .address_space:  global
        .offset:         40
        .size:           8
        .value_kind:     global_buffer
      - .actual_access:  read_only
        .address_space:  global
        .offset:         48
        .size:           8
        .value_kind:     global_buffer
      - .actual_access:  read_only
        .address_space:  global
        .offset:         56
        .size:           8
        .value_kind:     global_buffer
    .group_segment_fixed_size: 0
    .kernarg_segment_align: 8
    .kernarg_segment_size: 64
    .language:       OpenCL C
    .language_version:
      - 2
      - 0
    .max_flat_workgroup_size: 256
    .name:           _ZN9rocsparseL19gtsv_LBM_rhs_kernelILj256ELj2ELj2E21rocsparse_complex_numIdEEEviiiPKT2_S5_S5_PS3_S5_PKi
    .private_segment_fixed_size: 0
    .sgpr_count:     30
    .sgpr_spill_count: 0
    .symbol:         _ZN9rocsparseL19gtsv_LBM_rhs_kernelILj256ELj2ELj2E21rocsparse_complex_numIdEEEviiiPKT2_S5_S5_PS3_S5_PKi.kd
    .uniform_work_group_size: 1
    .uses_dynamic_stack: false
    .vgpr_count:     62
    .vgpr_spill_count: 0
    .wavefront_size: 64
  - .args:
      - .offset:         0
        .size:           4
        .value_kind:     by_value
      - .offset:         4
        .size:           4
        .value_kind:     by_value
      - .offset:         8
        .size:           4
        .value_kind:     by_value
      - .actual_access:  read_only
        .address_space:  global
        .offset:         16
        .size:           8
        .value_kind:     global_buffer
      - .actual_access:  read_only
        .address_space:  global
        .offset:         24
        .size:           8
        .value_kind:     global_buffer
      - .actual_access:  read_only
        .address_space:  global
        .offset:         32
        .size:           8
        .value_kind:     global_buffer
      - .address_space:  global
        .offset:         40
        .size:           8
        .value_kind:     global_buffer
      - .actual_access:  read_only
        .address_space:  global
        .offset:         48
        .size:           8
        .value_kind:     global_buffer
      - .actual_access:  read_only
        .address_space:  global
        .offset:         56
        .size:           8
        .value_kind:     global_buffer
    .group_segment_fixed_size: 0
    .kernarg_segment_align: 8
    .kernarg_segment_size: 64
    .language:       OpenCL C
    .language_version:
      - 2
      - 0
    .max_flat_workgroup_size: 256
    .name:           _ZN9rocsparseL19gtsv_LBM_rhs_kernelILj256ELj2ELj1E21rocsparse_complex_numIdEEEviiiPKT2_S5_S5_PS3_S5_PKi
    .private_segment_fixed_size: 0
    .sgpr_count:     28
    .sgpr_spill_count: 0
    .symbol:         _ZN9rocsparseL19gtsv_LBM_rhs_kernelILj256ELj2ELj1E21rocsparse_complex_numIdEEEviiiPKT2_S5_S5_PS3_S5_PKi.kd
    .uniform_work_group_size: 1
    .uses_dynamic_stack: false
    .vgpr_count:     47
    .vgpr_spill_count: 0
    .wavefront_size: 64
  - .args:
      - .offset:         0
        .size:           4
        .value_kind:     by_value
      - .offset:         4
        .size:           4
        .value_kind:     by_value
      - .offset:         8
        .size:           4
        .value_kind:     by_value
      - .address_space:  global
        .offset:         16
        .size:           8
        .value_kind:     global_buffer
      - .actual_access:  read_only
        .address_space:  global
        .offset:         24
        .size:           8
        .value_kind:     global_buffer
      - .actual_access:  read_only
        .address_space:  global
        .offset:         32
        .size:           8
        .value_kind:     global_buffer
      - .actual_access:  write_only
        .address_space:  global
        .offset:         40
        .size:           8
        .value_kind:     global_buffer
      - .actual_access:  write_only
        .address_space:  global
        .offset:         48
        .size:           8
        .value_kind:     global_buffer
      - .actual_access:  write_only
        .address_space:  global
        .offset:         56
        .size:           8
        .value_kind:     global_buffer
      - .actual_access:  write_only
        .address_space:  global
        .offset:         64
        .size:           8
        .value_kind:     global_buffer
      - .actual_access:  write_only
        .address_space:  global
        .offset:         72
        .size:           8
        .value_kind:     global_buffer
      - .offset:         80
        .size:           4
        .value_kind:     hidden_block_count_x
      - .offset:         84
        .size:           4
        .value_kind:     hidden_block_count_y
      - .offset:         88
        .size:           4
        .value_kind:     hidden_block_count_z
      - .offset:         92
        .size:           2
        .value_kind:     hidden_group_size_x
      - .offset:         94
        .size:           2
        .value_kind:     hidden_group_size_y
      - .offset:         96
        .size:           2
        .value_kind:     hidden_group_size_z
      - .offset:         98
        .size:           2
        .value_kind:     hidden_remainder_x
      - .offset:         100
        .size:           2
        .value_kind:     hidden_remainder_y
      - .offset:         102
        .size:           2
        .value_kind:     hidden_remainder_z
      - .offset:         120
        .size:           8
        .value_kind:     hidden_global_offset_x
      - .offset:         128
        .size:           8
        .value_kind:     hidden_global_offset_y
      - .offset:         136
        .size:           8
        .value_kind:     hidden_global_offset_z
      - .offset:         144
        .size:           2
        .value_kind:     hidden_grid_dims
    .group_segment_fixed_size: 24576
    .kernarg_segment_align: 8
    .kernarg_segment_size: 336
    .language:       OpenCL C
    .language_version:
      - 2
      - 0
    .max_flat_workgroup_size: 256
    .name:           _ZN9rocsparseL29gtsv_spike_block_level_kernelILj256ELj2E21rocsparse_complex_numIdEEEviiiPT1_PKS3_S6_S4_S4_S4_S4_S4_
    .private_segment_fixed_size: 0
    .sgpr_count:     29
    .sgpr_spill_count: 0
    .symbol:         _ZN9rocsparseL29gtsv_spike_block_level_kernelILj256ELj2E21rocsparse_complex_numIdEEEviiiPT1_PKS3_S6_S4_S4_S4_S4_S4_.kd
    .uniform_work_group_size: 1
    .uses_dynamic_stack: false
    .vgpr_count:     67
    .vgpr_spill_count: 0
    .wavefront_size: 64
  - .args:
      - .offset:         0
        .size:           4
        .value_kind:     by_value
      - .offset:         4
        .size:           4
        .value_kind:     by_value
      - .offset:         8
        .size:           4
        .value_kind:     by_value
      - .address_space:  global
        .offset:         16
        .size:           8
        .value_kind:     global_buffer
      - .actual_access:  read_only
        .address_space:  global
        .offset:         24
        .size:           8
        .value_kind:     global_buffer
      - .actual_access:  read_only
        .address_space:  global
        .offset:         32
        .size:           8
        .value_kind:     global_buffer
    .group_segment_fixed_size: 192
    .kernarg_segment_align: 8
    .kernarg_segment_size: 40
    .language:       OpenCL C
    .language_version:
      - 2
      - 0
    .max_flat_workgroup_size: 2
    .name:           _ZN9rocsparseL34gtsv_solve_spike_grid_level_kernelILj2E21rocsparse_complex_numIdEEEviiiPT0_PKS3_S6_
    .private_segment_fixed_size: 0
    .sgpr_count:     14
    .sgpr_spill_count: 0
    .symbol:         _ZN9rocsparseL34gtsv_solve_spike_grid_level_kernelILj2E21rocsparse_complex_numIdEEEviiiPT0_PKS3_S6_.kd
    .uniform_work_group_size: 1
    .uses_dynamic_stack: false
    .vgpr_count:     41
    .vgpr_spill_count: 0
    .wavefront_size: 64
  - .args:
      - .offset:         0
        .size:           4
        .value_kind:     by_value
      - .offset:         4
        .size:           4
        .value_kind:     by_value
      - .offset:         8
        .size:           4
        .value_kind:     by_value
      - .address_space:  global
        .offset:         16
        .size:           8
        .value_kind:     global_buffer
      - .actual_access:  read_only
        .address_space:  global
        .offset:         24
        .size:           8
        .value_kind:     global_buffer
      - .actual_access:  read_only
        .address_space:  global
        .offset:         32
        .size:           8
        .value_kind:     global_buffer
    .group_segment_fixed_size: 384
    .kernarg_segment_align: 8
    .kernarg_segment_size: 40
    .language:       OpenCL C
    .language_version:
      - 2
      - 0
    .max_flat_workgroup_size: 4
    .name:           _ZN9rocsparseL34gtsv_solve_spike_grid_level_kernelILj4E21rocsparse_complex_numIdEEEviiiPT0_PKS3_S6_
    .private_segment_fixed_size: 0
    .sgpr_count:     14
    .sgpr_spill_count: 0
    .symbol:         _ZN9rocsparseL34gtsv_solve_spike_grid_level_kernelILj4E21rocsparse_complex_numIdEEEviiiPT0_PKS3_S6_.kd
    .uniform_work_group_size: 1
    .uses_dynamic_stack: false
    .vgpr_count:     62
    .vgpr_spill_count: 0
    .wavefront_size: 64
  - .args:
      - .offset:         0
        .size:           4
        .value_kind:     by_value
      - .offset:         4
        .size:           4
        .value_kind:     by_value
      - .offset:         8
        .size:           4
        .value_kind:     by_value
      - .address_space:  global
        .offset:         16
        .size:           8
        .value_kind:     global_buffer
      - .actual_access:  read_only
        .address_space:  global
        .offset:         24
        .size:           8
        .value_kind:     global_buffer
      - .actual_access:  read_only
        .address_space:  global
        .offset:         32
        .size:           8
        .value_kind:     global_buffer
    .group_segment_fixed_size: 768
    .kernarg_segment_align: 8
    .kernarg_segment_size: 40
    .language:       OpenCL C
    .language_version:
      - 2
      - 0
    .max_flat_workgroup_size: 8
    .name:           _ZN9rocsparseL34gtsv_solve_spike_grid_level_kernelILj8E21rocsparse_complex_numIdEEEviiiPT0_PKS3_S6_
    .private_segment_fixed_size: 0
    .sgpr_count:     14
    .sgpr_spill_count: 0
    .symbol:         _ZN9rocsparseL34gtsv_solve_spike_grid_level_kernelILj8E21rocsparse_complex_numIdEEEviiiPT0_PKS3_S6_.kd
    .uniform_work_group_size: 1
    .uses_dynamic_stack: false
    .vgpr_count:     44
    .vgpr_spill_count: 0
    .wavefront_size: 64
  - .args:
      - .offset:         0
        .size:           4
        .value_kind:     by_value
      - .offset:         4
        .size:           4
        .value_kind:     by_value
      - .offset:         8
        .size:           4
        .value_kind:     by_value
      - .address_space:  global
        .offset:         16
        .size:           8
        .value_kind:     global_buffer
      - .actual_access:  read_only
        .address_space:  global
        .offset:         24
        .size:           8
        .value_kind:     global_buffer
      - .actual_access:  read_only
        .address_space:  global
        .offset:         32
        .size:           8
        .value_kind:     global_buffer
    .group_segment_fixed_size: 1536
    .kernarg_segment_align: 8
    .kernarg_segment_size: 40
    .language:       OpenCL C
    .language_version:
      - 2
      - 0
    .max_flat_workgroup_size: 16
    .name:           _ZN9rocsparseL34gtsv_solve_spike_grid_level_kernelILj16E21rocsparse_complex_numIdEEEviiiPT0_PKS3_S6_
    .private_segment_fixed_size: 0
    .sgpr_count:     14
    .sgpr_spill_count: 0
    .symbol:         _ZN9rocsparseL34gtsv_solve_spike_grid_level_kernelILj16E21rocsparse_complex_numIdEEEviiiPT0_PKS3_S6_.kd
    .uniform_work_group_size: 1
    .uses_dynamic_stack: false
    .vgpr_count:     44
    .vgpr_spill_count: 0
    .wavefront_size: 64
  - .args:
      - .offset:         0
        .size:           4
        .value_kind:     by_value
      - .offset:         4
        .size:           4
        .value_kind:     by_value
      - .offset:         8
        .size:           4
        .value_kind:     by_value
      - .address_space:  global
        .offset:         16
        .size:           8
        .value_kind:     global_buffer
      - .actual_access:  read_only
        .address_space:  global
        .offset:         24
        .size:           8
        .value_kind:     global_buffer
      - .actual_access:  read_only
        .address_space:  global
        .offset:         32
        .size:           8
        .value_kind:     global_buffer
    .group_segment_fixed_size: 3072
    .kernarg_segment_align: 8
    .kernarg_segment_size: 40
    .language:       OpenCL C
    .language_version:
      - 2
      - 0
    .max_flat_workgroup_size: 32
    .name:           _ZN9rocsparseL34gtsv_solve_spike_grid_level_kernelILj32E21rocsparse_complex_numIdEEEviiiPT0_PKS3_S6_
    .private_segment_fixed_size: 0
    .sgpr_count:     14
    .sgpr_spill_count: 0
    .symbol:         _ZN9rocsparseL34gtsv_solve_spike_grid_level_kernelILj32E21rocsparse_complex_numIdEEEviiiPT0_PKS3_S6_.kd
    .uniform_work_group_size: 1
    .uses_dynamic_stack: false
    .vgpr_count:     37
    .vgpr_spill_count: 0
    .wavefront_size: 64
  - .args:
      - .offset:         0
        .size:           4
        .value_kind:     by_value
      - .offset:         4
        .size:           4
        .value_kind:     by_value
      - .offset:         8
        .size:           4
        .value_kind:     by_value
      - .address_space:  global
        .offset:         16
        .size:           8
        .value_kind:     global_buffer
      - .actual_access:  read_only
        .address_space:  global
        .offset:         24
        .size:           8
        .value_kind:     global_buffer
      - .actual_access:  read_only
        .address_space:  global
        .offset:         32
        .size:           8
        .value_kind:     global_buffer
    .group_segment_fixed_size: 6144
    .kernarg_segment_align: 8
    .kernarg_segment_size: 40
    .language:       OpenCL C
    .language_version:
      - 2
      - 0
    .max_flat_workgroup_size: 64
    .name:           _ZN9rocsparseL34gtsv_solve_spike_grid_level_kernelILj64E21rocsparse_complex_numIdEEEviiiPT0_PKS3_S6_
    .private_segment_fixed_size: 0
    .sgpr_count:     14
    .sgpr_spill_count: 0
    .symbol:         _ZN9rocsparseL34gtsv_solve_spike_grid_level_kernelILj64E21rocsparse_complex_numIdEEEviiiPT0_PKS3_S6_.kd
    .uniform_work_group_size: 1
    .uses_dynamic_stack: false
    .vgpr_count:     63
    .vgpr_spill_count: 0
    .wavefront_size: 64
  - .args:
      - .offset:         0
        .size:           4
        .value_kind:     by_value
      - .offset:         4
        .size:           4
        .value_kind:     by_value
      - .offset:         8
        .size:           4
        .value_kind:     by_value
      - .address_space:  global
        .offset:         16
        .size:           8
        .value_kind:     global_buffer
      - .actual_access:  read_only
        .address_space:  global
        .offset:         24
        .size:           8
        .value_kind:     global_buffer
      - .actual_access:  read_only
        .address_space:  global
        .offset:         32
        .size:           8
        .value_kind:     global_buffer
    .group_segment_fixed_size: 12288
    .kernarg_segment_align: 8
    .kernarg_segment_size: 40
    .language:       OpenCL C
    .language_version:
      - 2
      - 0
    .max_flat_workgroup_size: 128
    .name:           _ZN9rocsparseL34gtsv_solve_spike_grid_level_kernelILj128E21rocsparse_complex_numIdEEEviiiPT0_PKS3_S6_
    .private_segment_fixed_size: 0
    .sgpr_count:     14
    .sgpr_spill_count: 0
    .symbol:         _ZN9rocsparseL34gtsv_solve_spike_grid_level_kernelILj128E21rocsparse_complex_numIdEEEviiiPT0_PKS3_S6_.kd
    .uniform_work_group_size: 1
    .uses_dynamic_stack: false
    .vgpr_count:     63
    .vgpr_spill_count: 0
    .wavefront_size: 64
  - .args:
      - .offset:         0
        .size:           4
        .value_kind:     by_value
      - .offset:         4
        .size:           4
        .value_kind:     by_value
      - .offset:         8
        .size:           4
        .value_kind:     by_value
      - .address_space:  global
        .offset:         16
        .size:           8
        .value_kind:     global_buffer
      - .actual_access:  read_only
        .address_space:  global
        .offset:         24
        .size:           8
        .value_kind:     global_buffer
      - .actual_access:  read_only
        .address_space:  global
        .offset:         32
        .size:           8
        .value_kind:     global_buffer
    .group_segment_fixed_size: 24576
    .kernarg_segment_align: 8
    .kernarg_segment_size: 40
    .language:       OpenCL C
    .language_version:
      - 2
      - 0
    .max_flat_workgroup_size: 256
    .name:           _ZN9rocsparseL34gtsv_solve_spike_grid_level_kernelILj256E21rocsparse_complex_numIdEEEviiiPT0_PKS3_S6_
    .private_segment_fixed_size: 0
    .sgpr_count:     14
    .sgpr_spill_count: 0
    .symbol:         _ZN9rocsparseL34gtsv_solve_spike_grid_level_kernelILj256E21rocsparse_complex_numIdEEEviiiPT0_PKS3_S6_.kd
    .uniform_work_group_size: 1
    .uses_dynamic_stack: false
    .vgpr_count:     63
    .vgpr_spill_count: 0
    .wavefront_size: 64
  - .args:
      - .offset:         0
        .size:           4
        .value_kind:     by_value
      - .offset:         4
        .size:           4
        .value_kind:     by_value
      - .offset:         8
        .size:           4
        .value_kind:     by_value
      - .address_space:  global
        .offset:         16
        .size:           8
        .value_kind:     global_buffer
      - .actual_access:  read_only
        .address_space:  global
        .offset:         24
        .size:           8
        .value_kind:     global_buffer
      - .actual_access:  read_only
        .address_space:  global
        .offset:         32
        .size:           8
        .value_kind:     global_buffer
    .group_segment_fixed_size: 49152
    .kernarg_segment_align: 8
    .kernarg_segment_size: 40
    .language:       OpenCL C
    .language_version:
      - 2
      - 0
    .max_flat_workgroup_size: 512
    .name:           _ZN9rocsparseL34gtsv_solve_spike_grid_level_kernelILj512E21rocsparse_complex_numIdEEEviiiPT0_PKS3_S6_
    .private_segment_fixed_size: 0
    .sgpr_count:     14
    .sgpr_spill_count: 0
    .symbol:         _ZN9rocsparseL34gtsv_solve_spike_grid_level_kernelILj512E21rocsparse_complex_numIdEEEviiiPT0_PKS3_S6_.kd
    .uniform_work_group_size: 1
    .uses_dynamic_stack: false
    .vgpr_count:     61
    .vgpr_spill_count: 0
    .wavefront_size: 64
  - .args:
      - .offset:         0
        .size:           4
        .value_kind:     by_value
      - .offset:         4
        .size:           4
        .value_kind:     by_value
      - .offset:         8
        .size:           4
        .value_kind:     by_value
      - .address_space:  global
        .offset:         16
        .size:           8
        .value_kind:     global_buffer
      - .actual_access:  read_only
        .address_space:  global
        .offset:         24
        .size:           8
        .value_kind:     global_buffer
      - .actual_access:  read_only
        .address_space:  global
        .offset:         32
        .size:           8
        .value_kind:     global_buffer
      - .actual_access:  read_only
        .address_space:  global
        .offset:         40
        .size:           8
        .value_kind:     global_buffer
      - .offset:         48
        .size:           4
        .value_kind:     hidden_block_count_x
      - .offset:         52
        .size:           4
        .value_kind:     hidden_block_count_y
      - .offset:         56
        .size:           4
        .value_kind:     hidden_block_count_z
      - .offset:         60
        .size:           2
        .value_kind:     hidden_group_size_x
      - .offset:         62
        .size:           2
        .value_kind:     hidden_group_size_y
      - .offset:         64
        .size:           2
        .value_kind:     hidden_group_size_z
      - .offset:         66
        .size:           2
        .value_kind:     hidden_remainder_x
      - .offset:         68
        .size:           2
        .value_kind:     hidden_remainder_y
      - .offset:         70
        .size:           2
        .value_kind:     hidden_remainder_z
      - .offset:         88
        .size:           8
        .value_kind:     hidden_global_offset_x
      - .offset:         96
        .size:           8
        .value_kind:     hidden_global_offset_y
      - .offset:         104
        .size:           8
        .value_kind:     hidden_global_offset_z
      - .offset:         112
        .size:           2
        .value_kind:     hidden_grid_dims
    .group_segment_fixed_size: 24608
    .kernarg_segment_align: 8
    .kernarg_segment_size: 304
    .language:       OpenCL C
    .language_version:
      - 2
      - 0
    .max_flat_workgroup_size: 256
    .name:           _ZN9rocsparseL33gtsv_solve_spike_propagate_kernelILj256ELj2E21rocsparse_complex_numIdEEEviiiPT1_PKS3_S6_S6_
    .private_segment_fixed_size: 0
    .sgpr_count:     26
    .sgpr_spill_count: 0
    .symbol:         _ZN9rocsparseL33gtsv_solve_spike_propagate_kernelILj256ELj2E21rocsparse_complex_numIdEEEviiiPT1_PKS3_S6_S6_.kd
    .uniform_work_group_size: 1
    .uses_dynamic_stack: false
    .vgpr_count:     43
    .vgpr_spill_count: 0
    .wavefront_size: 64
  - .args:
      - .offset:         0
        .size:           4
        .value_kind:     by_value
      - .offset:         4
        .size:           4
        .value_kind:     by_value
      - .offset:         8
        .size:           4
        .value_kind:     by_value
      - .actual_access:  read_only
        .address_space:  global
        .offset:         16
        .size:           8
        .value_kind:     global_buffer
      - .actual_access:  read_only
        .address_space:  global
        .offset:         24
        .size:           8
        .value_kind:     global_buffer
      - .actual_access:  read_only
        .address_space:  global
        .offset:         32
        .size:           8
        .value_kind:     global_buffer
    .group_segment_fixed_size: 0
    .kernarg_segment_align: 8
    .kernarg_segment_size: 40
    .language:       OpenCL C
    .language_version:
      - 2
      - 0
    .max_flat_workgroup_size: 256
    .name:           _ZN9rocsparseL39gtsv_spike_backward_substitution_kernelILj256ELj2E21rocsparse_complex_numIdEEEviiiPT1_PKS3_S6_
    .private_segment_fixed_size: 0
    .sgpr_count:     4
    .sgpr_spill_count: 0
    .symbol:         _ZN9rocsparseL39gtsv_spike_backward_substitution_kernelILj256ELj2E21rocsparse_complex_numIdEEEviiiPT1_PKS3_S6_.kd
    .uniform_work_group_size: 1
    .uses_dynamic_stack: false
    .vgpr_count:     0
    .vgpr_spill_count: 0
    .wavefront_size: 64
  - .args:
      - .offset:         0
        .size:           4
        .value_kind:     by_value
      - .offset:         4
        .size:           4
        .value_kind:     by_value
      - .offset:         8
        .size:           4
        .value_kind:     by_value
      - .actual_access:  read_only
        .address_space:  global
        .offset:         16
        .size:           8
        .value_kind:     global_buffer
      - .actual_access:  write_only
        .address_space:  global
        .offset:         24
        .size:           8
        .value_kind:     global_buffer
    .group_segment_fixed_size: 0
    .kernarg_segment_align: 8
    .kernarg_segment_size: 32
    .language:       OpenCL C
    .language_version:
      - 2
      - 0
    .max_flat_workgroup_size: 256
    .name:           _ZN9rocsparseL32gtsv_transpose_back_array_kernelILj256ELj2E21rocsparse_complex_numIdEEEviiiPKT1_PS3_
    .private_segment_fixed_size: 0
    .sgpr_count:     16
    .sgpr_spill_count: 0
    .symbol:         _ZN9rocsparseL32gtsv_transpose_back_array_kernelILj256ELj2E21rocsparse_complex_numIdEEEviiiPKT1_PS3_.kd
    .uniform_work_group_size: 1
    .uses_dynamic_stack: false
    .vgpr_count:     7
    .vgpr_spill_count: 0
    .wavefront_size: 64
  - .args:
      - .offset:         0
        .size:           4
        .value_kind:     by_value
      - .offset:         4
        .size:           4
        .value_kind:     by_value
      - .offset:         8
        .size:           4
        .value_kind:     by_value
      - .actual_access:  read_only
        .address_space:  global
        .offset:         16
        .size:           8
        .value_kind:     global_buffer
      - .actual_access:  write_only
        .address_space:  global
        .offset:         24
        .size:           8
        .value_kind:     global_buffer
      - .offset:         32
        .size:           16
        .value_kind:     by_value
    .group_segment_fixed_size: 4096
    .kernarg_segment_align: 8
    .kernarg_segment_size: 48
    .language:       OpenCL C
    .language_version:
      - 2
      - 0
    .max_flat_workgroup_size: 256
    .name:           _ZN9rocsparseL42gtsv_transpose_and_pad_array_shared_kernelILj256ELj4E21rocsparse_complex_numIdEEEviiiPKT1_PS3_S3_
    .private_segment_fixed_size: 0
    .sgpr_count:     20
    .sgpr_spill_count: 0
    .symbol:         _ZN9rocsparseL42gtsv_transpose_and_pad_array_shared_kernelILj256ELj4E21rocsparse_complex_numIdEEEviiiPKT1_PS3_S3_.kd
    .uniform_work_group_size: 1
    .uses_dynamic_stack: false
    .vgpr_count:     7
    .vgpr_spill_count: 0
    .wavefront_size: 64
  - .args:
      - .offset:         0
        .size:           4
        .value_kind:     by_value
      - .offset:         4
        .size:           4
        .value_kind:     by_value
      - .offset:         8
        .size:           4
        .value_kind:     by_value
      - .actual_access:  read_only
        .address_space:  global
        .offset:         16
        .size:           8
        .value_kind:     global_buffer
      - .actual_access:  read_only
        .address_space:  global
        .offset:         24
        .size:           8
        .value_kind:     global_buffer
      - .actual_access:  read_only
        .address_space:  global
        .offset:         32
        .size:           8
        .value_kind:     global_buffer
      - .address_space:  global
        .offset:         40
        .size:           8
        .value_kind:     global_buffer
      - .address_space:  global
        .offset:         48
        .size:           8
        .value_kind:     global_buffer
      - .address_space:  global
        .offset:         56
        .size:           8
        .value_kind:     global_buffer
      - .address_space:  global
        .offset:         64
        .size:           8
        .value_kind:     global_buffer
    .group_segment_fixed_size: 0
    .kernarg_segment_align: 8
    .kernarg_segment_size: 72
    .language:       OpenCL C
    .language_version:
      - 2
      - 0
    .max_flat_workgroup_size: 256
    .name:           _ZN9rocsparseL18gtsv_LBM_wv_kernelILj256ELj4E21rocsparse_complex_numIdEEEviiiPKT1_S5_S5_PS3_S6_S6_Pi
    .private_segment_fixed_size: 0
    .sgpr_count:     40
    .sgpr_spill_count: 0
    .symbol:         _ZN9rocsparseL18gtsv_LBM_wv_kernelILj256ELj4E21rocsparse_complex_numIdEEEviiiPKT1_S5_S5_PS3_S6_S6_Pi.kd
    .uniform_work_group_size: 1
    .uses_dynamic_stack: false
    .vgpr_count:     80
    .vgpr_spill_count: 0
    .wavefront_size: 64
  - .args:
      - .offset:         0
        .size:           4
        .value_kind:     by_value
      - .offset:         4
        .size:           4
        .value_kind:     by_value
      - .offset:         8
        .size:           4
        .value_kind:     by_value
      - .actual_access:  read_only
        .address_space:  global
        .offset:         16
        .size:           8
        .value_kind:     global_buffer
      - .actual_access:  read_only
        .address_space:  global
        .offset:         24
        .size:           8
        .value_kind:     global_buffer
      - .actual_access:  read_only
        .address_space:  global
        .offset:         32
        .size:           8
        .value_kind:     global_buffer
      - .address_space:  global
        .offset:         40
        .size:           8
        .value_kind:     global_buffer
      - .actual_access:  read_only
        .address_space:  global
        .offset:         48
        .size:           8
        .value_kind:     global_buffer
      - .actual_access:  read_only
        .address_space:  global
        .offset:         56
        .size:           8
        .value_kind:     global_buffer
    .group_segment_fixed_size: 0
    .kernarg_segment_align: 8
    .kernarg_segment_size: 64
    .language:       OpenCL C
    .language_version:
      - 2
      - 0
    .max_flat_workgroup_size: 256
    .name:           _ZN9rocsparseL19gtsv_LBM_rhs_kernelILj256ELj4ELj8E21rocsparse_complex_numIdEEEviiiPKT2_S5_S5_PS3_S5_PKi
    .private_segment_fixed_size: 0
    .sgpr_count:     40
    .sgpr_spill_count: 0
    .symbol:         _ZN9rocsparseL19gtsv_LBM_rhs_kernelILj256ELj4ELj8E21rocsparse_complex_numIdEEEviiiPKT2_S5_S5_PS3_S5_PKi.kd
    .uniform_work_group_size: 1
    .uses_dynamic_stack: false
    .vgpr_count:     161
    .vgpr_spill_count: 0
    .wavefront_size: 64
  - .args:
      - .offset:         0
        .size:           4
        .value_kind:     by_value
      - .offset:         4
        .size:           4
        .value_kind:     by_value
      - .offset:         8
        .size:           4
        .value_kind:     by_value
      - .actual_access:  read_only
        .address_space:  global
        .offset:         16
        .size:           8
        .value_kind:     global_buffer
      - .actual_access:  read_only
        .address_space:  global
        .offset:         24
        .size:           8
        .value_kind:     global_buffer
      - .actual_access:  read_only
        .address_space:  global
        .offset:         32
        .size:           8
        .value_kind:     global_buffer
      - .address_space:  global
        .offset:         40
        .size:           8
        .value_kind:     global_buffer
      - .actual_access:  read_only
        .address_space:  global
        .offset:         48
        .size:           8
        .value_kind:     global_buffer
      - .actual_access:  read_only
        .address_space:  global
        .offset:         56
        .size:           8
        .value_kind:     global_buffer
    .group_segment_fixed_size: 0
    .kernarg_segment_align: 8
    .kernarg_segment_size: 64
    .language:       OpenCL C
    .language_version:
      - 2
      - 0
    .max_flat_workgroup_size: 256
    .name:           _ZN9rocsparseL19gtsv_LBM_rhs_kernelILj256ELj4ELj4E21rocsparse_complex_numIdEEEviiiPKT2_S5_S5_PS3_S5_PKi
    .private_segment_fixed_size: 0
    .sgpr_count:     35
    .sgpr_spill_count: 0
    .symbol:         _ZN9rocsparseL19gtsv_LBM_rhs_kernelILj256ELj4ELj4E21rocsparse_complex_numIdEEEviiiPKT2_S5_S5_PS3_S5_PKi.kd
    .uniform_work_group_size: 1
    .uses_dynamic_stack: false
    .vgpr_count:     93
    .vgpr_spill_count: 0
    .wavefront_size: 64
  - .args:
      - .offset:         0
        .size:           4
        .value_kind:     by_value
      - .offset:         4
        .size:           4
        .value_kind:     by_value
      - .offset:         8
        .size:           4
        .value_kind:     by_value
      - .actual_access:  read_only
        .address_space:  global
        .offset:         16
        .size:           8
        .value_kind:     global_buffer
      - .actual_access:  read_only
        .address_space:  global
        .offset:         24
        .size:           8
        .value_kind:     global_buffer
      - .actual_access:  read_only
        .address_space:  global
        .offset:         32
        .size:           8
        .value_kind:     global_buffer
      - .address_space:  global
        .offset:         40
        .size:           8
        .value_kind:     global_buffer
      - .actual_access:  read_only
        .address_space:  global
        .offset:         48
        .size:           8
        .value_kind:     global_buffer
      - .actual_access:  read_only
        .address_space:  global
        .offset:         56
        .size:           8
        .value_kind:     global_buffer
    .group_segment_fixed_size: 0
    .kernarg_segment_align: 8
    .kernarg_segment_size: 64
    .language:       OpenCL C
    .language_version:
      - 2
      - 0
    .max_flat_workgroup_size: 256
    .name:           _ZN9rocsparseL19gtsv_LBM_rhs_kernelILj256ELj4ELj2E21rocsparse_complex_numIdEEEviiiPKT2_S5_S5_PS3_S5_PKi
    .private_segment_fixed_size: 0
    .sgpr_count:     35
    .sgpr_spill_count: 0
    .symbol:         _ZN9rocsparseL19gtsv_LBM_rhs_kernelILj256ELj4ELj2E21rocsparse_complex_numIdEEEviiiPKT2_S5_S5_PS3_S5_PKi.kd
    .uniform_work_group_size: 1
    .uses_dynamic_stack: false
    .vgpr_count:     71
    .vgpr_spill_count: 0
    .wavefront_size: 64
  - .args:
      - .offset:         0
        .size:           4
        .value_kind:     by_value
      - .offset:         4
        .size:           4
        .value_kind:     by_value
      - .offset:         8
        .size:           4
        .value_kind:     by_value
      - .actual_access:  read_only
        .address_space:  global
        .offset:         16
        .size:           8
        .value_kind:     global_buffer
      - .actual_access:  read_only
        .address_space:  global
        .offset:         24
        .size:           8
        .value_kind:     global_buffer
      - .actual_access:  read_only
        .address_space:  global
        .offset:         32
        .size:           8
        .value_kind:     global_buffer
      - .address_space:  global
        .offset:         40
        .size:           8
        .value_kind:     global_buffer
      - .actual_access:  read_only
        .address_space:  global
        .offset:         48
        .size:           8
        .value_kind:     global_buffer
      - .actual_access:  read_only
        .address_space:  global
        .offset:         56
        .size:           8
        .value_kind:     global_buffer
    .group_segment_fixed_size: 0
    .kernarg_segment_align: 8
    .kernarg_segment_size: 64
    .language:       OpenCL C
    .language_version:
      - 2
      - 0
    .max_flat_workgroup_size: 256
    .name:           _ZN9rocsparseL19gtsv_LBM_rhs_kernelILj256ELj4ELj1E21rocsparse_complex_numIdEEEviiiPKT2_S5_S5_PS3_S5_PKi
    .private_segment_fixed_size: 0
    .sgpr_count:     31
    .sgpr_spill_count: 0
    .symbol:         _ZN9rocsparseL19gtsv_LBM_rhs_kernelILj256ELj4ELj1E21rocsparse_complex_numIdEEEviiiPKT2_S5_S5_PS3_S5_PKi.kd
    .uniform_work_group_size: 1
    .uses_dynamic_stack: false
    .vgpr_count:     58
    .vgpr_spill_count: 0
    .wavefront_size: 64
  - .args:
      - .offset:         0
        .size:           4
        .value_kind:     by_value
      - .offset:         4
        .size:           4
        .value_kind:     by_value
      - .offset:         8
        .size:           4
        .value_kind:     by_value
      - .address_space:  global
        .offset:         16
        .size:           8
        .value_kind:     global_buffer
      - .actual_access:  read_only
        .address_space:  global
        .offset:         24
        .size:           8
        .value_kind:     global_buffer
      - .actual_access:  read_only
        .address_space:  global
        .offset:         32
        .size:           8
        .value_kind:     global_buffer
      - .actual_access:  write_only
        .address_space:  global
        .offset:         40
        .size:           8
        .value_kind:     global_buffer
      - .actual_access:  write_only
        .address_space:  global
        .offset:         48
        .size:           8
        .value_kind:     global_buffer
      - .actual_access:  write_only
        .address_space:  global
        .offset:         56
        .size:           8
        .value_kind:     global_buffer
      - .actual_access:  write_only
        .address_space:  global
        .offset:         64
        .size:           8
        .value_kind:     global_buffer
      - .actual_access:  write_only
        .address_space:  global
        .offset:         72
        .size:           8
        .value_kind:     global_buffer
      - .offset:         80
        .size:           4
        .value_kind:     hidden_block_count_x
      - .offset:         84
        .size:           4
        .value_kind:     hidden_block_count_y
      - .offset:         88
        .size:           4
        .value_kind:     hidden_block_count_z
      - .offset:         92
        .size:           2
        .value_kind:     hidden_group_size_x
      - .offset:         94
        .size:           2
        .value_kind:     hidden_group_size_y
      - .offset:         96
        .size:           2
        .value_kind:     hidden_group_size_z
      - .offset:         98
        .size:           2
        .value_kind:     hidden_remainder_x
      - .offset:         100
        .size:           2
        .value_kind:     hidden_remainder_y
      - .offset:         102
        .size:           2
        .value_kind:     hidden_remainder_z
      - .offset:         120
        .size:           8
        .value_kind:     hidden_global_offset_x
      - .offset:         128
        .size:           8
        .value_kind:     hidden_global_offset_y
      - .offset:         136
        .size:           8
        .value_kind:     hidden_global_offset_z
      - .offset:         144
        .size:           2
        .value_kind:     hidden_grid_dims
    .group_segment_fixed_size: 24576
    .kernarg_segment_align: 8
    .kernarg_segment_size: 336
    .language:       OpenCL C
    .language_version:
      - 2
      - 0
    .max_flat_workgroup_size: 256
    .name:           _ZN9rocsparseL29gtsv_spike_block_level_kernelILj256ELj4E21rocsparse_complex_numIdEEEviiiPT1_PKS3_S6_S4_S4_S4_S4_S4_
    .private_segment_fixed_size: 0
    .sgpr_count:     30
    .sgpr_spill_count: 0
    .symbol:         _ZN9rocsparseL29gtsv_spike_block_level_kernelILj256ELj4E21rocsparse_complex_numIdEEEviiiPT1_PKS3_S6_S4_S4_S4_S4_S4_.kd
    .uniform_work_group_size: 1
    .uses_dynamic_stack: false
    .vgpr_count:     64
    .vgpr_spill_count: 0
    .wavefront_size: 64
  - .args:
      - .offset:         0
        .size:           4
        .value_kind:     by_value
      - .offset:         4
        .size:           4
        .value_kind:     by_value
      - .offset:         8
        .size:           4
        .value_kind:     by_value
      - .address_space:  global
        .offset:         16
        .size:           8
        .value_kind:     global_buffer
      - .actual_access:  read_only
        .address_space:  global
        .offset:         24
        .size:           8
        .value_kind:     global_buffer
      - .actual_access:  read_only
        .address_space:  global
        .offset:         32
        .size:           8
        .value_kind:     global_buffer
      - .actual_access:  read_only
        .address_space:  global
        .offset:         40
        .size:           8
        .value_kind:     global_buffer
      - .offset:         48
        .size:           4
        .value_kind:     hidden_block_count_x
      - .offset:         52
        .size:           4
        .value_kind:     hidden_block_count_y
      - .offset:         56
        .size:           4
        .value_kind:     hidden_block_count_z
      - .offset:         60
        .size:           2
        .value_kind:     hidden_group_size_x
      - .offset:         62
        .size:           2
        .value_kind:     hidden_group_size_y
      - .offset:         64
        .size:           2
        .value_kind:     hidden_group_size_z
      - .offset:         66
        .size:           2
        .value_kind:     hidden_remainder_x
      - .offset:         68
        .size:           2
        .value_kind:     hidden_remainder_y
      - .offset:         70
        .size:           2
        .value_kind:     hidden_remainder_z
      - .offset:         88
        .size:           8
        .value_kind:     hidden_global_offset_x
      - .offset:         96
        .size:           8
        .value_kind:     hidden_global_offset_y
      - .offset:         104
        .size:           8
        .value_kind:     hidden_global_offset_z
      - .offset:         112
        .size:           2
        .value_kind:     hidden_grid_dims
    .group_segment_fixed_size: 24608
    .kernarg_segment_align: 8
    .kernarg_segment_size: 304
    .language:       OpenCL C
    .language_version:
      - 2
      - 0
    .max_flat_workgroup_size: 256
    .name:           _ZN9rocsparseL33gtsv_solve_spike_propagate_kernelILj256ELj4E21rocsparse_complex_numIdEEEviiiPT1_PKS3_S6_S6_
    .private_segment_fixed_size: 0
    .sgpr_count:     26
    .sgpr_spill_count: 0
    .symbol:         _ZN9rocsparseL33gtsv_solve_spike_propagate_kernelILj256ELj4E21rocsparse_complex_numIdEEEviiiPT1_PKS3_S6_S6_.kd
    .uniform_work_group_size: 1
    .uses_dynamic_stack: false
    .vgpr_count:     43
    .vgpr_spill_count: 0
    .wavefront_size: 64
  - .args:
      - .offset:         0
        .size:           4
        .value_kind:     by_value
      - .offset:         4
        .size:           4
        .value_kind:     by_value
      - .offset:         8
        .size:           4
        .value_kind:     by_value
      - .address_space:  global
        .offset:         16
        .size:           8
        .value_kind:     global_buffer
      - .actual_access:  read_only
        .address_space:  global
        .offset:         24
        .size:           8
        .value_kind:     global_buffer
      - .actual_access:  read_only
        .address_space:  global
        .offset:         32
        .size:           8
        .value_kind:     global_buffer
    .group_segment_fixed_size: 0
    .kernarg_segment_align: 8
    .kernarg_segment_size: 40
    .language:       OpenCL C
    .language_version:
      - 2
      - 0
    .max_flat_workgroup_size: 256
    .name:           _ZN9rocsparseL39gtsv_spike_backward_substitution_kernelILj256ELj4E21rocsparse_complex_numIdEEEviiiPT1_PKS3_S6_
    .private_segment_fixed_size: 0
    .sgpr_count:     16
    .sgpr_spill_count: 0
    .symbol:         _ZN9rocsparseL39gtsv_spike_backward_substitution_kernelILj256ELj4E21rocsparse_complex_numIdEEEviiiPT1_PKS3_S6_.kd
    .uniform_work_group_size: 1
    .uses_dynamic_stack: false
    .vgpr_count:     24
    .vgpr_spill_count: 0
    .wavefront_size: 64
  - .args:
      - .offset:         0
        .size:           4
        .value_kind:     by_value
      - .offset:         4
        .size:           4
        .value_kind:     by_value
      - .offset:         8
        .size:           4
        .value_kind:     by_value
      - .actual_access:  read_only
        .address_space:  global
        .offset:         16
        .size:           8
        .value_kind:     global_buffer
      - .actual_access:  write_only
        .address_space:  global
        .offset:         24
        .size:           8
        .value_kind:     global_buffer
    .group_segment_fixed_size: 0
    .kernarg_segment_align: 8
    .kernarg_segment_size: 32
    .language:       OpenCL C
    .language_version:
      - 2
      - 0
    .max_flat_workgroup_size: 256
    .name:           _ZN9rocsparseL32gtsv_transpose_back_array_kernelILj256ELj4E21rocsparse_complex_numIdEEEviiiPKT1_PS3_
    .private_segment_fixed_size: 0
    .sgpr_count:     16
    .sgpr_spill_count: 0
    .symbol:         _ZN9rocsparseL32gtsv_transpose_back_array_kernelILj256ELj4E21rocsparse_complex_numIdEEEviiiPKT1_PS3_.kd
    .uniform_work_group_size: 1
    .uses_dynamic_stack: false
    .vgpr_count:     7
    .vgpr_spill_count: 0
    .wavefront_size: 64
  - .args:
      - .offset:         0
        .size:           4
        .value_kind:     by_value
      - .offset:         4
        .size:           4
        .value_kind:     by_value
      - .offset:         8
        .size:           4
        .value_kind:     by_value
      - .actual_access:  read_only
        .address_space:  global
        .offset:         16
        .size:           8
        .value_kind:     global_buffer
      - .actual_access:  write_only
        .address_space:  global
        .offset:         24
        .size:           8
        .value_kind:     global_buffer
      - .offset:         32
        .size:           16
        .value_kind:     by_value
    .group_segment_fixed_size: 4096
    .kernarg_segment_align: 8
    .kernarg_segment_size: 48
    .language:       OpenCL C
    .language_version:
      - 2
      - 0
    .max_flat_workgroup_size: 256
    .name:           _ZN9rocsparseL42gtsv_transpose_and_pad_array_shared_kernelILj256ELj8E21rocsparse_complex_numIdEEEviiiPKT1_PS3_S3_
    .private_segment_fixed_size: 0
    .sgpr_count:     20
    .sgpr_spill_count: 0
    .symbol:         _ZN9rocsparseL42gtsv_transpose_and_pad_array_shared_kernelILj256ELj8E21rocsparse_complex_numIdEEEviiiPKT1_PS3_S3_.kd
    .uniform_work_group_size: 1
    .uses_dynamic_stack: false
    .vgpr_count:     7
    .vgpr_spill_count: 0
    .wavefront_size: 64
  - .args:
      - .offset:         0
        .size:           4
        .value_kind:     by_value
      - .offset:         4
        .size:           4
        .value_kind:     by_value
      - .offset:         8
        .size:           4
        .value_kind:     by_value
      - .actual_access:  read_only
        .address_space:  global
        .offset:         16
        .size:           8
        .value_kind:     global_buffer
      - .actual_access:  read_only
        .address_space:  global
        .offset:         24
        .size:           8
        .value_kind:     global_buffer
      - .actual_access:  read_only
        .address_space:  global
        .offset:         32
        .size:           8
        .value_kind:     global_buffer
      - .address_space:  global
        .offset:         40
        .size:           8
        .value_kind:     global_buffer
      - .address_space:  global
        .offset:         48
        .size:           8
        .value_kind:     global_buffer
      - .address_space:  global
        .offset:         56
        .size:           8
        .value_kind:     global_buffer
      - .address_space:  global
        .offset:         64
        .size:           8
        .value_kind:     global_buffer
    .group_segment_fixed_size: 0
    .kernarg_segment_align: 8
    .kernarg_segment_size: 72
    .language:       OpenCL C
    .language_version:
      - 2
      - 0
    .max_flat_workgroup_size: 256
    .name:           _ZN9rocsparseL18gtsv_LBM_wv_kernelILj256ELj8E21rocsparse_complex_numIdEEEviiiPKT1_S5_S5_PS3_S6_S6_Pi
    .private_segment_fixed_size: 0
    .sgpr_count:     40
    .sgpr_spill_count: 0
    .symbol:         _ZN9rocsparseL18gtsv_LBM_wv_kernelILj256ELj8E21rocsparse_complex_numIdEEEviiiPKT1_S5_S5_PS3_S6_S6_Pi.kd
    .uniform_work_group_size: 1
    .uses_dynamic_stack: false
    .vgpr_count:     80
    .vgpr_spill_count: 0
    .wavefront_size: 64
  - .args:
      - .offset:         0
        .size:           4
        .value_kind:     by_value
      - .offset:         4
        .size:           4
        .value_kind:     by_value
      - .offset:         8
        .size:           4
        .value_kind:     by_value
      - .actual_access:  read_only
        .address_space:  global
        .offset:         16
        .size:           8
        .value_kind:     global_buffer
      - .actual_access:  read_only
        .address_space:  global
        .offset:         24
        .size:           8
        .value_kind:     global_buffer
      - .actual_access:  read_only
        .address_space:  global
        .offset:         32
        .size:           8
        .value_kind:     global_buffer
      - .address_space:  global
        .offset:         40
        .size:           8
        .value_kind:     global_buffer
      - .actual_access:  read_only
        .address_space:  global
        .offset:         48
        .size:           8
        .value_kind:     global_buffer
      - .actual_access:  read_only
        .address_space:  global
        .offset:         56
        .size:           8
        .value_kind:     global_buffer
    .group_segment_fixed_size: 0
    .kernarg_segment_align: 8
    .kernarg_segment_size: 64
    .language:       OpenCL C
    .language_version:
      - 2
      - 0
    .max_flat_workgroup_size: 256
    .name:           _ZN9rocsparseL19gtsv_LBM_rhs_kernelILj256ELj8ELj8E21rocsparse_complex_numIdEEEviiiPKT2_S5_S5_PS3_S5_PKi
    .private_segment_fixed_size: 0
    .sgpr_count:     41
    .sgpr_spill_count: 0
    .symbol:         _ZN9rocsparseL19gtsv_LBM_rhs_kernelILj256ELj8ELj8E21rocsparse_complex_numIdEEEviiiPKT2_S5_S5_PS3_S5_PKi.kd
    .uniform_work_group_size: 1
    .uses_dynamic_stack: false
    .vgpr_count:     161
    .vgpr_spill_count: 0
    .wavefront_size: 64
  - .args:
      - .offset:         0
        .size:           4
        .value_kind:     by_value
      - .offset:         4
        .size:           4
        .value_kind:     by_value
      - .offset:         8
        .size:           4
        .value_kind:     by_value
      - .actual_access:  read_only
        .address_space:  global
        .offset:         16
        .size:           8
        .value_kind:     global_buffer
      - .actual_access:  read_only
        .address_space:  global
        .offset:         24
        .size:           8
        .value_kind:     global_buffer
      - .actual_access:  read_only
        .address_space:  global
        .offset:         32
        .size:           8
        .value_kind:     global_buffer
      - .address_space:  global
        .offset:         40
        .size:           8
        .value_kind:     global_buffer
      - .actual_access:  read_only
        .address_space:  global
        .offset:         48
        .size:           8
        .value_kind:     global_buffer
      - .actual_access:  read_only
        .address_space:  global
        .offset:         56
        .size:           8
        .value_kind:     global_buffer
    .group_segment_fixed_size: 0
    .kernarg_segment_align: 8
    .kernarg_segment_size: 64
    .language:       OpenCL C
    .language_version:
      - 2
      - 0
    .max_flat_workgroup_size: 256
    .name:           _ZN9rocsparseL19gtsv_LBM_rhs_kernelILj256ELj8ELj4E21rocsparse_complex_numIdEEEviiiPKT2_S5_S5_PS3_S5_PKi
    .private_segment_fixed_size: 0
    .sgpr_count:     36
    .sgpr_spill_count: 0
    .symbol:         _ZN9rocsparseL19gtsv_LBM_rhs_kernelILj256ELj8ELj4E21rocsparse_complex_numIdEEEviiiPKT2_S5_S5_PS3_S5_PKi.kd
    .uniform_work_group_size: 1
    .uses_dynamic_stack: false
    .vgpr_count:     93
    .vgpr_spill_count: 0
    .wavefront_size: 64
  - .args:
      - .offset:         0
        .size:           4
        .value_kind:     by_value
      - .offset:         4
        .size:           4
        .value_kind:     by_value
      - .offset:         8
        .size:           4
        .value_kind:     by_value
      - .actual_access:  read_only
        .address_space:  global
        .offset:         16
        .size:           8
        .value_kind:     global_buffer
      - .actual_access:  read_only
        .address_space:  global
        .offset:         24
        .size:           8
        .value_kind:     global_buffer
      - .actual_access:  read_only
        .address_space:  global
        .offset:         32
        .size:           8
        .value_kind:     global_buffer
      - .address_space:  global
        .offset:         40
        .size:           8
        .value_kind:     global_buffer
      - .actual_access:  read_only
        .address_space:  global
        .offset:         48
        .size:           8
        .value_kind:     global_buffer
      - .actual_access:  read_only
        .address_space:  global
        .offset:         56
        .size:           8
        .value_kind:     global_buffer
    .group_segment_fixed_size: 0
    .kernarg_segment_align: 8
    .kernarg_segment_size: 64
    .language:       OpenCL C
    .language_version:
      - 2
      - 0
    .max_flat_workgroup_size: 256
    .name:           _ZN9rocsparseL19gtsv_LBM_rhs_kernelILj256ELj8ELj2E21rocsparse_complex_numIdEEEviiiPKT2_S5_S5_PS3_S5_PKi
    .private_segment_fixed_size: 0
    .sgpr_count:     36
    .sgpr_spill_count: 0
    .symbol:         _ZN9rocsparseL19gtsv_LBM_rhs_kernelILj256ELj8ELj2E21rocsparse_complex_numIdEEEviiiPKT2_S5_S5_PS3_S5_PKi.kd
    .uniform_work_group_size: 1
    .uses_dynamic_stack: false
    .vgpr_count:     71
    .vgpr_spill_count: 0
    .wavefront_size: 64
  - .args:
      - .offset:         0
        .size:           4
        .value_kind:     by_value
      - .offset:         4
        .size:           4
        .value_kind:     by_value
      - .offset:         8
        .size:           4
        .value_kind:     by_value
      - .actual_access:  read_only
        .address_space:  global
        .offset:         16
        .size:           8
        .value_kind:     global_buffer
      - .actual_access:  read_only
        .address_space:  global
        .offset:         24
        .size:           8
        .value_kind:     global_buffer
      - .actual_access:  read_only
        .address_space:  global
        .offset:         32
        .size:           8
        .value_kind:     global_buffer
      - .address_space:  global
        .offset:         40
        .size:           8
        .value_kind:     global_buffer
      - .actual_access:  read_only
        .address_space:  global
        .offset:         48
        .size:           8
        .value_kind:     global_buffer
      - .actual_access:  read_only
        .address_space:  global
        .offset:         56
        .size:           8
        .value_kind:     global_buffer
    .group_segment_fixed_size: 0
    .kernarg_segment_align: 8
    .kernarg_segment_size: 64
    .language:       OpenCL C
    .language_version:
      - 2
      - 0
    .max_flat_workgroup_size: 256
    .name:           _ZN9rocsparseL19gtsv_LBM_rhs_kernelILj256ELj8ELj1E21rocsparse_complex_numIdEEEviiiPKT2_S5_S5_PS3_S5_PKi
    .private_segment_fixed_size: 0
    .sgpr_count:     32
    .sgpr_spill_count: 0
    .symbol:         _ZN9rocsparseL19gtsv_LBM_rhs_kernelILj256ELj8ELj1E21rocsparse_complex_numIdEEEviiiPKT2_S5_S5_PS3_S5_PKi.kd
    .uniform_work_group_size: 1
    .uses_dynamic_stack: false
    .vgpr_count:     58
    .vgpr_spill_count: 0
    .wavefront_size: 64
  - .args:
      - .offset:         0
        .size:           4
        .value_kind:     by_value
      - .offset:         4
        .size:           4
        .value_kind:     by_value
      - .offset:         8
        .size:           4
        .value_kind:     by_value
      - .address_space:  global
        .offset:         16
        .size:           8
        .value_kind:     global_buffer
      - .actual_access:  read_only
        .address_space:  global
        .offset:         24
        .size:           8
        .value_kind:     global_buffer
      - .actual_access:  read_only
        .address_space:  global
        .offset:         32
        .size:           8
        .value_kind:     global_buffer
      - .actual_access:  write_only
        .address_space:  global
        .offset:         40
        .size:           8
        .value_kind:     global_buffer
      - .actual_access:  write_only
        .address_space:  global
        .offset:         48
        .size:           8
        .value_kind:     global_buffer
      - .actual_access:  write_only
        .address_space:  global
        .offset:         56
        .size:           8
        .value_kind:     global_buffer
      - .actual_access:  write_only
        .address_space:  global
        .offset:         64
        .size:           8
        .value_kind:     global_buffer
      - .actual_access:  write_only
        .address_space:  global
        .offset:         72
        .size:           8
        .value_kind:     global_buffer
      - .offset:         80
        .size:           4
        .value_kind:     hidden_block_count_x
      - .offset:         84
        .size:           4
        .value_kind:     hidden_block_count_y
      - .offset:         88
        .size:           4
        .value_kind:     hidden_block_count_z
      - .offset:         92
        .size:           2
        .value_kind:     hidden_group_size_x
      - .offset:         94
        .size:           2
        .value_kind:     hidden_group_size_y
      - .offset:         96
        .size:           2
        .value_kind:     hidden_group_size_z
      - .offset:         98
        .size:           2
        .value_kind:     hidden_remainder_x
      - .offset:         100
        .size:           2
        .value_kind:     hidden_remainder_y
      - .offset:         102
        .size:           2
        .value_kind:     hidden_remainder_z
      - .offset:         120
        .size:           8
        .value_kind:     hidden_global_offset_x
      - .offset:         128
        .size:           8
        .value_kind:     hidden_global_offset_y
      - .offset:         136
        .size:           8
        .value_kind:     hidden_global_offset_z
      - .offset:         144
        .size:           2
        .value_kind:     hidden_grid_dims
    .group_segment_fixed_size: 24576
    .kernarg_segment_align: 8
    .kernarg_segment_size: 336
    .language:       OpenCL C
    .language_version:
      - 2
      - 0
    .max_flat_workgroup_size: 256
    .name:           _ZN9rocsparseL29gtsv_spike_block_level_kernelILj256ELj8E21rocsparse_complex_numIdEEEviiiPT1_PKS3_S6_S4_S4_S4_S4_S4_
    .private_segment_fixed_size: 0
    .sgpr_count:     30
    .sgpr_spill_count: 0
    .symbol:         _ZN9rocsparseL29gtsv_spike_block_level_kernelILj256ELj8E21rocsparse_complex_numIdEEEviiiPT1_PKS3_S6_S4_S4_S4_S4_S4_.kd
    .uniform_work_group_size: 1
    .uses_dynamic_stack: false
    .vgpr_count:     64
    .vgpr_spill_count: 0
    .wavefront_size: 64
  - .args:
      - .offset:         0
        .size:           4
        .value_kind:     by_value
      - .offset:         4
        .size:           4
        .value_kind:     by_value
      - .offset:         8
        .size:           4
        .value_kind:     by_value
      - .address_space:  global
        .offset:         16
        .size:           8
        .value_kind:     global_buffer
      - .actual_access:  read_only
        .address_space:  global
        .offset:         24
        .size:           8
        .value_kind:     global_buffer
      - .actual_access:  read_only
        .address_space:  global
        .offset:         32
        .size:           8
        .value_kind:     global_buffer
      - .actual_access:  read_only
        .address_space:  global
        .offset:         40
        .size:           8
        .value_kind:     global_buffer
      - .offset:         48
        .size:           4
        .value_kind:     hidden_block_count_x
      - .offset:         52
        .size:           4
        .value_kind:     hidden_block_count_y
      - .offset:         56
        .size:           4
        .value_kind:     hidden_block_count_z
      - .offset:         60
        .size:           2
        .value_kind:     hidden_group_size_x
      - .offset:         62
        .size:           2
        .value_kind:     hidden_group_size_y
      - .offset:         64
        .size:           2
        .value_kind:     hidden_group_size_z
      - .offset:         66
        .size:           2
        .value_kind:     hidden_remainder_x
      - .offset:         68
        .size:           2
        .value_kind:     hidden_remainder_y
      - .offset:         70
        .size:           2
        .value_kind:     hidden_remainder_z
      - .offset:         88
        .size:           8
        .value_kind:     hidden_global_offset_x
      - .offset:         96
        .size:           8
        .value_kind:     hidden_global_offset_y
      - .offset:         104
        .size:           8
        .value_kind:     hidden_global_offset_z
      - .offset:         112
        .size:           2
        .value_kind:     hidden_grid_dims
    .group_segment_fixed_size: 24608
    .kernarg_segment_align: 8
    .kernarg_segment_size: 304
    .language:       OpenCL C
    .language_version:
      - 2
      - 0
    .max_flat_workgroup_size: 256
    .name:           _ZN9rocsparseL33gtsv_solve_spike_propagate_kernelILj256ELj8E21rocsparse_complex_numIdEEEviiiPT1_PKS3_S6_S6_
    .private_segment_fixed_size: 0
    .sgpr_count:     26
    .sgpr_spill_count: 0
    .symbol:         _ZN9rocsparseL33gtsv_solve_spike_propagate_kernelILj256ELj8E21rocsparse_complex_numIdEEEviiiPT1_PKS3_S6_S6_.kd
    .uniform_work_group_size: 1
    .uses_dynamic_stack: false
    .vgpr_count:     43
    .vgpr_spill_count: 0
    .wavefront_size: 64
  - .args:
      - .offset:         0
        .size:           4
        .value_kind:     by_value
      - .offset:         4
        .size:           4
        .value_kind:     by_value
      - .offset:         8
        .size:           4
        .value_kind:     by_value
      - .address_space:  global
        .offset:         16
        .size:           8
        .value_kind:     global_buffer
      - .actual_access:  read_only
        .address_space:  global
        .offset:         24
        .size:           8
        .value_kind:     global_buffer
      - .actual_access:  read_only
        .address_space:  global
        .offset:         32
        .size:           8
        .value_kind:     global_buffer
    .group_segment_fixed_size: 0
    .kernarg_segment_align: 8
    .kernarg_segment_size: 40
    .language:       OpenCL C
    .language_version:
      - 2
      - 0
    .max_flat_workgroup_size: 256
    .name:           _ZN9rocsparseL39gtsv_spike_backward_substitution_kernelILj256ELj8E21rocsparse_complex_numIdEEEviiiPT1_PKS3_S6_
    .private_segment_fixed_size: 0
    .sgpr_count:     16
    .sgpr_spill_count: 0
    .symbol:         _ZN9rocsparseL39gtsv_spike_backward_substitution_kernelILj256ELj8E21rocsparse_complex_numIdEEEviiiPT1_PKS3_S6_.kd
    .uniform_work_group_size: 1
    .uses_dynamic_stack: false
    .vgpr_count:     23
    .vgpr_spill_count: 0
    .wavefront_size: 64
  - .args:
      - .offset:         0
        .size:           4
        .value_kind:     by_value
      - .offset:         4
        .size:           4
        .value_kind:     by_value
      - .offset:         8
        .size:           4
        .value_kind:     by_value
      - .actual_access:  read_only
        .address_space:  global
        .offset:         16
        .size:           8
        .value_kind:     global_buffer
      - .actual_access:  write_only
        .address_space:  global
        .offset:         24
        .size:           8
        .value_kind:     global_buffer
    .group_segment_fixed_size: 0
    .kernarg_segment_align: 8
    .kernarg_segment_size: 32
    .language:       OpenCL C
    .language_version:
      - 2
      - 0
    .max_flat_workgroup_size: 256
    .name:           _ZN9rocsparseL32gtsv_transpose_back_array_kernelILj256ELj8E21rocsparse_complex_numIdEEEviiiPKT1_PS3_
    .private_segment_fixed_size: 0
    .sgpr_count:     16
    .sgpr_spill_count: 0
    .symbol:         _ZN9rocsparseL32gtsv_transpose_back_array_kernelILj256ELj8E21rocsparse_complex_numIdEEEviiiPKT1_PS3_.kd
    .uniform_work_group_size: 1
    .uses_dynamic_stack: false
    .vgpr_count:     7
    .vgpr_spill_count: 0
    .wavefront_size: 64
  - .args:
      - .offset:         0
        .size:           4
        .value_kind:     by_value
      - .offset:         4
        .size:           4
        .value_kind:     by_value
      - .offset:         8
        .size:           4
        .value_kind:     by_value
      - .actual_access:  read_only
        .address_space:  global
        .offset:         16
        .size:           8
        .value_kind:     global_buffer
      - .actual_access:  write_only
        .address_space:  global
        .offset:         24
        .size:           8
        .value_kind:     global_buffer
      - .offset:         32
        .size:           16
        .value_kind:     by_value
    .group_segment_fixed_size: 4096
    .kernarg_segment_align: 8
    .kernarg_segment_size: 48
    .language:       OpenCL C
    .language_version:
      - 2
      - 0
    .max_flat_workgroup_size: 256
    .name:           _ZN9rocsparseL42gtsv_transpose_and_pad_array_shared_kernelILj256ELj16E21rocsparse_complex_numIdEEEviiiPKT1_PS3_S3_
    .private_segment_fixed_size: 0
    .sgpr_count:     20
    .sgpr_spill_count: 0
    .symbol:         _ZN9rocsparseL42gtsv_transpose_and_pad_array_shared_kernelILj256ELj16E21rocsparse_complex_numIdEEEviiiPKT1_PS3_S3_.kd
    .uniform_work_group_size: 1
    .uses_dynamic_stack: false
    .vgpr_count:     7
    .vgpr_spill_count: 0
    .wavefront_size: 64
  - .args:
      - .offset:         0
        .size:           4
        .value_kind:     by_value
      - .offset:         4
        .size:           4
        .value_kind:     by_value
      - .offset:         8
        .size:           4
        .value_kind:     by_value
      - .actual_access:  read_only
        .address_space:  global
        .offset:         16
        .size:           8
        .value_kind:     global_buffer
      - .actual_access:  read_only
        .address_space:  global
        .offset:         24
        .size:           8
        .value_kind:     global_buffer
      - .actual_access:  read_only
        .address_space:  global
        .offset:         32
        .size:           8
        .value_kind:     global_buffer
      - .address_space:  global
        .offset:         40
        .size:           8
        .value_kind:     global_buffer
      - .address_space:  global
        .offset:         48
        .size:           8
        .value_kind:     global_buffer
      - .address_space:  global
        .offset:         56
        .size:           8
        .value_kind:     global_buffer
      - .address_space:  global
        .offset:         64
        .size:           8
        .value_kind:     global_buffer
    .group_segment_fixed_size: 0
    .kernarg_segment_align: 8
    .kernarg_segment_size: 72
    .language:       OpenCL C
    .language_version:
      - 2
      - 0
    .max_flat_workgroup_size: 256
    .name:           _ZN9rocsparseL18gtsv_LBM_wv_kernelILj256ELj16E21rocsparse_complex_numIdEEEviiiPKT1_S5_S5_PS3_S6_S6_Pi
    .private_segment_fixed_size: 0
    .sgpr_count:     40
    .sgpr_spill_count: 0
    .symbol:         _ZN9rocsparseL18gtsv_LBM_wv_kernelILj256ELj16E21rocsparse_complex_numIdEEEviiiPKT1_S5_S5_PS3_S6_S6_Pi.kd
    .uniform_work_group_size: 1
    .uses_dynamic_stack: false
    .vgpr_count:     80
    .vgpr_spill_count: 0
    .wavefront_size: 64
  - .args:
      - .offset:         0
        .size:           4
        .value_kind:     by_value
      - .offset:         4
        .size:           4
        .value_kind:     by_value
      - .offset:         8
        .size:           4
        .value_kind:     by_value
      - .actual_access:  read_only
        .address_space:  global
        .offset:         16
        .size:           8
        .value_kind:     global_buffer
      - .actual_access:  read_only
        .address_space:  global
        .offset:         24
        .size:           8
        .value_kind:     global_buffer
      - .actual_access:  read_only
        .address_space:  global
        .offset:         32
        .size:           8
        .value_kind:     global_buffer
      - .address_space:  global
        .offset:         40
        .size:           8
        .value_kind:     global_buffer
      - .actual_access:  read_only
        .address_space:  global
        .offset:         48
        .size:           8
        .value_kind:     global_buffer
      - .actual_access:  read_only
        .address_space:  global
        .offset:         56
        .size:           8
        .value_kind:     global_buffer
    .group_segment_fixed_size: 0
    .kernarg_segment_align: 8
    .kernarg_segment_size: 64
    .language:       OpenCL C
    .language_version:
      - 2
      - 0
    .max_flat_workgroup_size: 256
    .name:           _ZN9rocsparseL19gtsv_LBM_rhs_kernelILj256ELj16ELj8E21rocsparse_complex_numIdEEEviiiPKT2_S5_S5_PS3_S5_PKi
    .private_segment_fixed_size: 0
    .sgpr_count:     41
    .sgpr_spill_count: 0
    .symbol:         _ZN9rocsparseL19gtsv_LBM_rhs_kernelILj256ELj16ELj8E21rocsparse_complex_numIdEEEviiiPKT2_S5_S5_PS3_S5_PKi.kd
    .uniform_work_group_size: 1
    .uses_dynamic_stack: false
    .vgpr_count:     161
    .vgpr_spill_count: 0
    .wavefront_size: 64
  - .args:
      - .offset:         0
        .size:           4
        .value_kind:     by_value
      - .offset:         4
        .size:           4
        .value_kind:     by_value
      - .offset:         8
        .size:           4
        .value_kind:     by_value
      - .actual_access:  read_only
        .address_space:  global
        .offset:         16
        .size:           8
        .value_kind:     global_buffer
      - .actual_access:  read_only
        .address_space:  global
        .offset:         24
        .size:           8
        .value_kind:     global_buffer
      - .actual_access:  read_only
        .address_space:  global
        .offset:         32
        .size:           8
        .value_kind:     global_buffer
      - .address_space:  global
        .offset:         40
        .size:           8
        .value_kind:     global_buffer
      - .actual_access:  read_only
        .address_space:  global
        .offset:         48
        .size:           8
        .value_kind:     global_buffer
      - .actual_access:  read_only
        .address_space:  global
        .offset:         56
        .size:           8
        .value_kind:     global_buffer
    .group_segment_fixed_size: 0
    .kernarg_segment_align: 8
    .kernarg_segment_size: 64
    .language:       OpenCL C
    .language_version:
      - 2
      - 0
    .max_flat_workgroup_size: 256
    .name:           _ZN9rocsparseL19gtsv_LBM_rhs_kernelILj256ELj16ELj4E21rocsparse_complex_numIdEEEviiiPKT2_S5_S5_PS3_S5_PKi
    .private_segment_fixed_size: 0
    .sgpr_count:     36
    .sgpr_spill_count: 0
    .symbol:         _ZN9rocsparseL19gtsv_LBM_rhs_kernelILj256ELj16ELj4E21rocsparse_complex_numIdEEEviiiPKT2_S5_S5_PS3_S5_PKi.kd
    .uniform_work_group_size: 1
    .uses_dynamic_stack: false
    .vgpr_count:     93
    .vgpr_spill_count: 0
    .wavefront_size: 64
  - .args:
      - .offset:         0
        .size:           4
        .value_kind:     by_value
      - .offset:         4
        .size:           4
        .value_kind:     by_value
      - .offset:         8
        .size:           4
        .value_kind:     by_value
      - .actual_access:  read_only
        .address_space:  global
        .offset:         16
        .size:           8
        .value_kind:     global_buffer
      - .actual_access:  read_only
        .address_space:  global
        .offset:         24
        .size:           8
        .value_kind:     global_buffer
      - .actual_access:  read_only
        .address_space:  global
        .offset:         32
        .size:           8
        .value_kind:     global_buffer
      - .address_space:  global
        .offset:         40
        .size:           8
        .value_kind:     global_buffer
      - .actual_access:  read_only
        .address_space:  global
        .offset:         48
        .size:           8
        .value_kind:     global_buffer
      - .actual_access:  read_only
        .address_space:  global
        .offset:         56
        .size:           8
        .value_kind:     global_buffer
    .group_segment_fixed_size: 0
    .kernarg_segment_align: 8
    .kernarg_segment_size: 64
    .language:       OpenCL C
    .language_version:
      - 2
      - 0
    .max_flat_workgroup_size: 256
    .name:           _ZN9rocsparseL19gtsv_LBM_rhs_kernelILj256ELj16ELj2E21rocsparse_complex_numIdEEEviiiPKT2_S5_S5_PS3_S5_PKi
    .private_segment_fixed_size: 0
    .sgpr_count:     36
    .sgpr_spill_count: 0
    .symbol:         _ZN9rocsparseL19gtsv_LBM_rhs_kernelILj256ELj16ELj2E21rocsparse_complex_numIdEEEviiiPKT2_S5_S5_PS3_S5_PKi.kd
    .uniform_work_group_size: 1
    .uses_dynamic_stack: false
    .vgpr_count:     71
    .vgpr_spill_count: 0
    .wavefront_size: 64
  - .args:
      - .offset:         0
        .size:           4
        .value_kind:     by_value
      - .offset:         4
        .size:           4
        .value_kind:     by_value
      - .offset:         8
        .size:           4
        .value_kind:     by_value
      - .actual_access:  read_only
        .address_space:  global
        .offset:         16
        .size:           8
        .value_kind:     global_buffer
      - .actual_access:  read_only
        .address_space:  global
        .offset:         24
        .size:           8
        .value_kind:     global_buffer
      - .actual_access:  read_only
        .address_space:  global
        .offset:         32
        .size:           8
        .value_kind:     global_buffer
      - .address_space:  global
        .offset:         40
        .size:           8
        .value_kind:     global_buffer
      - .actual_access:  read_only
        .address_space:  global
        .offset:         48
        .size:           8
        .value_kind:     global_buffer
      - .actual_access:  read_only
        .address_space:  global
        .offset:         56
        .size:           8
        .value_kind:     global_buffer
    .group_segment_fixed_size: 0
    .kernarg_segment_align: 8
    .kernarg_segment_size: 64
    .language:       OpenCL C
    .language_version:
      - 2
      - 0
    .max_flat_workgroup_size: 256
    .name:           _ZN9rocsparseL19gtsv_LBM_rhs_kernelILj256ELj16ELj1E21rocsparse_complex_numIdEEEviiiPKT2_S5_S5_PS3_S5_PKi
    .private_segment_fixed_size: 0
    .sgpr_count:     32
    .sgpr_spill_count: 0
    .symbol:         _ZN9rocsparseL19gtsv_LBM_rhs_kernelILj256ELj16ELj1E21rocsparse_complex_numIdEEEviiiPKT2_S5_S5_PS3_S5_PKi.kd
    .uniform_work_group_size: 1
    .uses_dynamic_stack: false
    .vgpr_count:     58
    .vgpr_spill_count: 0
    .wavefront_size: 64
  - .args:
      - .offset:         0
        .size:           4
        .value_kind:     by_value
      - .offset:         4
        .size:           4
        .value_kind:     by_value
      - .offset:         8
        .size:           4
        .value_kind:     by_value
      - .address_space:  global
        .offset:         16
        .size:           8
        .value_kind:     global_buffer
      - .actual_access:  read_only
        .address_space:  global
        .offset:         24
        .size:           8
        .value_kind:     global_buffer
      - .actual_access:  read_only
        .address_space:  global
        .offset:         32
        .size:           8
        .value_kind:     global_buffer
      - .actual_access:  write_only
        .address_space:  global
        .offset:         40
        .size:           8
        .value_kind:     global_buffer
      - .actual_access:  write_only
        .address_space:  global
        .offset:         48
        .size:           8
        .value_kind:     global_buffer
      - .actual_access:  write_only
        .address_space:  global
        .offset:         56
        .size:           8
        .value_kind:     global_buffer
      - .actual_access:  write_only
        .address_space:  global
        .offset:         64
        .size:           8
        .value_kind:     global_buffer
      - .actual_access:  write_only
        .address_space:  global
        .offset:         72
        .size:           8
        .value_kind:     global_buffer
      - .offset:         80
        .size:           4
        .value_kind:     hidden_block_count_x
      - .offset:         84
        .size:           4
        .value_kind:     hidden_block_count_y
      - .offset:         88
        .size:           4
        .value_kind:     hidden_block_count_z
      - .offset:         92
        .size:           2
        .value_kind:     hidden_group_size_x
      - .offset:         94
        .size:           2
        .value_kind:     hidden_group_size_y
      - .offset:         96
        .size:           2
        .value_kind:     hidden_group_size_z
      - .offset:         98
        .size:           2
        .value_kind:     hidden_remainder_x
      - .offset:         100
        .size:           2
        .value_kind:     hidden_remainder_y
      - .offset:         102
        .size:           2
        .value_kind:     hidden_remainder_z
      - .offset:         120
        .size:           8
        .value_kind:     hidden_global_offset_x
      - .offset:         128
        .size:           8
        .value_kind:     hidden_global_offset_y
      - .offset:         136
        .size:           8
        .value_kind:     hidden_global_offset_z
      - .offset:         144
        .size:           2
        .value_kind:     hidden_grid_dims
    .group_segment_fixed_size: 24576
    .kernarg_segment_align: 8
    .kernarg_segment_size: 336
    .language:       OpenCL C
    .language_version:
      - 2
      - 0
    .max_flat_workgroup_size: 256
    .name:           _ZN9rocsparseL29gtsv_spike_block_level_kernelILj256ELj16E21rocsparse_complex_numIdEEEviiiPT1_PKS3_S6_S4_S4_S4_S4_S4_
    .private_segment_fixed_size: 0
    .sgpr_count:     30
    .sgpr_spill_count: 0
    .symbol:         _ZN9rocsparseL29gtsv_spike_block_level_kernelILj256ELj16E21rocsparse_complex_numIdEEEviiiPT1_PKS3_S6_S4_S4_S4_S4_S4_.kd
    .uniform_work_group_size: 1
    .uses_dynamic_stack: false
    .vgpr_count:     64
    .vgpr_spill_count: 0
    .wavefront_size: 64
  - .args:
      - .offset:         0
        .size:           4
        .value_kind:     by_value
      - .offset:         4
        .size:           4
        .value_kind:     by_value
      - .offset:         8
        .size:           4
        .value_kind:     by_value
      - .address_space:  global
        .offset:         16
        .size:           8
        .value_kind:     global_buffer
      - .actual_access:  read_only
        .address_space:  global
        .offset:         24
        .size:           8
        .value_kind:     global_buffer
      - .actual_access:  read_only
        .address_space:  global
        .offset:         32
        .size:           8
        .value_kind:     global_buffer
      - .actual_access:  read_only
        .address_space:  global
        .offset:         40
        .size:           8
        .value_kind:     global_buffer
      - .offset:         48
        .size:           4
        .value_kind:     hidden_block_count_x
      - .offset:         52
        .size:           4
        .value_kind:     hidden_block_count_y
      - .offset:         56
        .size:           4
        .value_kind:     hidden_block_count_z
      - .offset:         60
        .size:           2
        .value_kind:     hidden_group_size_x
      - .offset:         62
        .size:           2
        .value_kind:     hidden_group_size_y
      - .offset:         64
        .size:           2
        .value_kind:     hidden_group_size_z
      - .offset:         66
        .size:           2
        .value_kind:     hidden_remainder_x
      - .offset:         68
        .size:           2
        .value_kind:     hidden_remainder_y
      - .offset:         70
        .size:           2
        .value_kind:     hidden_remainder_z
      - .offset:         88
        .size:           8
        .value_kind:     hidden_global_offset_x
      - .offset:         96
        .size:           8
        .value_kind:     hidden_global_offset_y
      - .offset:         104
        .size:           8
        .value_kind:     hidden_global_offset_z
      - .offset:         112
        .size:           2
        .value_kind:     hidden_grid_dims
    .group_segment_fixed_size: 24608
    .kernarg_segment_align: 8
    .kernarg_segment_size: 304
    .language:       OpenCL C
    .language_version:
      - 2
      - 0
    .max_flat_workgroup_size: 256
    .name:           _ZN9rocsparseL33gtsv_solve_spike_propagate_kernelILj256ELj16E21rocsparse_complex_numIdEEEviiiPT1_PKS3_S6_S6_
    .private_segment_fixed_size: 0
    .sgpr_count:     26
    .sgpr_spill_count: 0
    .symbol:         _ZN9rocsparseL33gtsv_solve_spike_propagate_kernelILj256ELj16E21rocsparse_complex_numIdEEEviiiPT1_PKS3_S6_S6_.kd
    .uniform_work_group_size: 1
    .uses_dynamic_stack: false
    .vgpr_count:     43
    .vgpr_spill_count: 0
    .wavefront_size: 64
  - .args:
      - .offset:         0
        .size:           4
        .value_kind:     by_value
      - .offset:         4
        .size:           4
        .value_kind:     by_value
      - .offset:         8
        .size:           4
        .value_kind:     by_value
      - .address_space:  global
        .offset:         16
        .size:           8
        .value_kind:     global_buffer
      - .actual_access:  read_only
        .address_space:  global
        .offset:         24
        .size:           8
        .value_kind:     global_buffer
      - .actual_access:  read_only
        .address_space:  global
        .offset:         32
        .size:           8
        .value_kind:     global_buffer
    .group_segment_fixed_size: 0
    .kernarg_segment_align: 8
    .kernarg_segment_size: 40
    .language:       OpenCL C
    .language_version:
      - 2
      - 0
    .max_flat_workgroup_size: 256
    .name:           _ZN9rocsparseL39gtsv_spike_backward_substitution_kernelILj256ELj16E21rocsparse_complex_numIdEEEviiiPT1_PKS3_S6_
    .private_segment_fixed_size: 0
    .sgpr_count:     17
    .sgpr_spill_count: 0
    .symbol:         _ZN9rocsparseL39gtsv_spike_backward_substitution_kernelILj256ELj16E21rocsparse_complex_numIdEEEviiiPT1_PKS3_S6_.kd
    .uniform_work_group_size: 1
    .uses_dynamic_stack: false
    .vgpr_count:     28
    .vgpr_spill_count: 0
    .wavefront_size: 64
  - .args:
      - .offset:         0
        .size:           4
        .value_kind:     by_value
      - .offset:         4
        .size:           4
        .value_kind:     by_value
      - .offset:         8
        .size:           4
        .value_kind:     by_value
      - .actual_access:  read_only
        .address_space:  global
        .offset:         16
        .size:           8
        .value_kind:     global_buffer
      - .actual_access:  write_only
        .address_space:  global
        .offset:         24
        .size:           8
        .value_kind:     global_buffer
    .group_segment_fixed_size: 0
    .kernarg_segment_align: 8
    .kernarg_segment_size: 32
    .language:       OpenCL C
    .language_version:
      - 2
      - 0
    .max_flat_workgroup_size: 256
    .name:           _ZN9rocsparseL32gtsv_transpose_back_array_kernelILj256ELj16E21rocsparse_complex_numIdEEEviiiPKT1_PS3_
    .private_segment_fixed_size: 0
    .sgpr_count:     16
    .sgpr_spill_count: 0
    .symbol:         _ZN9rocsparseL32gtsv_transpose_back_array_kernelILj256ELj16E21rocsparse_complex_numIdEEEviiiPKT1_PS3_.kd
    .uniform_work_group_size: 1
    .uses_dynamic_stack: false
    .vgpr_count:     7
    .vgpr_spill_count: 0
    .wavefront_size: 64
  - .args:
      - .offset:         0
        .size:           4
        .value_kind:     by_value
      - .offset:         4
        .size:           4
        .value_kind:     by_value
      - .offset:         8
        .size:           4
        .value_kind:     by_value
      - .actual_access:  read_only
        .address_space:  global
        .offset:         16
        .size:           8
        .value_kind:     global_buffer
      - .actual_access:  write_only
        .address_space:  global
        .offset:         24
        .size:           8
        .value_kind:     global_buffer
      - .offset:         32
        .size:           16
        .value_kind:     by_value
    .group_segment_fixed_size: 4096
    .kernarg_segment_align: 8
    .kernarg_segment_size: 48
    .language:       OpenCL C
    .language_version:
      - 2
      - 0
    .max_flat_workgroup_size: 256
    .name:           _ZN9rocsparseL42gtsv_transpose_and_pad_array_shared_kernelILj256ELj32E21rocsparse_complex_numIdEEEviiiPKT1_PS3_S3_
    .private_segment_fixed_size: 0
    .sgpr_count:     20
    .sgpr_spill_count: 0
    .symbol:         _ZN9rocsparseL42gtsv_transpose_and_pad_array_shared_kernelILj256ELj32E21rocsparse_complex_numIdEEEviiiPKT1_PS3_S3_.kd
    .uniform_work_group_size: 1
    .uses_dynamic_stack: false
    .vgpr_count:     7
    .vgpr_spill_count: 0
    .wavefront_size: 64
  - .args:
      - .offset:         0
        .size:           4
        .value_kind:     by_value
      - .offset:         4
        .size:           4
        .value_kind:     by_value
      - .offset:         8
        .size:           4
        .value_kind:     by_value
      - .actual_access:  read_only
        .address_space:  global
        .offset:         16
        .size:           8
        .value_kind:     global_buffer
      - .actual_access:  read_only
        .address_space:  global
        .offset:         24
        .size:           8
        .value_kind:     global_buffer
      - .actual_access:  read_only
        .address_space:  global
        .offset:         32
        .size:           8
        .value_kind:     global_buffer
      - .address_space:  global
        .offset:         40
        .size:           8
        .value_kind:     global_buffer
      - .address_space:  global
        .offset:         48
        .size:           8
        .value_kind:     global_buffer
      - .address_space:  global
        .offset:         56
        .size:           8
        .value_kind:     global_buffer
      - .address_space:  global
        .offset:         64
        .size:           8
        .value_kind:     global_buffer
    .group_segment_fixed_size: 0
    .kernarg_segment_align: 8
    .kernarg_segment_size: 72
    .language:       OpenCL C
    .language_version:
      - 2
      - 0
    .max_flat_workgroup_size: 256
    .name:           _ZN9rocsparseL18gtsv_LBM_wv_kernelILj256ELj32E21rocsparse_complex_numIdEEEviiiPKT1_S5_S5_PS3_S6_S6_Pi
    .private_segment_fixed_size: 0
    .sgpr_count:     40
    .sgpr_spill_count: 0
    .symbol:         _ZN9rocsparseL18gtsv_LBM_wv_kernelILj256ELj32E21rocsparse_complex_numIdEEEviiiPKT1_S5_S5_PS3_S6_S6_Pi.kd
    .uniform_work_group_size: 1
    .uses_dynamic_stack: false
    .vgpr_count:     80
    .vgpr_spill_count: 0
    .wavefront_size: 64
  - .args:
      - .offset:         0
        .size:           4
        .value_kind:     by_value
      - .offset:         4
        .size:           4
        .value_kind:     by_value
      - .offset:         8
        .size:           4
        .value_kind:     by_value
      - .actual_access:  read_only
        .address_space:  global
        .offset:         16
        .size:           8
        .value_kind:     global_buffer
      - .actual_access:  read_only
        .address_space:  global
        .offset:         24
        .size:           8
        .value_kind:     global_buffer
      - .actual_access:  read_only
        .address_space:  global
        .offset:         32
        .size:           8
        .value_kind:     global_buffer
      - .address_space:  global
        .offset:         40
        .size:           8
        .value_kind:     global_buffer
      - .actual_access:  read_only
        .address_space:  global
        .offset:         48
        .size:           8
        .value_kind:     global_buffer
      - .actual_access:  read_only
        .address_space:  global
        .offset:         56
        .size:           8
        .value_kind:     global_buffer
    .group_segment_fixed_size: 0
    .kernarg_segment_align: 8
    .kernarg_segment_size: 64
    .language:       OpenCL C
    .language_version:
      - 2
      - 0
    .max_flat_workgroup_size: 256
    .name:           _ZN9rocsparseL19gtsv_LBM_rhs_kernelILj256ELj32ELj8E21rocsparse_complex_numIdEEEviiiPKT2_S5_S5_PS3_S5_PKi
    .private_segment_fixed_size: 0
    .sgpr_count:     41
    .sgpr_spill_count: 0
    .symbol:         _ZN9rocsparseL19gtsv_LBM_rhs_kernelILj256ELj32ELj8E21rocsparse_complex_numIdEEEviiiPKT2_S5_S5_PS3_S5_PKi.kd
    .uniform_work_group_size: 1
    .uses_dynamic_stack: false
    .vgpr_count:     161
    .vgpr_spill_count: 0
    .wavefront_size: 64
  - .args:
      - .offset:         0
        .size:           4
        .value_kind:     by_value
      - .offset:         4
        .size:           4
        .value_kind:     by_value
      - .offset:         8
        .size:           4
        .value_kind:     by_value
      - .actual_access:  read_only
        .address_space:  global
        .offset:         16
        .size:           8
        .value_kind:     global_buffer
      - .actual_access:  read_only
        .address_space:  global
        .offset:         24
        .size:           8
        .value_kind:     global_buffer
      - .actual_access:  read_only
        .address_space:  global
        .offset:         32
        .size:           8
        .value_kind:     global_buffer
      - .address_space:  global
        .offset:         40
        .size:           8
        .value_kind:     global_buffer
      - .actual_access:  read_only
        .address_space:  global
        .offset:         48
        .size:           8
        .value_kind:     global_buffer
      - .actual_access:  read_only
        .address_space:  global
        .offset:         56
        .size:           8
        .value_kind:     global_buffer
    .group_segment_fixed_size: 0
    .kernarg_segment_align: 8
    .kernarg_segment_size: 64
    .language:       OpenCL C
    .language_version:
      - 2
      - 0
    .max_flat_workgroup_size: 256
    .name:           _ZN9rocsparseL19gtsv_LBM_rhs_kernelILj256ELj32ELj4E21rocsparse_complex_numIdEEEviiiPKT2_S5_S5_PS3_S5_PKi
    .private_segment_fixed_size: 0
    .sgpr_count:     36
    .sgpr_spill_count: 0
    .symbol:         _ZN9rocsparseL19gtsv_LBM_rhs_kernelILj256ELj32ELj4E21rocsparse_complex_numIdEEEviiiPKT2_S5_S5_PS3_S5_PKi.kd
    .uniform_work_group_size: 1
    .uses_dynamic_stack: false
    .vgpr_count:     93
    .vgpr_spill_count: 0
    .wavefront_size: 64
  - .args:
      - .offset:         0
        .size:           4
        .value_kind:     by_value
      - .offset:         4
        .size:           4
        .value_kind:     by_value
      - .offset:         8
        .size:           4
        .value_kind:     by_value
      - .actual_access:  read_only
        .address_space:  global
        .offset:         16
        .size:           8
        .value_kind:     global_buffer
      - .actual_access:  read_only
        .address_space:  global
        .offset:         24
        .size:           8
        .value_kind:     global_buffer
      - .actual_access:  read_only
        .address_space:  global
        .offset:         32
        .size:           8
        .value_kind:     global_buffer
      - .address_space:  global
        .offset:         40
        .size:           8
        .value_kind:     global_buffer
      - .actual_access:  read_only
        .address_space:  global
        .offset:         48
        .size:           8
        .value_kind:     global_buffer
      - .actual_access:  read_only
        .address_space:  global
        .offset:         56
        .size:           8
        .value_kind:     global_buffer
    .group_segment_fixed_size: 0
    .kernarg_segment_align: 8
    .kernarg_segment_size: 64
    .language:       OpenCL C
    .language_version:
      - 2
      - 0
    .max_flat_workgroup_size: 256
    .name:           _ZN9rocsparseL19gtsv_LBM_rhs_kernelILj256ELj32ELj2E21rocsparse_complex_numIdEEEviiiPKT2_S5_S5_PS3_S5_PKi
    .private_segment_fixed_size: 0
    .sgpr_count:     36
    .sgpr_spill_count: 0
    .symbol:         _ZN9rocsparseL19gtsv_LBM_rhs_kernelILj256ELj32ELj2E21rocsparse_complex_numIdEEEviiiPKT2_S5_S5_PS3_S5_PKi.kd
    .uniform_work_group_size: 1
    .uses_dynamic_stack: false
    .vgpr_count:     71
    .vgpr_spill_count: 0
    .wavefront_size: 64
  - .args:
      - .offset:         0
        .size:           4
        .value_kind:     by_value
      - .offset:         4
        .size:           4
        .value_kind:     by_value
      - .offset:         8
        .size:           4
        .value_kind:     by_value
      - .actual_access:  read_only
        .address_space:  global
        .offset:         16
        .size:           8
        .value_kind:     global_buffer
      - .actual_access:  read_only
        .address_space:  global
        .offset:         24
        .size:           8
        .value_kind:     global_buffer
      - .actual_access:  read_only
        .address_space:  global
        .offset:         32
        .size:           8
        .value_kind:     global_buffer
      - .address_space:  global
        .offset:         40
        .size:           8
        .value_kind:     global_buffer
      - .actual_access:  read_only
        .address_space:  global
        .offset:         48
        .size:           8
        .value_kind:     global_buffer
      - .actual_access:  read_only
        .address_space:  global
        .offset:         56
        .size:           8
        .value_kind:     global_buffer
    .group_segment_fixed_size: 0
    .kernarg_segment_align: 8
    .kernarg_segment_size: 64
    .language:       OpenCL C
    .language_version:
      - 2
      - 0
    .max_flat_workgroup_size: 256
    .name:           _ZN9rocsparseL19gtsv_LBM_rhs_kernelILj256ELj32ELj1E21rocsparse_complex_numIdEEEviiiPKT2_S5_S5_PS3_S5_PKi
    .private_segment_fixed_size: 0
    .sgpr_count:     32
    .sgpr_spill_count: 0
    .symbol:         _ZN9rocsparseL19gtsv_LBM_rhs_kernelILj256ELj32ELj1E21rocsparse_complex_numIdEEEviiiPKT2_S5_S5_PS3_S5_PKi.kd
    .uniform_work_group_size: 1
    .uses_dynamic_stack: false
    .vgpr_count:     58
    .vgpr_spill_count: 0
    .wavefront_size: 64
  - .args:
      - .offset:         0
        .size:           4
        .value_kind:     by_value
      - .offset:         4
        .size:           4
        .value_kind:     by_value
      - .offset:         8
        .size:           4
        .value_kind:     by_value
      - .address_space:  global
        .offset:         16
        .size:           8
        .value_kind:     global_buffer
      - .actual_access:  read_only
        .address_space:  global
        .offset:         24
        .size:           8
        .value_kind:     global_buffer
      - .actual_access:  read_only
        .address_space:  global
        .offset:         32
        .size:           8
        .value_kind:     global_buffer
      - .actual_access:  write_only
        .address_space:  global
        .offset:         40
        .size:           8
        .value_kind:     global_buffer
      - .actual_access:  write_only
        .address_space:  global
        .offset:         48
        .size:           8
        .value_kind:     global_buffer
      - .actual_access:  write_only
        .address_space:  global
        .offset:         56
        .size:           8
        .value_kind:     global_buffer
      - .actual_access:  write_only
        .address_space:  global
        .offset:         64
        .size:           8
        .value_kind:     global_buffer
      - .actual_access:  write_only
        .address_space:  global
        .offset:         72
        .size:           8
        .value_kind:     global_buffer
      - .offset:         80
        .size:           4
        .value_kind:     hidden_block_count_x
      - .offset:         84
        .size:           4
        .value_kind:     hidden_block_count_y
      - .offset:         88
        .size:           4
        .value_kind:     hidden_block_count_z
      - .offset:         92
        .size:           2
        .value_kind:     hidden_group_size_x
      - .offset:         94
        .size:           2
        .value_kind:     hidden_group_size_y
      - .offset:         96
        .size:           2
        .value_kind:     hidden_group_size_z
      - .offset:         98
        .size:           2
        .value_kind:     hidden_remainder_x
      - .offset:         100
        .size:           2
        .value_kind:     hidden_remainder_y
      - .offset:         102
        .size:           2
        .value_kind:     hidden_remainder_z
      - .offset:         120
        .size:           8
        .value_kind:     hidden_global_offset_x
      - .offset:         128
        .size:           8
        .value_kind:     hidden_global_offset_y
      - .offset:         136
        .size:           8
        .value_kind:     hidden_global_offset_z
      - .offset:         144
        .size:           2
        .value_kind:     hidden_grid_dims
    .group_segment_fixed_size: 24576
    .kernarg_segment_align: 8
    .kernarg_segment_size: 336
    .language:       OpenCL C
    .language_version:
      - 2
      - 0
    .max_flat_workgroup_size: 256
    .name:           _ZN9rocsparseL29gtsv_spike_block_level_kernelILj256ELj32E21rocsparse_complex_numIdEEEviiiPT1_PKS3_S6_S4_S4_S4_S4_S4_
    .private_segment_fixed_size: 0
    .sgpr_count:     30
    .sgpr_spill_count: 0
    .symbol:         _ZN9rocsparseL29gtsv_spike_block_level_kernelILj256ELj32E21rocsparse_complex_numIdEEEviiiPT1_PKS3_S6_S4_S4_S4_S4_S4_.kd
    .uniform_work_group_size: 1
    .uses_dynamic_stack: false
    .vgpr_count:     64
    .vgpr_spill_count: 0
    .wavefront_size: 64
  - .args:
      - .offset:         0
        .size:           4
        .value_kind:     by_value
      - .offset:         4
        .size:           4
        .value_kind:     by_value
      - .offset:         8
        .size:           4
        .value_kind:     by_value
      - .address_space:  global
        .offset:         16
        .size:           8
        .value_kind:     global_buffer
      - .actual_access:  read_only
        .address_space:  global
        .offset:         24
        .size:           8
        .value_kind:     global_buffer
      - .actual_access:  read_only
        .address_space:  global
        .offset:         32
        .size:           8
        .value_kind:     global_buffer
      - .actual_access:  read_only
        .address_space:  global
        .offset:         40
        .size:           8
        .value_kind:     global_buffer
      - .offset:         48
        .size:           4
        .value_kind:     hidden_block_count_x
      - .offset:         52
        .size:           4
        .value_kind:     hidden_block_count_y
      - .offset:         56
        .size:           4
        .value_kind:     hidden_block_count_z
      - .offset:         60
        .size:           2
        .value_kind:     hidden_group_size_x
      - .offset:         62
        .size:           2
        .value_kind:     hidden_group_size_y
      - .offset:         64
        .size:           2
        .value_kind:     hidden_group_size_z
      - .offset:         66
        .size:           2
        .value_kind:     hidden_remainder_x
      - .offset:         68
        .size:           2
        .value_kind:     hidden_remainder_y
      - .offset:         70
        .size:           2
        .value_kind:     hidden_remainder_z
      - .offset:         88
        .size:           8
        .value_kind:     hidden_global_offset_x
      - .offset:         96
        .size:           8
        .value_kind:     hidden_global_offset_y
      - .offset:         104
        .size:           8
        .value_kind:     hidden_global_offset_z
      - .offset:         112
        .size:           2
        .value_kind:     hidden_grid_dims
    .group_segment_fixed_size: 24608
    .kernarg_segment_align: 8
    .kernarg_segment_size: 304
    .language:       OpenCL C
    .language_version:
      - 2
      - 0
    .max_flat_workgroup_size: 256
    .name:           _ZN9rocsparseL33gtsv_solve_spike_propagate_kernelILj256ELj32E21rocsparse_complex_numIdEEEviiiPT1_PKS3_S6_S6_
    .private_segment_fixed_size: 0
    .sgpr_count:     26
    .sgpr_spill_count: 0
    .symbol:         _ZN9rocsparseL33gtsv_solve_spike_propagate_kernelILj256ELj32E21rocsparse_complex_numIdEEEviiiPT1_PKS3_S6_S6_.kd
    .uniform_work_group_size: 1
    .uses_dynamic_stack: false
    .vgpr_count:     43
    .vgpr_spill_count: 0
    .wavefront_size: 64
  - .args:
      - .offset:         0
        .size:           4
        .value_kind:     by_value
      - .offset:         4
        .size:           4
        .value_kind:     by_value
      - .offset:         8
        .size:           4
        .value_kind:     by_value
      - .address_space:  global
        .offset:         16
        .size:           8
        .value_kind:     global_buffer
      - .actual_access:  read_only
        .address_space:  global
        .offset:         24
        .size:           8
        .value_kind:     global_buffer
      - .actual_access:  read_only
        .address_space:  global
        .offset:         32
        .size:           8
        .value_kind:     global_buffer
    .group_segment_fixed_size: 0
    .kernarg_segment_align: 8
    .kernarg_segment_size: 40
    .language:       OpenCL C
    .language_version:
      - 2
      - 0
    .max_flat_workgroup_size: 256
    .name:           _ZN9rocsparseL39gtsv_spike_backward_substitution_kernelILj256ELj32E21rocsparse_complex_numIdEEEviiiPT1_PKS3_S6_
    .private_segment_fixed_size: 0
    .sgpr_count:     17
    .sgpr_spill_count: 0
    .symbol:         _ZN9rocsparseL39gtsv_spike_backward_substitution_kernelILj256ELj32E21rocsparse_complex_numIdEEEviiiPT1_PKS3_S6_.kd
    .uniform_work_group_size: 1
    .uses_dynamic_stack: false
    .vgpr_count:     29
    .vgpr_spill_count: 0
    .wavefront_size: 64
  - .args:
      - .offset:         0
        .size:           4
        .value_kind:     by_value
      - .offset:         4
        .size:           4
        .value_kind:     by_value
      - .offset:         8
        .size:           4
        .value_kind:     by_value
      - .actual_access:  read_only
        .address_space:  global
        .offset:         16
        .size:           8
        .value_kind:     global_buffer
      - .actual_access:  write_only
        .address_space:  global
        .offset:         24
        .size:           8
        .value_kind:     global_buffer
    .group_segment_fixed_size: 0
    .kernarg_segment_align: 8
    .kernarg_segment_size: 32
    .language:       OpenCL C
    .language_version:
      - 2
      - 0
    .max_flat_workgroup_size: 256
    .name:           _ZN9rocsparseL32gtsv_transpose_back_array_kernelILj256ELj32E21rocsparse_complex_numIdEEEviiiPKT1_PS3_
    .private_segment_fixed_size: 0
    .sgpr_count:     16
    .sgpr_spill_count: 0
    .symbol:         _ZN9rocsparseL32gtsv_transpose_back_array_kernelILj256ELj32E21rocsparse_complex_numIdEEEviiiPKT1_PS3_.kd
    .uniform_work_group_size: 1
    .uses_dynamic_stack: false
    .vgpr_count:     7
    .vgpr_spill_count: 0
    .wavefront_size: 64
  - .args:
      - .offset:         0
        .size:           4
        .value_kind:     by_value
      - .offset:         4
        .size:           4
        .value_kind:     by_value
      - .offset:         8
        .size:           4
        .value_kind:     by_value
      - .actual_access:  read_only
        .address_space:  global
        .offset:         16
        .size:           8
        .value_kind:     global_buffer
      - .actual_access:  write_only
        .address_space:  global
        .offset:         24
        .size:           8
        .value_kind:     global_buffer
      - .offset:         32
        .size:           16
        .value_kind:     by_value
    .group_segment_fixed_size: 4096
    .kernarg_segment_align: 8
    .kernarg_segment_size: 48
    .language:       OpenCL C
    .language_version:
      - 2
      - 0
    .max_flat_workgroup_size: 256
    .name:           _ZN9rocsparseL42gtsv_transpose_and_pad_array_shared_kernelILj256ELj64E21rocsparse_complex_numIdEEEviiiPKT1_PS3_S3_
    .private_segment_fixed_size: 0
    .sgpr_count:     20
    .sgpr_spill_count: 0
    .symbol:         _ZN9rocsparseL42gtsv_transpose_and_pad_array_shared_kernelILj256ELj64E21rocsparse_complex_numIdEEEviiiPKT1_PS3_S3_.kd
    .uniform_work_group_size: 1
    .uses_dynamic_stack: false
    .vgpr_count:     7
    .vgpr_spill_count: 0
    .wavefront_size: 64
  - .args:
      - .offset:         0
        .size:           4
        .value_kind:     by_value
      - .offset:         4
        .size:           4
        .value_kind:     by_value
      - .offset:         8
        .size:           4
        .value_kind:     by_value
      - .actual_access:  read_only
        .address_space:  global
        .offset:         16
        .size:           8
        .value_kind:     global_buffer
      - .actual_access:  read_only
        .address_space:  global
        .offset:         24
        .size:           8
        .value_kind:     global_buffer
      - .actual_access:  read_only
        .address_space:  global
        .offset:         32
        .size:           8
        .value_kind:     global_buffer
      - .address_space:  global
        .offset:         40
        .size:           8
        .value_kind:     global_buffer
      - .address_space:  global
        .offset:         48
        .size:           8
        .value_kind:     global_buffer
      - .address_space:  global
        .offset:         56
        .size:           8
        .value_kind:     global_buffer
      - .address_space:  global
        .offset:         64
        .size:           8
        .value_kind:     global_buffer
    .group_segment_fixed_size: 0
    .kernarg_segment_align: 8
    .kernarg_segment_size: 72
    .language:       OpenCL C
    .language_version:
      - 2
      - 0
    .max_flat_workgroup_size: 256
    .name:           _ZN9rocsparseL18gtsv_LBM_wv_kernelILj256ELj64E21rocsparse_complex_numIdEEEviiiPKT1_S5_S5_PS3_S6_S6_Pi
    .private_segment_fixed_size: 0
    .sgpr_count:     40
    .sgpr_spill_count: 0
    .symbol:         _ZN9rocsparseL18gtsv_LBM_wv_kernelILj256ELj64E21rocsparse_complex_numIdEEEviiiPKT1_S5_S5_PS3_S6_S6_Pi.kd
    .uniform_work_group_size: 1
    .uses_dynamic_stack: false
    .vgpr_count:     80
    .vgpr_spill_count: 0
    .wavefront_size: 64
  - .args:
      - .offset:         0
        .size:           4
        .value_kind:     by_value
      - .offset:         4
        .size:           4
        .value_kind:     by_value
      - .offset:         8
        .size:           4
        .value_kind:     by_value
      - .actual_access:  read_only
        .address_space:  global
        .offset:         16
        .size:           8
        .value_kind:     global_buffer
      - .actual_access:  read_only
        .address_space:  global
        .offset:         24
        .size:           8
        .value_kind:     global_buffer
      - .actual_access:  read_only
        .address_space:  global
        .offset:         32
        .size:           8
        .value_kind:     global_buffer
      - .address_space:  global
        .offset:         40
        .size:           8
        .value_kind:     global_buffer
      - .actual_access:  read_only
        .address_space:  global
        .offset:         48
        .size:           8
        .value_kind:     global_buffer
      - .actual_access:  read_only
        .address_space:  global
        .offset:         56
        .size:           8
        .value_kind:     global_buffer
    .group_segment_fixed_size: 0
    .kernarg_segment_align: 8
    .kernarg_segment_size: 64
    .language:       OpenCL C
    .language_version:
      - 2
      - 0
    .max_flat_workgroup_size: 256
    .name:           _ZN9rocsparseL19gtsv_LBM_rhs_kernelILj256ELj64ELj8E21rocsparse_complex_numIdEEEviiiPKT2_S5_S5_PS3_S5_PKi
    .private_segment_fixed_size: 0
    .sgpr_count:     41
    .sgpr_spill_count: 0
    .symbol:         _ZN9rocsparseL19gtsv_LBM_rhs_kernelILj256ELj64ELj8E21rocsparse_complex_numIdEEEviiiPKT2_S5_S5_PS3_S5_PKi.kd
    .uniform_work_group_size: 1
    .uses_dynamic_stack: false
    .vgpr_count:     161
    .vgpr_spill_count: 0
    .wavefront_size: 64
  - .args:
      - .offset:         0
        .size:           4
        .value_kind:     by_value
      - .offset:         4
        .size:           4
        .value_kind:     by_value
      - .offset:         8
        .size:           4
        .value_kind:     by_value
      - .actual_access:  read_only
        .address_space:  global
        .offset:         16
        .size:           8
        .value_kind:     global_buffer
      - .actual_access:  read_only
        .address_space:  global
        .offset:         24
        .size:           8
        .value_kind:     global_buffer
      - .actual_access:  read_only
        .address_space:  global
        .offset:         32
        .size:           8
        .value_kind:     global_buffer
      - .address_space:  global
        .offset:         40
        .size:           8
        .value_kind:     global_buffer
      - .actual_access:  read_only
        .address_space:  global
        .offset:         48
        .size:           8
        .value_kind:     global_buffer
      - .actual_access:  read_only
        .address_space:  global
        .offset:         56
        .size:           8
        .value_kind:     global_buffer
    .group_segment_fixed_size: 0
    .kernarg_segment_align: 8
    .kernarg_segment_size: 64
    .language:       OpenCL C
    .language_version:
      - 2
      - 0
    .max_flat_workgroup_size: 256
    .name:           _ZN9rocsparseL19gtsv_LBM_rhs_kernelILj256ELj64ELj4E21rocsparse_complex_numIdEEEviiiPKT2_S5_S5_PS3_S5_PKi
    .private_segment_fixed_size: 0
    .sgpr_count:     36
    .sgpr_spill_count: 0
    .symbol:         _ZN9rocsparseL19gtsv_LBM_rhs_kernelILj256ELj64ELj4E21rocsparse_complex_numIdEEEviiiPKT2_S5_S5_PS3_S5_PKi.kd
    .uniform_work_group_size: 1
    .uses_dynamic_stack: false
    .vgpr_count:     93
    .vgpr_spill_count: 0
    .wavefront_size: 64
  - .args:
      - .offset:         0
        .size:           4
        .value_kind:     by_value
      - .offset:         4
        .size:           4
        .value_kind:     by_value
      - .offset:         8
        .size:           4
        .value_kind:     by_value
      - .actual_access:  read_only
        .address_space:  global
        .offset:         16
        .size:           8
        .value_kind:     global_buffer
      - .actual_access:  read_only
        .address_space:  global
        .offset:         24
        .size:           8
        .value_kind:     global_buffer
      - .actual_access:  read_only
        .address_space:  global
        .offset:         32
        .size:           8
        .value_kind:     global_buffer
      - .address_space:  global
        .offset:         40
        .size:           8
        .value_kind:     global_buffer
      - .actual_access:  read_only
        .address_space:  global
        .offset:         48
        .size:           8
        .value_kind:     global_buffer
      - .actual_access:  read_only
        .address_space:  global
        .offset:         56
        .size:           8
        .value_kind:     global_buffer
    .group_segment_fixed_size: 0
    .kernarg_segment_align: 8
    .kernarg_segment_size: 64
    .language:       OpenCL C
    .language_version:
      - 2
      - 0
    .max_flat_workgroup_size: 256
    .name:           _ZN9rocsparseL19gtsv_LBM_rhs_kernelILj256ELj64ELj2E21rocsparse_complex_numIdEEEviiiPKT2_S5_S5_PS3_S5_PKi
    .private_segment_fixed_size: 0
    .sgpr_count:     36
    .sgpr_spill_count: 0
    .symbol:         _ZN9rocsparseL19gtsv_LBM_rhs_kernelILj256ELj64ELj2E21rocsparse_complex_numIdEEEviiiPKT2_S5_S5_PS3_S5_PKi.kd
    .uniform_work_group_size: 1
    .uses_dynamic_stack: false
    .vgpr_count:     71
    .vgpr_spill_count: 0
    .wavefront_size: 64
  - .args:
      - .offset:         0
        .size:           4
        .value_kind:     by_value
      - .offset:         4
        .size:           4
        .value_kind:     by_value
      - .offset:         8
        .size:           4
        .value_kind:     by_value
      - .actual_access:  read_only
        .address_space:  global
        .offset:         16
        .size:           8
        .value_kind:     global_buffer
      - .actual_access:  read_only
        .address_space:  global
        .offset:         24
        .size:           8
        .value_kind:     global_buffer
      - .actual_access:  read_only
        .address_space:  global
        .offset:         32
        .size:           8
        .value_kind:     global_buffer
      - .address_space:  global
        .offset:         40
        .size:           8
        .value_kind:     global_buffer
      - .actual_access:  read_only
        .address_space:  global
        .offset:         48
        .size:           8
        .value_kind:     global_buffer
      - .actual_access:  read_only
        .address_space:  global
        .offset:         56
        .size:           8
        .value_kind:     global_buffer
    .group_segment_fixed_size: 0
    .kernarg_segment_align: 8
    .kernarg_segment_size: 64
    .language:       OpenCL C
    .language_version:
      - 2
      - 0
    .max_flat_workgroup_size: 256
    .name:           _ZN9rocsparseL19gtsv_LBM_rhs_kernelILj256ELj64ELj1E21rocsparse_complex_numIdEEEviiiPKT2_S5_S5_PS3_S5_PKi
    .private_segment_fixed_size: 0
    .sgpr_count:     32
    .sgpr_spill_count: 0
    .symbol:         _ZN9rocsparseL19gtsv_LBM_rhs_kernelILj256ELj64ELj1E21rocsparse_complex_numIdEEEviiiPKT2_S5_S5_PS3_S5_PKi.kd
    .uniform_work_group_size: 1
    .uses_dynamic_stack: false
    .vgpr_count:     58
    .vgpr_spill_count: 0
    .wavefront_size: 64
  - .args:
      - .offset:         0
        .size:           4
        .value_kind:     by_value
      - .offset:         4
        .size:           4
        .value_kind:     by_value
      - .offset:         8
        .size:           4
        .value_kind:     by_value
      - .address_space:  global
        .offset:         16
        .size:           8
        .value_kind:     global_buffer
      - .actual_access:  read_only
        .address_space:  global
        .offset:         24
        .size:           8
        .value_kind:     global_buffer
      - .actual_access:  read_only
        .address_space:  global
        .offset:         32
        .size:           8
        .value_kind:     global_buffer
      - .actual_access:  write_only
        .address_space:  global
        .offset:         40
        .size:           8
        .value_kind:     global_buffer
      - .actual_access:  write_only
        .address_space:  global
        .offset:         48
        .size:           8
        .value_kind:     global_buffer
      - .actual_access:  write_only
        .address_space:  global
        .offset:         56
        .size:           8
        .value_kind:     global_buffer
      - .actual_access:  write_only
        .address_space:  global
        .offset:         64
        .size:           8
        .value_kind:     global_buffer
      - .actual_access:  write_only
        .address_space:  global
        .offset:         72
        .size:           8
        .value_kind:     global_buffer
      - .offset:         80
        .size:           4
        .value_kind:     hidden_block_count_x
      - .offset:         84
        .size:           4
        .value_kind:     hidden_block_count_y
      - .offset:         88
        .size:           4
        .value_kind:     hidden_block_count_z
      - .offset:         92
        .size:           2
        .value_kind:     hidden_group_size_x
      - .offset:         94
        .size:           2
        .value_kind:     hidden_group_size_y
      - .offset:         96
        .size:           2
        .value_kind:     hidden_group_size_z
      - .offset:         98
        .size:           2
        .value_kind:     hidden_remainder_x
      - .offset:         100
        .size:           2
        .value_kind:     hidden_remainder_y
      - .offset:         102
        .size:           2
        .value_kind:     hidden_remainder_z
      - .offset:         120
        .size:           8
        .value_kind:     hidden_global_offset_x
      - .offset:         128
        .size:           8
        .value_kind:     hidden_global_offset_y
      - .offset:         136
        .size:           8
        .value_kind:     hidden_global_offset_z
      - .offset:         144
        .size:           2
        .value_kind:     hidden_grid_dims
    .group_segment_fixed_size: 24576
    .kernarg_segment_align: 8
    .kernarg_segment_size: 336
    .language:       OpenCL C
    .language_version:
      - 2
      - 0
    .max_flat_workgroup_size: 256
    .name:           _ZN9rocsparseL29gtsv_spike_block_level_kernelILj256ELj64E21rocsparse_complex_numIdEEEviiiPT1_PKS3_S6_S4_S4_S4_S4_S4_
    .private_segment_fixed_size: 0
    .sgpr_count:     30
    .sgpr_spill_count: 0
    .symbol:         _ZN9rocsparseL29gtsv_spike_block_level_kernelILj256ELj64E21rocsparse_complex_numIdEEEviiiPT1_PKS3_S6_S4_S4_S4_S4_S4_.kd
    .uniform_work_group_size: 1
    .uses_dynamic_stack: false
    .vgpr_count:     64
    .vgpr_spill_count: 0
    .wavefront_size: 64
  - .args:
      - .offset:         0
        .size:           4
        .value_kind:     by_value
      - .offset:         4
        .size:           4
        .value_kind:     by_value
      - .offset:         8
        .size:           4
        .value_kind:     by_value
      - .address_space:  global
        .offset:         16
        .size:           8
        .value_kind:     global_buffer
      - .actual_access:  read_only
        .address_space:  global
        .offset:         24
        .size:           8
        .value_kind:     global_buffer
      - .actual_access:  read_only
        .address_space:  global
        .offset:         32
        .size:           8
        .value_kind:     global_buffer
      - .actual_access:  read_only
        .address_space:  global
        .offset:         40
        .size:           8
        .value_kind:     global_buffer
      - .offset:         48
        .size:           4
        .value_kind:     hidden_block_count_x
      - .offset:         52
        .size:           4
        .value_kind:     hidden_block_count_y
      - .offset:         56
        .size:           4
        .value_kind:     hidden_block_count_z
      - .offset:         60
        .size:           2
        .value_kind:     hidden_group_size_x
      - .offset:         62
        .size:           2
        .value_kind:     hidden_group_size_y
      - .offset:         64
        .size:           2
        .value_kind:     hidden_group_size_z
      - .offset:         66
        .size:           2
        .value_kind:     hidden_remainder_x
      - .offset:         68
        .size:           2
        .value_kind:     hidden_remainder_y
      - .offset:         70
        .size:           2
        .value_kind:     hidden_remainder_z
      - .offset:         88
        .size:           8
        .value_kind:     hidden_global_offset_x
      - .offset:         96
        .size:           8
        .value_kind:     hidden_global_offset_y
      - .offset:         104
        .size:           8
        .value_kind:     hidden_global_offset_z
      - .offset:         112
        .size:           2
        .value_kind:     hidden_grid_dims
    .group_segment_fixed_size: 24608
    .kernarg_segment_align: 8
    .kernarg_segment_size: 304
    .language:       OpenCL C
    .language_version:
      - 2
      - 0
    .max_flat_workgroup_size: 256
    .name:           _ZN9rocsparseL33gtsv_solve_spike_propagate_kernelILj256ELj64E21rocsparse_complex_numIdEEEviiiPT1_PKS3_S6_S6_
    .private_segment_fixed_size: 0
    .sgpr_count:     26
    .sgpr_spill_count: 0
    .symbol:         _ZN9rocsparseL33gtsv_solve_spike_propagate_kernelILj256ELj64E21rocsparse_complex_numIdEEEviiiPT1_PKS3_S6_S6_.kd
    .uniform_work_group_size: 1
    .uses_dynamic_stack: false
    .vgpr_count:     43
    .vgpr_spill_count: 0
    .wavefront_size: 64
  - .args:
      - .offset:         0
        .size:           4
        .value_kind:     by_value
      - .offset:         4
        .size:           4
        .value_kind:     by_value
      - .offset:         8
        .size:           4
        .value_kind:     by_value
      - .address_space:  global
        .offset:         16
        .size:           8
        .value_kind:     global_buffer
      - .actual_access:  read_only
        .address_space:  global
        .offset:         24
        .size:           8
        .value_kind:     global_buffer
      - .actual_access:  read_only
        .address_space:  global
        .offset:         32
        .size:           8
        .value_kind:     global_buffer
    .group_segment_fixed_size: 0
    .kernarg_segment_align: 8
    .kernarg_segment_size: 40
    .language:       OpenCL C
    .language_version:
      - 2
      - 0
    .max_flat_workgroup_size: 256
    .name:           _ZN9rocsparseL39gtsv_spike_backward_substitution_kernelILj256ELj64E21rocsparse_complex_numIdEEEviiiPT1_PKS3_S6_
    .private_segment_fixed_size: 0
    .sgpr_count:     17
    .sgpr_spill_count: 0
    .symbol:         _ZN9rocsparseL39gtsv_spike_backward_substitution_kernelILj256ELj64E21rocsparse_complex_numIdEEEviiiPT1_PKS3_S6_.kd
    .uniform_work_group_size: 1
    .uses_dynamic_stack: false
    .vgpr_count:     28
    .vgpr_spill_count: 0
    .wavefront_size: 64
  - .args:
      - .offset:         0
        .size:           4
        .value_kind:     by_value
      - .offset:         4
        .size:           4
        .value_kind:     by_value
      - .offset:         8
        .size:           4
        .value_kind:     by_value
      - .actual_access:  read_only
        .address_space:  global
        .offset:         16
        .size:           8
        .value_kind:     global_buffer
      - .actual_access:  write_only
        .address_space:  global
        .offset:         24
        .size:           8
        .value_kind:     global_buffer
    .group_segment_fixed_size: 0
    .kernarg_segment_align: 8
    .kernarg_segment_size: 32
    .language:       OpenCL C
    .language_version:
      - 2
      - 0
    .max_flat_workgroup_size: 256
    .name:           _ZN9rocsparseL32gtsv_transpose_back_array_kernelILj256ELj64E21rocsparse_complex_numIdEEEviiiPKT1_PS3_
    .private_segment_fixed_size: 0
    .sgpr_count:     16
    .sgpr_spill_count: 0
    .symbol:         _ZN9rocsparseL32gtsv_transpose_back_array_kernelILj256ELj64E21rocsparse_complex_numIdEEEviiiPKT1_PS3_.kd
    .uniform_work_group_size: 1
    .uses_dynamic_stack: false
    .vgpr_count:     7
    .vgpr_spill_count: 0
    .wavefront_size: 64
  - .args:
      - .offset:         0
        .size:           4
        .value_kind:     by_value
      - .offset:         4
        .size:           4
        .value_kind:     by_value
      - .offset:         8
        .size:           4
        .value_kind:     by_value
      - .actual_access:  read_only
        .address_space:  global
        .offset:         16
        .size:           8
        .value_kind:     global_buffer
      - .actual_access:  write_only
        .address_space:  global
        .offset:         24
        .size:           8
        .value_kind:     global_buffer
      - .offset:         32
        .size:           16
        .value_kind:     by_value
    .group_segment_fixed_size: 4096
    .kernarg_segment_align: 8
    .kernarg_segment_size: 48
    .language:       OpenCL C
    .language_version:
      - 2
      - 0
    .max_flat_workgroup_size: 256
    .name:           _ZN9rocsparseL42gtsv_transpose_and_pad_array_shared_kernelILj256ELj128E21rocsparse_complex_numIdEEEviiiPKT1_PS3_S3_
    .private_segment_fixed_size: 0
    .sgpr_count:     20
    .sgpr_spill_count: 0
    .symbol:         _ZN9rocsparseL42gtsv_transpose_and_pad_array_shared_kernelILj256ELj128E21rocsparse_complex_numIdEEEviiiPKT1_PS3_S3_.kd
    .uniform_work_group_size: 1
    .uses_dynamic_stack: false
    .vgpr_count:     7
    .vgpr_spill_count: 0
    .wavefront_size: 64
  - .args:
      - .offset:         0
        .size:           4
        .value_kind:     by_value
      - .offset:         4
        .size:           4
        .value_kind:     by_value
      - .offset:         8
        .size:           4
        .value_kind:     by_value
      - .actual_access:  read_only
        .address_space:  global
        .offset:         16
        .size:           8
        .value_kind:     global_buffer
      - .actual_access:  read_only
        .address_space:  global
        .offset:         24
        .size:           8
        .value_kind:     global_buffer
      - .actual_access:  read_only
        .address_space:  global
        .offset:         32
        .size:           8
        .value_kind:     global_buffer
      - .address_space:  global
        .offset:         40
        .size:           8
        .value_kind:     global_buffer
      - .address_space:  global
        .offset:         48
        .size:           8
        .value_kind:     global_buffer
      - .address_space:  global
        .offset:         56
        .size:           8
        .value_kind:     global_buffer
      - .address_space:  global
        .offset:         64
        .size:           8
        .value_kind:     global_buffer
    .group_segment_fixed_size: 0
    .kernarg_segment_align: 8
    .kernarg_segment_size: 72
    .language:       OpenCL C
    .language_version:
      - 2
      - 0
    .max_flat_workgroup_size: 256
    .name:           _ZN9rocsparseL18gtsv_LBM_wv_kernelILj256ELj128E21rocsparse_complex_numIdEEEviiiPKT1_S5_S5_PS3_S6_S6_Pi
    .private_segment_fixed_size: 0
    .sgpr_count:     40
    .sgpr_spill_count: 0
    .symbol:         _ZN9rocsparseL18gtsv_LBM_wv_kernelILj256ELj128E21rocsparse_complex_numIdEEEviiiPKT1_S5_S5_PS3_S6_S6_Pi.kd
    .uniform_work_group_size: 1
    .uses_dynamic_stack: false
    .vgpr_count:     80
    .vgpr_spill_count: 0
    .wavefront_size: 64
  - .args:
      - .offset:         0
        .size:           4
        .value_kind:     by_value
      - .offset:         4
        .size:           4
        .value_kind:     by_value
      - .offset:         8
        .size:           4
        .value_kind:     by_value
      - .actual_access:  read_only
        .address_space:  global
        .offset:         16
        .size:           8
        .value_kind:     global_buffer
      - .actual_access:  read_only
        .address_space:  global
        .offset:         24
        .size:           8
        .value_kind:     global_buffer
      - .actual_access:  read_only
        .address_space:  global
        .offset:         32
        .size:           8
        .value_kind:     global_buffer
      - .address_space:  global
        .offset:         40
        .size:           8
        .value_kind:     global_buffer
      - .actual_access:  read_only
        .address_space:  global
        .offset:         48
        .size:           8
        .value_kind:     global_buffer
      - .actual_access:  read_only
        .address_space:  global
        .offset:         56
        .size:           8
        .value_kind:     global_buffer
    .group_segment_fixed_size: 0
    .kernarg_segment_align: 8
    .kernarg_segment_size: 64
    .language:       OpenCL C
    .language_version:
      - 2
      - 0
    .max_flat_workgroup_size: 256
    .name:           _ZN9rocsparseL19gtsv_LBM_rhs_kernelILj256ELj128ELj8E21rocsparse_complex_numIdEEEviiiPKT2_S5_S5_PS3_S5_PKi
    .private_segment_fixed_size: 0
    .sgpr_count:     41
    .sgpr_spill_count: 0
    .symbol:         _ZN9rocsparseL19gtsv_LBM_rhs_kernelILj256ELj128ELj8E21rocsparse_complex_numIdEEEviiiPKT2_S5_S5_PS3_S5_PKi.kd
    .uniform_work_group_size: 1
    .uses_dynamic_stack: false
    .vgpr_count:     161
    .vgpr_spill_count: 0
    .wavefront_size: 64
  - .args:
      - .offset:         0
        .size:           4
        .value_kind:     by_value
      - .offset:         4
        .size:           4
        .value_kind:     by_value
      - .offset:         8
        .size:           4
        .value_kind:     by_value
      - .actual_access:  read_only
        .address_space:  global
        .offset:         16
        .size:           8
        .value_kind:     global_buffer
      - .actual_access:  read_only
        .address_space:  global
        .offset:         24
        .size:           8
        .value_kind:     global_buffer
      - .actual_access:  read_only
        .address_space:  global
        .offset:         32
        .size:           8
        .value_kind:     global_buffer
      - .address_space:  global
        .offset:         40
        .size:           8
        .value_kind:     global_buffer
      - .actual_access:  read_only
        .address_space:  global
        .offset:         48
        .size:           8
        .value_kind:     global_buffer
      - .actual_access:  read_only
        .address_space:  global
        .offset:         56
        .size:           8
        .value_kind:     global_buffer
    .group_segment_fixed_size: 0
    .kernarg_segment_align: 8
    .kernarg_segment_size: 64
    .language:       OpenCL C
    .language_version:
      - 2
      - 0
    .max_flat_workgroup_size: 256
    .name:           _ZN9rocsparseL19gtsv_LBM_rhs_kernelILj256ELj128ELj4E21rocsparse_complex_numIdEEEviiiPKT2_S5_S5_PS3_S5_PKi
    .private_segment_fixed_size: 0
    .sgpr_count:     36
    .sgpr_spill_count: 0
    .symbol:         _ZN9rocsparseL19gtsv_LBM_rhs_kernelILj256ELj128ELj4E21rocsparse_complex_numIdEEEviiiPKT2_S5_S5_PS3_S5_PKi.kd
    .uniform_work_group_size: 1
    .uses_dynamic_stack: false
    .vgpr_count:     93
    .vgpr_spill_count: 0
    .wavefront_size: 64
  - .args:
      - .offset:         0
        .size:           4
        .value_kind:     by_value
      - .offset:         4
        .size:           4
        .value_kind:     by_value
      - .offset:         8
        .size:           4
        .value_kind:     by_value
      - .actual_access:  read_only
        .address_space:  global
        .offset:         16
        .size:           8
        .value_kind:     global_buffer
      - .actual_access:  read_only
        .address_space:  global
        .offset:         24
        .size:           8
        .value_kind:     global_buffer
      - .actual_access:  read_only
        .address_space:  global
        .offset:         32
        .size:           8
        .value_kind:     global_buffer
      - .address_space:  global
        .offset:         40
        .size:           8
        .value_kind:     global_buffer
      - .actual_access:  read_only
        .address_space:  global
        .offset:         48
        .size:           8
        .value_kind:     global_buffer
      - .actual_access:  read_only
        .address_space:  global
        .offset:         56
        .size:           8
        .value_kind:     global_buffer
    .group_segment_fixed_size: 0
    .kernarg_segment_align: 8
    .kernarg_segment_size: 64
    .language:       OpenCL C
    .language_version:
      - 2
      - 0
    .max_flat_workgroup_size: 256
    .name:           _ZN9rocsparseL19gtsv_LBM_rhs_kernelILj256ELj128ELj2E21rocsparse_complex_numIdEEEviiiPKT2_S5_S5_PS3_S5_PKi
    .private_segment_fixed_size: 0
    .sgpr_count:     36
    .sgpr_spill_count: 0
    .symbol:         _ZN9rocsparseL19gtsv_LBM_rhs_kernelILj256ELj128ELj2E21rocsparse_complex_numIdEEEviiiPKT2_S5_S5_PS3_S5_PKi.kd
    .uniform_work_group_size: 1
    .uses_dynamic_stack: false
    .vgpr_count:     71
    .vgpr_spill_count: 0
    .wavefront_size: 64
  - .args:
      - .offset:         0
        .size:           4
        .value_kind:     by_value
      - .offset:         4
        .size:           4
        .value_kind:     by_value
      - .offset:         8
        .size:           4
        .value_kind:     by_value
      - .actual_access:  read_only
        .address_space:  global
        .offset:         16
        .size:           8
        .value_kind:     global_buffer
      - .actual_access:  read_only
        .address_space:  global
        .offset:         24
        .size:           8
        .value_kind:     global_buffer
      - .actual_access:  read_only
        .address_space:  global
        .offset:         32
        .size:           8
        .value_kind:     global_buffer
      - .address_space:  global
        .offset:         40
        .size:           8
        .value_kind:     global_buffer
      - .actual_access:  read_only
        .address_space:  global
        .offset:         48
        .size:           8
        .value_kind:     global_buffer
      - .actual_access:  read_only
        .address_space:  global
        .offset:         56
        .size:           8
        .value_kind:     global_buffer
    .group_segment_fixed_size: 0
    .kernarg_segment_align: 8
    .kernarg_segment_size: 64
    .language:       OpenCL C
    .language_version:
      - 2
      - 0
    .max_flat_workgroup_size: 256
    .name:           _ZN9rocsparseL19gtsv_LBM_rhs_kernelILj256ELj128ELj1E21rocsparse_complex_numIdEEEviiiPKT2_S5_S5_PS3_S5_PKi
    .private_segment_fixed_size: 0
    .sgpr_count:     32
    .sgpr_spill_count: 0
    .symbol:         _ZN9rocsparseL19gtsv_LBM_rhs_kernelILj256ELj128ELj1E21rocsparse_complex_numIdEEEviiiPKT2_S5_S5_PS3_S5_PKi.kd
    .uniform_work_group_size: 1
    .uses_dynamic_stack: false
    .vgpr_count:     58
    .vgpr_spill_count: 0
    .wavefront_size: 64
  - .args:
      - .offset:         0
        .size:           4
        .value_kind:     by_value
      - .offset:         4
        .size:           4
        .value_kind:     by_value
      - .offset:         8
        .size:           4
        .value_kind:     by_value
      - .address_space:  global
        .offset:         16
        .size:           8
        .value_kind:     global_buffer
      - .actual_access:  read_only
        .address_space:  global
        .offset:         24
        .size:           8
        .value_kind:     global_buffer
      - .actual_access:  read_only
        .address_space:  global
        .offset:         32
        .size:           8
        .value_kind:     global_buffer
      - .actual_access:  write_only
        .address_space:  global
        .offset:         40
        .size:           8
        .value_kind:     global_buffer
      - .actual_access:  write_only
        .address_space:  global
        .offset:         48
        .size:           8
        .value_kind:     global_buffer
      - .actual_access:  write_only
        .address_space:  global
        .offset:         56
        .size:           8
        .value_kind:     global_buffer
      - .actual_access:  write_only
        .address_space:  global
        .offset:         64
        .size:           8
        .value_kind:     global_buffer
      - .actual_access:  write_only
        .address_space:  global
        .offset:         72
        .size:           8
        .value_kind:     global_buffer
      - .offset:         80
        .size:           4
        .value_kind:     hidden_block_count_x
      - .offset:         84
        .size:           4
        .value_kind:     hidden_block_count_y
      - .offset:         88
        .size:           4
        .value_kind:     hidden_block_count_z
      - .offset:         92
        .size:           2
        .value_kind:     hidden_group_size_x
      - .offset:         94
        .size:           2
        .value_kind:     hidden_group_size_y
      - .offset:         96
        .size:           2
        .value_kind:     hidden_group_size_z
      - .offset:         98
        .size:           2
        .value_kind:     hidden_remainder_x
      - .offset:         100
        .size:           2
        .value_kind:     hidden_remainder_y
      - .offset:         102
        .size:           2
        .value_kind:     hidden_remainder_z
      - .offset:         120
        .size:           8
        .value_kind:     hidden_global_offset_x
      - .offset:         128
        .size:           8
        .value_kind:     hidden_global_offset_y
      - .offset:         136
        .size:           8
        .value_kind:     hidden_global_offset_z
      - .offset:         144
        .size:           2
        .value_kind:     hidden_grid_dims
    .group_segment_fixed_size: 24576
    .kernarg_segment_align: 8
    .kernarg_segment_size: 336
    .language:       OpenCL C
    .language_version:
      - 2
      - 0
    .max_flat_workgroup_size: 256
    .name:           _ZN9rocsparseL29gtsv_spike_block_level_kernelILj256ELj128E21rocsparse_complex_numIdEEEviiiPT1_PKS3_S6_S4_S4_S4_S4_S4_
    .private_segment_fixed_size: 0
    .sgpr_count:     30
    .sgpr_spill_count: 0
    .symbol:         _ZN9rocsparseL29gtsv_spike_block_level_kernelILj256ELj128E21rocsparse_complex_numIdEEEviiiPT1_PKS3_S6_S4_S4_S4_S4_S4_.kd
    .uniform_work_group_size: 1
    .uses_dynamic_stack: false
    .vgpr_count:     65
    .vgpr_spill_count: 0
    .wavefront_size: 64
  - .args:
      - .offset:         0
        .size:           4
        .value_kind:     by_value
      - .offset:         4
        .size:           4
        .value_kind:     by_value
      - .offset:         8
        .size:           4
        .value_kind:     by_value
      - .address_space:  global
        .offset:         16
        .size:           8
        .value_kind:     global_buffer
      - .actual_access:  read_only
        .address_space:  global
        .offset:         24
        .size:           8
        .value_kind:     global_buffer
      - .actual_access:  read_only
        .address_space:  global
        .offset:         32
        .size:           8
        .value_kind:     global_buffer
      - .actual_access:  read_only
        .address_space:  global
        .offset:         40
        .size:           8
        .value_kind:     global_buffer
      - .offset:         48
        .size:           4
        .value_kind:     hidden_block_count_x
      - .offset:         52
        .size:           4
        .value_kind:     hidden_block_count_y
      - .offset:         56
        .size:           4
        .value_kind:     hidden_block_count_z
      - .offset:         60
        .size:           2
        .value_kind:     hidden_group_size_x
      - .offset:         62
        .size:           2
        .value_kind:     hidden_group_size_y
      - .offset:         64
        .size:           2
        .value_kind:     hidden_group_size_z
      - .offset:         66
        .size:           2
        .value_kind:     hidden_remainder_x
      - .offset:         68
        .size:           2
        .value_kind:     hidden_remainder_y
      - .offset:         70
        .size:           2
        .value_kind:     hidden_remainder_z
      - .offset:         88
        .size:           8
        .value_kind:     hidden_global_offset_x
      - .offset:         96
        .size:           8
        .value_kind:     hidden_global_offset_y
      - .offset:         104
        .size:           8
        .value_kind:     hidden_global_offset_z
      - .offset:         112
        .size:           2
        .value_kind:     hidden_grid_dims
    .group_segment_fixed_size: 24608
    .kernarg_segment_align: 8
    .kernarg_segment_size: 304
    .language:       OpenCL C
    .language_version:
      - 2
      - 0
    .max_flat_workgroup_size: 256
    .name:           _ZN9rocsparseL33gtsv_solve_spike_propagate_kernelILj256ELj128E21rocsparse_complex_numIdEEEviiiPT1_PKS3_S6_S6_
    .private_segment_fixed_size: 0
    .sgpr_count:     26
    .sgpr_spill_count: 0
    .symbol:         _ZN9rocsparseL33gtsv_solve_spike_propagate_kernelILj256ELj128E21rocsparse_complex_numIdEEEviiiPT1_PKS3_S6_S6_.kd
    .uniform_work_group_size: 1
    .uses_dynamic_stack: false
    .vgpr_count:     43
    .vgpr_spill_count: 0
    .wavefront_size: 64
  - .args:
      - .offset:         0
        .size:           4
        .value_kind:     by_value
      - .offset:         4
        .size:           4
        .value_kind:     by_value
      - .offset:         8
        .size:           4
        .value_kind:     by_value
      - .address_space:  global
        .offset:         16
        .size:           8
        .value_kind:     global_buffer
      - .actual_access:  read_only
        .address_space:  global
        .offset:         24
        .size:           8
        .value_kind:     global_buffer
      - .actual_access:  read_only
        .address_space:  global
        .offset:         32
        .size:           8
        .value_kind:     global_buffer
    .group_segment_fixed_size: 0
    .kernarg_segment_align: 8
    .kernarg_segment_size: 40
    .language:       OpenCL C
    .language_version:
      - 2
      - 0
    .max_flat_workgroup_size: 256
    .name:           _ZN9rocsparseL39gtsv_spike_backward_substitution_kernelILj256ELj128E21rocsparse_complex_numIdEEEviiiPT1_PKS3_S6_
    .private_segment_fixed_size: 0
    .sgpr_count:     17
    .sgpr_spill_count: 0
    .symbol:         _ZN9rocsparseL39gtsv_spike_backward_substitution_kernelILj256ELj128E21rocsparse_complex_numIdEEEviiiPT1_PKS3_S6_.kd
    .uniform_work_group_size: 1
    .uses_dynamic_stack: false
    .vgpr_count:     29
    .vgpr_spill_count: 0
    .wavefront_size: 64
  - .args:
      - .offset:         0
        .size:           4
        .value_kind:     by_value
      - .offset:         4
        .size:           4
        .value_kind:     by_value
      - .offset:         8
        .size:           4
        .value_kind:     by_value
      - .actual_access:  read_only
        .address_space:  global
        .offset:         16
        .size:           8
        .value_kind:     global_buffer
      - .actual_access:  write_only
        .address_space:  global
        .offset:         24
        .size:           8
        .value_kind:     global_buffer
    .group_segment_fixed_size: 0
    .kernarg_segment_align: 8
    .kernarg_segment_size: 32
    .language:       OpenCL C
    .language_version:
      - 2
      - 0
    .max_flat_workgroup_size: 256
    .name:           _ZN9rocsparseL32gtsv_transpose_back_array_kernelILj256ELj128E21rocsparse_complex_numIdEEEviiiPKT1_PS3_
    .private_segment_fixed_size: 0
    .sgpr_count:     16
    .sgpr_spill_count: 0
    .symbol:         _ZN9rocsparseL32gtsv_transpose_back_array_kernelILj256ELj128E21rocsparse_complex_numIdEEEviiiPKT1_PS3_.kd
    .uniform_work_group_size: 1
    .uses_dynamic_stack: false
    .vgpr_count:     7
    .vgpr_spill_count: 0
    .wavefront_size: 64
  - .args:
      - .offset:         0
        .size:           4
        .value_kind:     by_value
      - .offset:         4
        .size:           4
        .value_kind:     by_value
      - .offset:         8
        .size:           4
        .value_kind:     by_value
      - .actual_access:  read_only
        .address_space:  global
        .offset:         16
        .size:           8
        .value_kind:     global_buffer
      - .actual_access:  write_only
        .address_space:  global
        .offset:         24
        .size:           8
        .value_kind:     global_buffer
      - .offset:         32
        .size:           16
        .value_kind:     by_value
    .group_segment_fixed_size: 4096
    .kernarg_segment_align: 8
    .kernarg_segment_size: 48
    .language:       OpenCL C
    .language_version:
      - 2
      - 0
    .max_flat_workgroup_size: 256
    .name:           _ZN9rocsparseL42gtsv_transpose_and_pad_array_shared_kernelILj256ELj256E21rocsparse_complex_numIdEEEviiiPKT1_PS3_S3_
    .private_segment_fixed_size: 0
    .sgpr_count:     20
    .sgpr_spill_count: 0
    .symbol:         _ZN9rocsparseL42gtsv_transpose_and_pad_array_shared_kernelILj256ELj256E21rocsparse_complex_numIdEEEviiiPKT1_PS3_S3_.kd
    .uniform_work_group_size: 1
    .uses_dynamic_stack: false
    .vgpr_count:     7
    .vgpr_spill_count: 0
    .wavefront_size: 64
  - .args:
      - .offset:         0
        .size:           4
        .value_kind:     by_value
      - .offset:         4
        .size:           4
        .value_kind:     by_value
      - .offset:         8
        .size:           4
        .value_kind:     by_value
      - .actual_access:  read_only
        .address_space:  global
        .offset:         16
        .size:           8
        .value_kind:     global_buffer
      - .actual_access:  read_only
        .address_space:  global
        .offset:         24
        .size:           8
        .value_kind:     global_buffer
      - .actual_access:  read_only
        .address_space:  global
        .offset:         32
        .size:           8
        .value_kind:     global_buffer
      - .address_space:  global
        .offset:         40
        .size:           8
        .value_kind:     global_buffer
      - .address_space:  global
        .offset:         48
        .size:           8
        .value_kind:     global_buffer
      - .address_space:  global
        .offset:         56
        .size:           8
        .value_kind:     global_buffer
      - .address_space:  global
        .offset:         64
        .size:           8
        .value_kind:     global_buffer
    .group_segment_fixed_size: 0
    .kernarg_segment_align: 8
    .kernarg_segment_size: 72
    .language:       OpenCL C
    .language_version:
      - 2
      - 0
    .max_flat_workgroup_size: 256
    .name:           _ZN9rocsparseL18gtsv_LBM_wv_kernelILj256ELj256E21rocsparse_complex_numIdEEEviiiPKT1_S5_S5_PS3_S6_S6_Pi
    .private_segment_fixed_size: 0
    .sgpr_count:     40
    .sgpr_spill_count: 0
    .symbol:         _ZN9rocsparseL18gtsv_LBM_wv_kernelILj256ELj256E21rocsparse_complex_numIdEEEviiiPKT1_S5_S5_PS3_S6_S6_Pi.kd
    .uniform_work_group_size: 1
    .uses_dynamic_stack: false
    .vgpr_count:     80
    .vgpr_spill_count: 0
    .wavefront_size: 64
  - .args:
      - .offset:         0
        .size:           4
        .value_kind:     by_value
      - .offset:         4
        .size:           4
        .value_kind:     by_value
      - .offset:         8
        .size:           4
        .value_kind:     by_value
      - .actual_access:  read_only
        .address_space:  global
        .offset:         16
        .size:           8
        .value_kind:     global_buffer
      - .actual_access:  read_only
        .address_space:  global
        .offset:         24
        .size:           8
        .value_kind:     global_buffer
      - .actual_access:  read_only
        .address_space:  global
        .offset:         32
        .size:           8
        .value_kind:     global_buffer
      - .address_space:  global
        .offset:         40
        .size:           8
        .value_kind:     global_buffer
      - .actual_access:  read_only
        .address_space:  global
        .offset:         48
        .size:           8
        .value_kind:     global_buffer
      - .actual_access:  read_only
        .address_space:  global
        .offset:         56
        .size:           8
        .value_kind:     global_buffer
    .group_segment_fixed_size: 0
    .kernarg_segment_align: 8
    .kernarg_segment_size: 64
    .language:       OpenCL C
    .language_version:
      - 2
      - 0
    .max_flat_workgroup_size: 256
    .name:           _ZN9rocsparseL19gtsv_LBM_rhs_kernelILj256ELj256ELj8E21rocsparse_complex_numIdEEEviiiPKT2_S5_S5_PS3_S5_PKi
    .private_segment_fixed_size: 0
    .sgpr_count:     41
    .sgpr_spill_count: 0
    .symbol:         _ZN9rocsparseL19gtsv_LBM_rhs_kernelILj256ELj256ELj8E21rocsparse_complex_numIdEEEviiiPKT2_S5_S5_PS3_S5_PKi.kd
    .uniform_work_group_size: 1
    .uses_dynamic_stack: false
    .vgpr_count:     161
    .vgpr_spill_count: 0
    .wavefront_size: 64
  - .args:
      - .offset:         0
        .size:           4
        .value_kind:     by_value
      - .offset:         4
        .size:           4
        .value_kind:     by_value
      - .offset:         8
        .size:           4
        .value_kind:     by_value
      - .actual_access:  read_only
        .address_space:  global
        .offset:         16
        .size:           8
        .value_kind:     global_buffer
      - .actual_access:  read_only
        .address_space:  global
        .offset:         24
        .size:           8
        .value_kind:     global_buffer
      - .actual_access:  read_only
        .address_space:  global
        .offset:         32
        .size:           8
        .value_kind:     global_buffer
      - .address_space:  global
        .offset:         40
        .size:           8
        .value_kind:     global_buffer
      - .actual_access:  read_only
        .address_space:  global
        .offset:         48
        .size:           8
        .value_kind:     global_buffer
      - .actual_access:  read_only
        .address_space:  global
        .offset:         56
        .size:           8
        .value_kind:     global_buffer
    .group_segment_fixed_size: 0
    .kernarg_segment_align: 8
    .kernarg_segment_size: 64
    .language:       OpenCL C
    .language_version:
      - 2
      - 0
    .max_flat_workgroup_size: 256
    .name:           _ZN9rocsparseL19gtsv_LBM_rhs_kernelILj256ELj256ELj4E21rocsparse_complex_numIdEEEviiiPKT2_S5_S5_PS3_S5_PKi
    .private_segment_fixed_size: 0
    .sgpr_count:     36
    .sgpr_spill_count: 0
    .symbol:         _ZN9rocsparseL19gtsv_LBM_rhs_kernelILj256ELj256ELj4E21rocsparse_complex_numIdEEEviiiPKT2_S5_S5_PS3_S5_PKi.kd
    .uniform_work_group_size: 1
    .uses_dynamic_stack: false
    .vgpr_count:     93
    .vgpr_spill_count: 0
    .wavefront_size: 64
  - .args:
      - .offset:         0
        .size:           4
        .value_kind:     by_value
      - .offset:         4
        .size:           4
        .value_kind:     by_value
      - .offset:         8
        .size:           4
        .value_kind:     by_value
      - .actual_access:  read_only
        .address_space:  global
        .offset:         16
        .size:           8
        .value_kind:     global_buffer
      - .actual_access:  read_only
        .address_space:  global
        .offset:         24
        .size:           8
        .value_kind:     global_buffer
      - .actual_access:  read_only
        .address_space:  global
        .offset:         32
        .size:           8
        .value_kind:     global_buffer
      - .address_space:  global
        .offset:         40
        .size:           8
        .value_kind:     global_buffer
      - .actual_access:  read_only
        .address_space:  global
        .offset:         48
        .size:           8
        .value_kind:     global_buffer
      - .actual_access:  read_only
        .address_space:  global
        .offset:         56
        .size:           8
        .value_kind:     global_buffer
    .group_segment_fixed_size: 0
    .kernarg_segment_align: 8
    .kernarg_segment_size: 64
    .language:       OpenCL C
    .language_version:
      - 2
      - 0
    .max_flat_workgroup_size: 256
    .name:           _ZN9rocsparseL19gtsv_LBM_rhs_kernelILj256ELj256ELj2E21rocsparse_complex_numIdEEEviiiPKT2_S5_S5_PS3_S5_PKi
    .private_segment_fixed_size: 0
    .sgpr_count:     36
    .sgpr_spill_count: 0
    .symbol:         _ZN9rocsparseL19gtsv_LBM_rhs_kernelILj256ELj256ELj2E21rocsparse_complex_numIdEEEviiiPKT2_S5_S5_PS3_S5_PKi.kd
    .uniform_work_group_size: 1
    .uses_dynamic_stack: false
    .vgpr_count:     71
    .vgpr_spill_count: 0
    .wavefront_size: 64
  - .args:
      - .offset:         0
        .size:           4
        .value_kind:     by_value
      - .offset:         4
        .size:           4
        .value_kind:     by_value
      - .offset:         8
        .size:           4
        .value_kind:     by_value
      - .actual_access:  read_only
        .address_space:  global
        .offset:         16
        .size:           8
        .value_kind:     global_buffer
      - .actual_access:  read_only
        .address_space:  global
        .offset:         24
        .size:           8
        .value_kind:     global_buffer
      - .actual_access:  read_only
        .address_space:  global
        .offset:         32
        .size:           8
        .value_kind:     global_buffer
      - .address_space:  global
        .offset:         40
        .size:           8
        .value_kind:     global_buffer
      - .actual_access:  read_only
        .address_space:  global
        .offset:         48
        .size:           8
        .value_kind:     global_buffer
      - .actual_access:  read_only
        .address_space:  global
        .offset:         56
        .size:           8
        .value_kind:     global_buffer
    .group_segment_fixed_size: 0
    .kernarg_segment_align: 8
    .kernarg_segment_size: 64
    .language:       OpenCL C
    .language_version:
      - 2
      - 0
    .max_flat_workgroup_size: 256
    .name:           _ZN9rocsparseL19gtsv_LBM_rhs_kernelILj256ELj256ELj1E21rocsparse_complex_numIdEEEviiiPKT2_S5_S5_PS3_S5_PKi
    .private_segment_fixed_size: 0
    .sgpr_count:     32
    .sgpr_spill_count: 0
    .symbol:         _ZN9rocsparseL19gtsv_LBM_rhs_kernelILj256ELj256ELj1E21rocsparse_complex_numIdEEEviiiPKT2_S5_S5_PS3_S5_PKi.kd
    .uniform_work_group_size: 1
    .uses_dynamic_stack: false
    .vgpr_count:     58
    .vgpr_spill_count: 0
    .wavefront_size: 64
  - .args:
      - .offset:         0
        .size:           4
        .value_kind:     by_value
      - .offset:         4
        .size:           4
        .value_kind:     by_value
      - .offset:         8
        .size:           4
        .value_kind:     by_value
      - .address_space:  global
        .offset:         16
        .size:           8
        .value_kind:     global_buffer
      - .actual_access:  read_only
        .address_space:  global
        .offset:         24
        .size:           8
        .value_kind:     global_buffer
      - .actual_access:  read_only
        .address_space:  global
        .offset:         32
        .size:           8
        .value_kind:     global_buffer
      - .actual_access:  write_only
        .address_space:  global
        .offset:         40
        .size:           8
        .value_kind:     global_buffer
      - .actual_access:  write_only
        .address_space:  global
        .offset:         48
        .size:           8
        .value_kind:     global_buffer
      - .actual_access:  write_only
        .address_space:  global
        .offset:         56
        .size:           8
        .value_kind:     global_buffer
      - .actual_access:  write_only
        .address_space:  global
        .offset:         64
        .size:           8
        .value_kind:     global_buffer
      - .actual_access:  write_only
        .address_space:  global
        .offset:         72
        .size:           8
        .value_kind:     global_buffer
      - .offset:         80
        .size:           4
        .value_kind:     hidden_block_count_x
      - .offset:         84
        .size:           4
        .value_kind:     hidden_block_count_y
      - .offset:         88
        .size:           4
        .value_kind:     hidden_block_count_z
      - .offset:         92
        .size:           2
        .value_kind:     hidden_group_size_x
      - .offset:         94
        .size:           2
        .value_kind:     hidden_group_size_y
      - .offset:         96
        .size:           2
        .value_kind:     hidden_group_size_z
      - .offset:         98
        .size:           2
        .value_kind:     hidden_remainder_x
      - .offset:         100
        .size:           2
        .value_kind:     hidden_remainder_y
      - .offset:         102
        .size:           2
        .value_kind:     hidden_remainder_z
      - .offset:         120
        .size:           8
        .value_kind:     hidden_global_offset_x
      - .offset:         128
        .size:           8
        .value_kind:     hidden_global_offset_y
      - .offset:         136
        .size:           8
        .value_kind:     hidden_global_offset_z
      - .offset:         144
        .size:           2
        .value_kind:     hidden_grid_dims
    .group_segment_fixed_size: 24576
    .kernarg_segment_align: 8
    .kernarg_segment_size: 336
    .language:       OpenCL C
    .language_version:
      - 2
      - 0
    .max_flat_workgroup_size: 256
    .name:           _ZN9rocsparseL29gtsv_spike_block_level_kernelILj256ELj256E21rocsparse_complex_numIdEEEviiiPT1_PKS3_S6_S4_S4_S4_S4_S4_
    .private_segment_fixed_size: 0
    .sgpr_count:     30
    .sgpr_spill_count: 0
    .symbol:         _ZN9rocsparseL29gtsv_spike_block_level_kernelILj256ELj256E21rocsparse_complex_numIdEEEviiiPT1_PKS3_S6_S4_S4_S4_S4_S4_.kd
    .uniform_work_group_size: 1
    .uses_dynamic_stack: false
    .vgpr_count:     65
    .vgpr_spill_count: 0
    .wavefront_size: 64
  - .args:
      - .offset:         0
        .size:           4
        .value_kind:     by_value
      - .offset:         4
        .size:           4
        .value_kind:     by_value
      - .offset:         8
        .size:           4
        .value_kind:     by_value
      - .address_space:  global
        .offset:         16
        .size:           8
        .value_kind:     global_buffer
      - .actual_access:  read_only
        .address_space:  global
        .offset:         24
        .size:           8
        .value_kind:     global_buffer
      - .actual_access:  read_only
        .address_space:  global
        .offset:         32
        .size:           8
        .value_kind:     global_buffer
      - .actual_access:  read_only
        .address_space:  global
        .offset:         40
        .size:           8
        .value_kind:     global_buffer
      - .offset:         48
        .size:           4
        .value_kind:     hidden_block_count_x
      - .offset:         52
        .size:           4
        .value_kind:     hidden_block_count_y
      - .offset:         56
        .size:           4
        .value_kind:     hidden_block_count_z
      - .offset:         60
        .size:           2
        .value_kind:     hidden_group_size_x
      - .offset:         62
        .size:           2
        .value_kind:     hidden_group_size_y
      - .offset:         64
        .size:           2
        .value_kind:     hidden_group_size_z
      - .offset:         66
        .size:           2
        .value_kind:     hidden_remainder_x
      - .offset:         68
        .size:           2
        .value_kind:     hidden_remainder_y
      - .offset:         70
        .size:           2
        .value_kind:     hidden_remainder_z
      - .offset:         88
        .size:           8
        .value_kind:     hidden_global_offset_x
      - .offset:         96
        .size:           8
        .value_kind:     hidden_global_offset_y
      - .offset:         104
        .size:           8
        .value_kind:     hidden_global_offset_z
      - .offset:         112
        .size:           2
        .value_kind:     hidden_grid_dims
    .group_segment_fixed_size: 24608
    .kernarg_segment_align: 8
    .kernarg_segment_size: 304
    .language:       OpenCL C
    .language_version:
      - 2
      - 0
    .max_flat_workgroup_size: 256
    .name:           _ZN9rocsparseL33gtsv_solve_spike_propagate_kernelILj256ELj256E21rocsparse_complex_numIdEEEviiiPT1_PKS3_S6_S6_
    .private_segment_fixed_size: 0
    .sgpr_count:     26
    .sgpr_spill_count: 0
    .symbol:         _ZN9rocsparseL33gtsv_solve_spike_propagate_kernelILj256ELj256E21rocsparse_complex_numIdEEEviiiPT1_PKS3_S6_S6_.kd
    .uniform_work_group_size: 1
    .uses_dynamic_stack: false
    .vgpr_count:     43
    .vgpr_spill_count: 0
    .wavefront_size: 64
  - .args:
      - .offset:         0
        .size:           4
        .value_kind:     by_value
      - .offset:         4
        .size:           4
        .value_kind:     by_value
      - .offset:         8
        .size:           4
        .value_kind:     by_value
      - .address_space:  global
        .offset:         16
        .size:           8
        .value_kind:     global_buffer
      - .actual_access:  read_only
        .address_space:  global
        .offset:         24
        .size:           8
        .value_kind:     global_buffer
      - .actual_access:  read_only
        .address_space:  global
        .offset:         32
        .size:           8
        .value_kind:     global_buffer
    .group_segment_fixed_size: 0
    .kernarg_segment_align: 8
    .kernarg_segment_size: 40
    .language:       OpenCL C
    .language_version:
      - 2
      - 0
    .max_flat_workgroup_size: 256
    .name:           _ZN9rocsparseL39gtsv_spike_backward_substitution_kernelILj256ELj256E21rocsparse_complex_numIdEEEviiiPT1_PKS3_S6_
    .private_segment_fixed_size: 0
    .sgpr_count:     17
    .sgpr_spill_count: 0
    .symbol:         _ZN9rocsparseL39gtsv_spike_backward_substitution_kernelILj256ELj256E21rocsparse_complex_numIdEEEviiiPT1_PKS3_S6_.kd
    .uniform_work_group_size: 1
    .uses_dynamic_stack: false
    .vgpr_count:     28
    .vgpr_spill_count: 0
    .wavefront_size: 64
  - .args:
      - .offset:         0
        .size:           4
        .value_kind:     by_value
      - .offset:         4
        .size:           4
        .value_kind:     by_value
      - .offset:         8
        .size:           4
        .value_kind:     by_value
      - .actual_access:  read_only
        .address_space:  global
        .offset:         16
        .size:           8
        .value_kind:     global_buffer
      - .actual_access:  write_only
        .address_space:  global
        .offset:         24
        .size:           8
        .value_kind:     global_buffer
    .group_segment_fixed_size: 0
    .kernarg_segment_align: 8
    .kernarg_segment_size: 32
    .language:       OpenCL C
    .language_version:
      - 2
      - 0
    .max_flat_workgroup_size: 256
    .name:           _ZN9rocsparseL32gtsv_transpose_back_array_kernelILj256ELj256E21rocsparse_complex_numIdEEEviiiPKT1_PS3_
    .private_segment_fixed_size: 0
    .sgpr_count:     16
    .sgpr_spill_count: 0
    .symbol:         _ZN9rocsparseL32gtsv_transpose_back_array_kernelILj256ELj256E21rocsparse_complex_numIdEEEviiiPKT1_PS3_.kd
    .uniform_work_group_size: 1
    .uses_dynamic_stack: false
    .vgpr_count:     7
    .vgpr_spill_count: 0
    .wavefront_size: 64
amdhsa.target:   amdgcn-amd-amdhsa--gfx906
amdhsa.version:
  - 1
  - 2
...

	.end_amdgpu_metadata
